;; amdgpu-corpus repo=ROCm/rocSPARSE kind=compiled arch=gfx90a opt=O3
	.text
	.amdgcn_target "amdgcn-amd-amdhsa--gfx90a"
	.amdhsa_code_object_version 6
	.section	.text._ZN9rocsparseL35gebsr2csr_block_per_row_1_32_kernelILi256ELi2ELi2EfEEv20rocsparse_direction_ii21rocsparse_index_base_PKT2_PKiS7_iiS2_PS3_PiS9_,"axG",@progbits,_ZN9rocsparseL35gebsr2csr_block_per_row_1_32_kernelILi256ELi2ELi2EfEEv20rocsparse_direction_ii21rocsparse_index_base_PKT2_PKiS7_iiS2_PS3_PiS9_,comdat
	.globl	_ZN9rocsparseL35gebsr2csr_block_per_row_1_32_kernelILi256ELi2ELi2EfEEv20rocsparse_direction_ii21rocsparse_index_base_PKT2_PKiS7_iiS2_PS3_PiS9_ ; -- Begin function _ZN9rocsparseL35gebsr2csr_block_per_row_1_32_kernelILi256ELi2ELi2EfEEv20rocsparse_direction_ii21rocsparse_index_base_PKT2_PKiS7_iiS2_PS3_PiS9_
	.p2align	8
	.type	_ZN9rocsparseL35gebsr2csr_block_per_row_1_32_kernelILi256ELi2ELi2EfEEv20rocsparse_direction_ii21rocsparse_index_base_PKT2_PKiS7_iiS2_PS3_PiS9_,@function
_ZN9rocsparseL35gebsr2csr_block_per_row_1_32_kernelILi256ELi2ELi2EfEEv20rocsparse_direction_ii21rocsparse_index_base_PKT2_PKiS7_iiS2_PS3_PiS9_: ; @_ZN9rocsparseL35gebsr2csr_block_per_row_1_32_kernelILi256ELi2ELi2EfEEv20rocsparse_direction_ii21rocsparse_index_base_PKT2_PKiS7_iiS2_PS3_PiS9_
; %bb.0:
	s_load_dwordx2 s[0:1], s[4:5], 0x18
	s_load_dwordx4 s[8:11], s[4:5], 0x28
	s_load_dwordx2 s[2:3], s[4:5], 0x40
	s_ashr_i32 s7, s6, 31
	s_lshl_b64 s[12:13], s[6:7], 2
	s_waitcnt lgkmcnt(0)
	s_add_u32 s12, s0, s12
	v_or_b32_e32 v1, s6, v0
	s_addc_u32 s13, s1, s13
	v_cmp_eq_u32_e32 vcc, 0, v1
	s_and_saveexec_b64 s[0:1], vcc
	s_cbranch_execz .LBB0_2
; %bb.1:
	v_mov_b32_e32 v1, 0
	v_mov_b32_e32 v2, s10
	global_store_dword v1, v2, s[2:3]
.LBB0_2:
	s_or_b64 exec, exec, s[0:1]
	v_and_b32_e32 v4, 1, v0
	v_bfe_u32 v10, v0, 1, 1
	v_cmp_gt_i32_e32 vcc, s8, v10
	v_cmp_gt_i32_e64 s[0:1], s9, v4
	s_and_b64 s[0:1], vcc, s[0:1]
	s_and_saveexec_b64 s[14:15], s[0:1]
	s_cbranch_execz .LBB0_15
; %bb.3:
	s_load_dwordx2 s[16:17], s[12:13], 0x0
	s_load_dword s20, s[4:5], 0xc
	s_mul_i32 s21, s9, s8
	v_lshrrev_b32_e32 v5, 2, v0
	v_mov_b32_e32 v6, s3
	s_waitcnt lgkmcnt(0)
	s_sub_i32 s22, s16, s20
	s_sub_i32 s17, s17, s20
	;; [unrolled: 1-line block ×3, first 2 shown]
	s_mul_i32 s1, s25, s9
	s_mul_i32 s0, s22, s21
	v_mul_lo_u32 v0, s1, v10
	v_add_u32_e32 v1, s0, v0
	s_mul_i32 s0, s6, s8
	v_add_u32_e32 v2, s0, v10
	v_ashrrev_i32_e32 v3, 31, v2
	v_lshlrev_b64 v[2:3], 2, v[2:3]
	s_add_i32 s1, s1, s10
	v_add_co_u32_e32 v2, vcc, s2, v2
	v_add_u32_e32 v0, s1, v1
	v_addc_co_u32_e32 v3, vcc, v6, v3, vcc
	global_store_dword v[2:3], v0, off offset:4
	v_add_u32_e32 v0, s22, v5
	v_cmp_gt_i32_e32 vcc, s17, v0
	s_and_b64 exec, exec, vcc
	s_cbranch_execz .LBB0_15
; %bb.4:
	s_load_dwordx2 s[18:19], s[4:5], 0x20
	s_load_dwordx2 s[6:7], s[4:5], 0x38
	s_load_dword s0, s[4:5], 0x0
	s_load_dwordx2 s[12:13], s[4:5], 0x10
	s_load_dwordx2 s[14:15], s[4:5], 0x48
	v_add_u32_e32 v3, s16, v5
	v_subrev_u32_e32 v3, s20, v3
	s_waitcnt lgkmcnt(0)
	s_cmp_eq_u32 s0, 0
	v_mad_u64_u32 v[6:7], s[0:1], v4, s8, v[10:11]
	v_mad_u64_u32 v[8:9], s[0:1], v10, s9, v[4:5]
	s_cselect_b64 vcc, -1, 0
	v_add_u32_e32 v3, 64, v3
	s_not_b32 s0, s16
	v_max_i32_e32 v3, s17, v3
	s_add_i32 s0, s0, s20
	v_add_u32_e32 v3, s0, v3
	v_sub_u32_e32 v7, v3, v5
	s_movk_i32 s0, 0x43f
	v_add_u32_e32 v2, s10, v4
	v_cmp_lt_u32_e64 s[0:1], s0, v7
	s_mov_b64 s[2:3], 0
	v_mul_lo_u32 v3, s25, v10
                                        ; implicit-def: $sgpr24
                                        ; implicit-def: $sgpr23
	s_and_saveexec_b64 s[4:5], s[0:1]
	s_xor_b64 s[10:11], exec, s[4:5]
	s_cbranch_execz .LBB0_10
; %bb.5:
	s_lshl_b32 s23, s9, 6
	s_mul_i32 s24, s22, s8
	v_mul_lo_u32 v3, s25, v10
	s_sub_i32 s4, 0, s23
	v_add3_u32 v5, v5, s24, v3
	v_mad_u64_u32 v[10:11], s[0:1], v5, s9, v[4:5]
	s_cmp_lt_i32 s23, 0
	s_cselect_b64 s[0:1], -1, 0
	s_and_b64 s[2:3], s[0:1], exec
	v_lshrrev_b32_e32 v7, 6, v7
	s_cselect_b32 s4, s4, s23
	v_mul_hi_u32 v5, s4, v7
	v_cmp_eq_u32_e64 s[2:3], 0, v5
	v_mul_lo_u32 v5, s4, v7
	v_add_u32_e32 v9, v10, v5
	v_sub_u32_e32 v5, v10, v5
	v_cmp_gt_i32_e64 s[4:5], v5, v10
	v_cndmask_b32_e64 v5, 0, 1, s[4:5]
	v_cmp_lt_i32_e64 s[4:5], v9, v10
	v_cndmask_b32_e64 v9, 0, 1, s[4:5]
	v_cndmask_b32_e64 v5, v9, v5, s[0:1]
	v_and_b32_e32 v5, 1, v5
	v_cmp_eq_u32_e64 s[0:1], 1, v5
	s_xor_b64 s[0:1], s[0:1], -1
	s_mov_b64 s[4:5], -1
	s_and_b64 s[0:1], s[0:1], s[2:3]
	s_and_saveexec_b64 s[2:3], s[0:1]
	s_cbranch_execz .LBB0_9
; %bb.6:
	v_add_u32_e32 v5, 1, v7
	v_add_u32_e32 v10, v1, v4
	v_and_b32_e32 v7, 0x7fffffe, v5
	v_add_u32_e32 v1, 64, v0
	v_cndmask_b32_e32 v12, v6, v8, vcc
	s_mov_b32 s25, s20
	s_mov_b32 s26, s22
	;; [unrolled: 1-line block ×5, first 2 shown]
	s_mov_b64 s[4:5], 0
	v_mov_b32_e32 v9, s19
	v_mov_b32_e32 v14, v10
	;; [unrolled: 1-line block ×8, first 2 shown]
	v_pk_mov_b32 v[20:21], v[0:1], v[0:1] op_sel:[0,1]
.LBB0_7:                                ; =>This Inner Loop Header: Depth=1
	v_ashrrev_i32_e32 v25, 31, v20
	v_mov_b32_e32 v24, v20
	v_mad_u64_u32 v[26:27], s[0:1], v20, s21, v[12:13]
	v_mad_u64_u32 v[28:29], s[0:1], v21, s29, v[18:19]
	v_lshlrev_b64 v[24:25], 2, v[24:25]
	v_ashrrev_i32_e32 v23, 31, v21
	v_mov_b32_e32 v22, v21
	v_add_co_u32_e64 v24, s[0:1], s18, v24
	v_lshlrev_b64 v[22:23], 2, v[22:23]
	v_addc_co_u32_e64 v25, s[0:1], v9, v25, s[0:1]
	v_ashrrev_i32_e32 v27, 31, v26
	v_add_co_u32_e64 v22, s[0:1], s18, v22
	v_addc_co_u32_e64 v23, s[0:1], v9, v23, s[0:1]
	v_lshlrev_b64 v[26:27], 2, v[26:27]
	v_ashrrev_i32_e32 v29, 31, v28
	global_load_dword v1, v[24:25], off
	global_load_dword v19, v[22:23], off
	v_add_co_u32_e64 v22, s[0:1], s12, v26
	v_lshlrev_b64 v[28:29], 2, v[28:29]
	v_addc_co_u32_e64 v23, s[0:1], v13, v27, s[0:1]
	v_add_co_u32_e64 v24, s[0:1], s12, v28
	v_addc_co_u32_e64 v25, s[0:1], v13, v29, s[0:1]
	global_load_dword v34, v[22:23], off
	global_load_dword v35, v[24:25], off
	v_subrev_u32_e32 v22, s22, v20
	v_subrev_u32_e32 v24, s26, v21
	v_mad_u64_u32 v[22:23], s[0:1], v22, s27, v[10:11]
	v_add_u32_e32 v17, -2, v17
	v_mad_u64_u32 v[24:25], s[0:1], v24, s28, v[14:15]
	v_ashrrev_i32_e32 v23, 31, v22
	v_cmp_eq_u32_e64 s[0:1], 0, v17
	v_lshlrev_b64 v[22:23], 2, v[22:23]
	v_ashrrev_i32_e32 v25, 31, v24
	s_or_b64 s[4:5], s[0:1], s[4:5]
	v_add_co_u32_e64 v26, s[0:1], s14, v22
	v_lshlrev_b64 v[24:25], 2, v[24:25]
	v_addc_co_u32_e64 v27, s[0:1], v11, v23, s[0:1]
	v_add_co_u32_e64 v28, s[0:1], s14, v24
	v_addc_co_u32_e64 v29, s[0:1], v11, v25, s[0:1]
	v_add_co_u32_e64 v22, s[0:1], s6, v22
	v_addc_co_u32_e64 v23, s[0:1], v15, v23, s[0:1]
	v_add_u32_e32 v21, 0x80, v21
	v_add_u32_e32 v20, 0x80, v20
	v_add_co_u32_e64 v24, s[0:1], s6, v24
	v_addc_co_u32_e64 v25, s[0:1], v15, v25, s[0:1]
	s_waitcnt vmcnt(3)
	v_subrev_u32_e32 v1, s20, v1
	s_waitcnt vmcnt(2)
	v_subrev_u32_e32 v19, s25, v19
	v_mad_u64_u32 v[30:31], s[0:1], v19, s28, v[16:17]
	v_mad_u64_u32 v[32:33], s[0:1], v1, s27, v[2:3]
	s_waitcnt vmcnt(1)
	global_store_dword v[22:23], v34, off
	s_waitcnt vmcnt(1)
	global_store_dword v[24:25], v35, off
	global_store_dword v[26:27], v32, off
	;; [unrolled: 1-line block ×3, first 2 shown]
	s_andn2_b64 exec, exec, s[4:5]
	s_cbranch_execnz .LBB0_7
; %bb.8:
	s_or_b64 exec, exec, s[4:5]
	v_cmp_ne_u32_e64 s[0:1], v5, v7
	v_lshl_add_u32 v0, v7, 6, v0
	s_orn2_b64 s[4:5], s[0:1], exec
.LBB0_9:
	s_or_b64 exec, exec, s[2:3]
	s_and_b64 s[2:3], s[4:5], exec
.LBB0_10:
	s_or_saveexec_b64 s[0:1], s[10:11]
	v_mov_b32_e32 v1, s24
	v_mov_b32_e32 v10, s23
	s_xor_b64 exec, exec, s[0:1]
; %bb.11:
	s_mul_i32 s4, s8, s22
	s_lshl_b32 s5, s9, 6
	v_mov_b32_e32 v1, s4
	v_mov_b32_e32 v10, s5
	s_or_b64 s[2:3], s[2:3], exec
; %bb.12:
	s_or_b64 exec, exec, s[0:1]
	s_and_b64 exec, exec, s[2:3]
	s_cbranch_execz .LBB0_15
; %bb.13:
	v_cndmask_b32_e32 v6, v6, v8, vcc
	v_mul_lo_u32 v5, v0, s9
	v_mad_u64_u32 v[6:7], s[0:1], v5, s8, v[6:7]
	v_add_u32_e32 v5, s20, v0
	v_add3_u32 v1, v5, v1, v3
	v_subrev_u32_e32 v1, s16, v1
	v_mad_u64_u32 v[4:5], s[0:1], s9, v1, v[4:5]
	v_ashrrev_i32_e32 v1, 31, v0
	v_lshlrev_b64 v[8:9], 2, v[0:1]
	v_mov_b32_e32 v1, s19
	v_add_co_u32_e32 v8, vcc, s18, v8
	s_lshl_b32 s4, s21, 6
	v_addc_co_u32_e32 v9, vcc, v1, v9, vcc
	s_mov_b64 s[2:3], 0
	v_mov_b32_e32 v1, s15
	v_mov_b32_e32 v3, s13
	;; [unrolled: 1-line block ×3, first 2 shown]
.LBB0_14:                               ; =>This Inner Loop Header: Depth=1
	v_ashrrev_i32_e32 v7, 31, v6
	global_load_dword v16, v[8:9], off
	v_lshlrev_b64 v[12:13], 2, v[6:7]
	v_add_co_u32_e32 v12, vcc, s12, v12
	v_addc_co_u32_e32 v13, vcc, v3, v13, vcc
	global_load_dword v7, v[12:13], off
	v_ashrrev_i32_e32 v5, 31, v4
	v_lshlrev_b64 v[12:13], 2, v[4:5]
	v_add_co_u32_e32 v8, vcc, 0x100, v8
	v_add_co_u32_e64 v14, s[0:1], s14, v12
	v_add_u32_e32 v0, 64, v0
	v_addc_co_u32_e32 v9, vcc, 0, v9, vcc
	v_addc_co_u32_e64 v15, s[0:1], v1, v13, s[0:1]
	v_cmp_le_i32_e32 vcc, s17, v0
	v_add_co_u32_e64 v12, s[0:1], s6, v12
	v_add_u32_e32 v6, s4, v6
	v_add_u32_e32 v4, v4, v10
	v_addc_co_u32_e64 v13, s[0:1], v11, v13, s[0:1]
	s_or_b64 s[2:3], vcc, s[2:3]
	s_waitcnt vmcnt(1)
	v_subrev_u32_e32 v5, s20, v16
	v_mad_u64_u32 v[16:17], s[0:1], v5, s9, v[2:3]
	global_store_dword v[14:15], v16, off
	s_waitcnt vmcnt(1)
	global_store_dword v[12:13], v7, off
	s_andn2_b64 exec, exec, s[2:3]
	s_cbranch_execnz .LBB0_14
.LBB0_15:
	s_endpgm
	.section	.rodata,"a",@progbits
	.p2align	6, 0x0
	.amdhsa_kernel _ZN9rocsparseL35gebsr2csr_block_per_row_1_32_kernelILi256ELi2ELi2EfEEv20rocsparse_direction_ii21rocsparse_index_base_PKT2_PKiS7_iiS2_PS3_PiS9_
		.amdhsa_group_segment_fixed_size 0
		.amdhsa_private_segment_fixed_size 0
		.amdhsa_kernarg_size 80
		.amdhsa_user_sgpr_count 6
		.amdhsa_user_sgpr_private_segment_buffer 1
		.amdhsa_user_sgpr_dispatch_ptr 0
		.amdhsa_user_sgpr_queue_ptr 0
		.amdhsa_user_sgpr_kernarg_segment_ptr 1
		.amdhsa_user_sgpr_dispatch_id 0
		.amdhsa_user_sgpr_flat_scratch_init 0
		.amdhsa_user_sgpr_kernarg_preload_length 0
		.amdhsa_user_sgpr_kernarg_preload_offset 0
		.amdhsa_user_sgpr_private_segment_size 0
		.amdhsa_uses_dynamic_stack 0
		.amdhsa_system_sgpr_private_segment_wavefront_offset 0
		.amdhsa_system_sgpr_workgroup_id_x 1
		.amdhsa_system_sgpr_workgroup_id_y 0
		.amdhsa_system_sgpr_workgroup_id_z 0
		.amdhsa_system_sgpr_workgroup_info 0
		.amdhsa_system_vgpr_workitem_id 0
		.amdhsa_next_free_vgpr 36
		.amdhsa_next_free_sgpr 30
		.amdhsa_accum_offset 36
		.amdhsa_reserve_vcc 1
		.amdhsa_reserve_flat_scratch 0
		.amdhsa_float_round_mode_32 0
		.amdhsa_float_round_mode_16_64 0
		.amdhsa_float_denorm_mode_32 3
		.amdhsa_float_denorm_mode_16_64 3
		.amdhsa_dx10_clamp 1
		.amdhsa_ieee_mode 1
		.amdhsa_fp16_overflow 0
		.amdhsa_tg_split 0
		.amdhsa_exception_fp_ieee_invalid_op 0
		.amdhsa_exception_fp_denorm_src 0
		.amdhsa_exception_fp_ieee_div_zero 0
		.amdhsa_exception_fp_ieee_overflow 0
		.amdhsa_exception_fp_ieee_underflow 0
		.amdhsa_exception_fp_ieee_inexact 0
		.amdhsa_exception_int_div_zero 0
	.end_amdhsa_kernel
	.section	.text._ZN9rocsparseL35gebsr2csr_block_per_row_1_32_kernelILi256ELi2ELi2EfEEv20rocsparse_direction_ii21rocsparse_index_base_PKT2_PKiS7_iiS2_PS3_PiS9_,"axG",@progbits,_ZN9rocsparseL35gebsr2csr_block_per_row_1_32_kernelILi256ELi2ELi2EfEEv20rocsparse_direction_ii21rocsparse_index_base_PKT2_PKiS7_iiS2_PS3_PiS9_,comdat
.Lfunc_end0:
	.size	_ZN9rocsparseL35gebsr2csr_block_per_row_1_32_kernelILi256ELi2ELi2EfEEv20rocsparse_direction_ii21rocsparse_index_base_PKT2_PKiS7_iiS2_PS3_PiS9_, .Lfunc_end0-_ZN9rocsparseL35gebsr2csr_block_per_row_1_32_kernelILi256ELi2ELi2EfEEv20rocsparse_direction_ii21rocsparse_index_base_PKT2_PKiS7_iiS2_PS3_PiS9_
                                        ; -- End function
	.section	.AMDGPU.csdata,"",@progbits
; Kernel info:
; codeLenInByte = 1348
; NumSgprs: 34
; NumVgprs: 36
; NumAgprs: 0
; TotalNumVgprs: 36
; ScratchSize: 0
; MemoryBound: 0
; FloatMode: 240
; IeeeMode: 1
; LDSByteSize: 0 bytes/workgroup (compile time only)
; SGPRBlocks: 4
; VGPRBlocks: 4
; NumSGPRsForWavesPerEU: 34
; NumVGPRsForWavesPerEU: 36
; AccumOffset: 36
; Occupancy: 8
; WaveLimiterHint : 0
; COMPUTE_PGM_RSRC2:SCRATCH_EN: 0
; COMPUTE_PGM_RSRC2:USER_SGPR: 6
; COMPUTE_PGM_RSRC2:TRAP_HANDLER: 0
; COMPUTE_PGM_RSRC2:TGID_X_EN: 1
; COMPUTE_PGM_RSRC2:TGID_Y_EN: 0
; COMPUTE_PGM_RSRC2:TGID_Z_EN: 0
; COMPUTE_PGM_RSRC2:TIDIG_COMP_CNT: 0
; COMPUTE_PGM_RSRC3_GFX90A:ACCUM_OFFSET: 8
; COMPUTE_PGM_RSRC3_GFX90A:TG_SPLIT: 0
	.section	.text._ZN9rocsparseL35gebsr2csr_block_per_row_1_32_kernelILi256ELi2ELi4EfEEv20rocsparse_direction_ii21rocsparse_index_base_PKT2_PKiS7_iiS2_PS3_PiS9_,"axG",@progbits,_ZN9rocsparseL35gebsr2csr_block_per_row_1_32_kernelILi256ELi2ELi4EfEEv20rocsparse_direction_ii21rocsparse_index_base_PKT2_PKiS7_iiS2_PS3_PiS9_,comdat
	.globl	_ZN9rocsparseL35gebsr2csr_block_per_row_1_32_kernelILi256ELi2ELi4EfEEv20rocsparse_direction_ii21rocsparse_index_base_PKT2_PKiS7_iiS2_PS3_PiS9_ ; -- Begin function _ZN9rocsparseL35gebsr2csr_block_per_row_1_32_kernelILi256ELi2ELi4EfEEv20rocsparse_direction_ii21rocsparse_index_base_PKT2_PKiS7_iiS2_PS3_PiS9_
	.p2align	8
	.type	_ZN9rocsparseL35gebsr2csr_block_per_row_1_32_kernelILi256ELi2ELi4EfEEv20rocsparse_direction_ii21rocsparse_index_base_PKT2_PKiS7_iiS2_PS3_PiS9_,@function
_ZN9rocsparseL35gebsr2csr_block_per_row_1_32_kernelILi256ELi2ELi4EfEEv20rocsparse_direction_ii21rocsparse_index_base_PKT2_PKiS7_iiS2_PS3_PiS9_: ; @_ZN9rocsparseL35gebsr2csr_block_per_row_1_32_kernelILi256ELi2ELi4EfEEv20rocsparse_direction_ii21rocsparse_index_base_PKT2_PKiS7_iiS2_PS3_PiS9_
; %bb.0:
	s_load_dwordx2 s[0:1], s[4:5], 0x18
	s_load_dwordx4 s[8:11], s[4:5], 0x28
	s_load_dwordx2 s[2:3], s[4:5], 0x40
	s_ashr_i32 s7, s6, 31
	s_lshl_b64 s[12:13], s[6:7], 2
	s_waitcnt lgkmcnt(0)
	s_add_u32 s12, s0, s12
	v_or_b32_e32 v1, s6, v0
	s_addc_u32 s13, s1, s13
	v_cmp_eq_u32_e32 vcc, 0, v1
	s_and_saveexec_b64 s[0:1], vcc
	s_cbranch_execz .LBB1_2
; %bb.1:
	v_mov_b32_e32 v1, 0
	v_mov_b32_e32 v2, s10
	global_store_dword v1, v2, s[2:3]
.LBB1_2:
	s_or_b64 exec, exec, s[0:1]
	v_and_b32_e32 v4, 3, v0
	v_bfe_u32 v10, v0, 2, 1
	v_cmp_gt_i32_e32 vcc, s8, v10
	v_cmp_gt_i32_e64 s[0:1], s9, v4
	s_and_b64 s[0:1], vcc, s[0:1]
	s_and_saveexec_b64 s[14:15], s[0:1]
	s_cbranch_execz .LBB1_15
; %bb.3:
	s_load_dwordx2 s[16:17], s[12:13], 0x0
	s_load_dword s20, s[4:5], 0xc
	s_mul_i32 s21, s9, s8
	v_lshrrev_b32_e32 v5, 3, v0
	v_mov_b32_e32 v6, s3
	s_waitcnt lgkmcnt(0)
	s_sub_i32 s22, s16, s20
	s_sub_i32 s17, s17, s20
	;; [unrolled: 1-line block ×3, first 2 shown]
	s_mul_i32 s1, s25, s9
	s_mul_i32 s0, s22, s21
	v_mul_lo_u32 v0, s1, v10
	v_add_u32_e32 v1, s0, v0
	s_mul_i32 s0, s6, s8
	v_add_u32_e32 v2, s0, v10
	v_ashrrev_i32_e32 v3, 31, v2
	v_lshlrev_b64 v[2:3], 2, v[2:3]
	s_add_i32 s1, s1, s10
	v_add_co_u32_e32 v2, vcc, s2, v2
	v_add_u32_e32 v0, s1, v1
	v_addc_co_u32_e32 v3, vcc, v6, v3, vcc
	global_store_dword v[2:3], v0, off offset:4
	v_add_u32_e32 v0, s22, v5
	v_cmp_gt_i32_e32 vcc, s17, v0
	s_and_b64 exec, exec, vcc
	s_cbranch_execz .LBB1_15
; %bb.4:
	s_load_dwordx2 s[18:19], s[4:5], 0x20
	s_load_dwordx2 s[6:7], s[4:5], 0x38
	s_load_dword s0, s[4:5], 0x0
	s_load_dwordx2 s[12:13], s[4:5], 0x10
	s_load_dwordx2 s[14:15], s[4:5], 0x48
	v_add_u32_e32 v3, s16, v5
	v_subrev_u32_e32 v3, s20, v3
	s_waitcnt lgkmcnt(0)
	s_cmp_eq_u32 s0, 0
	v_mad_u64_u32 v[6:7], s[0:1], v4, s8, v[10:11]
	v_mad_u64_u32 v[8:9], s[0:1], v10, s9, v[4:5]
	s_cselect_b64 vcc, -1, 0
	v_add_u32_e32 v3, 32, v3
	s_not_b32 s0, s16
	v_max_i32_e32 v3, s17, v3
	s_add_i32 s0, s0, s20
	v_add_u32_e32 v3, s0, v3
	v_sub_u32_e32 v7, v3, v5
	s_movk_i32 s0, 0x21f
	v_add_u32_e32 v2, s10, v4
	v_cmp_lt_u32_e64 s[0:1], s0, v7
	s_mov_b64 s[2:3], 0
	v_mul_lo_u32 v3, s25, v10
                                        ; implicit-def: $sgpr24
                                        ; implicit-def: $sgpr23
	s_and_saveexec_b64 s[4:5], s[0:1]
	s_xor_b64 s[10:11], exec, s[4:5]
	s_cbranch_execz .LBB1_10
; %bb.5:
	s_lshl_b32 s23, s9, 5
	s_mul_i32 s24, s22, s8
	v_mul_lo_u32 v3, s25, v10
	s_sub_i32 s4, 0, s23
	v_add3_u32 v5, v5, s24, v3
	v_mad_u64_u32 v[10:11], s[0:1], v5, s9, v[4:5]
	s_cmp_lt_i32 s23, 0
	s_cselect_b64 s[0:1], -1, 0
	s_and_b64 s[2:3], s[0:1], exec
	v_lshrrev_b32_e32 v7, 5, v7
	s_cselect_b32 s4, s4, s23
	v_mul_hi_u32 v5, s4, v7
	v_cmp_eq_u32_e64 s[2:3], 0, v5
	v_mul_lo_u32 v5, s4, v7
	v_add_u32_e32 v9, v10, v5
	v_sub_u32_e32 v5, v10, v5
	v_cmp_gt_i32_e64 s[4:5], v5, v10
	v_cndmask_b32_e64 v5, 0, 1, s[4:5]
	v_cmp_lt_i32_e64 s[4:5], v9, v10
	v_cndmask_b32_e64 v9, 0, 1, s[4:5]
	v_cndmask_b32_e64 v5, v9, v5, s[0:1]
	v_and_b32_e32 v5, 1, v5
	v_cmp_eq_u32_e64 s[0:1], 1, v5
	s_xor_b64 s[0:1], s[0:1], -1
	s_mov_b64 s[4:5], -1
	s_and_b64 s[0:1], s[0:1], s[2:3]
	s_and_saveexec_b64 s[2:3], s[0:1]
	s_cbranch_execz .LBB1_9
; %bb.6:
	v_add_u32_e32 v5, 1, v7
	v_add_u32_e32 v10, v1, v4
	v_and_b32_e32 v7, 0xffffffe, v5
	v_add_u32_e32 v1, 32, v0
	v_cndmask_b32_e32 v12, v6, v8, vcc
	s_mov_b32 s25, s20
	s_mov_b32 s26, s22
	;; [unrolled: 1-line block ×5, first 2 shown]
	s_mov_b64 s[4:5], 0
	v_mov_b32_e32 v9, s19
	v_mov_b32_e32 v14, v10
	;; [unrolled: 1-line block ×8, first 2 shown]
	v_pk_mov_b32 v[20:21], v[0:1], v[0:1] op_sel:[0,1]
.LBB1_7:                                ; =>This Inner Loop Header: Depth=1
	v_ashrrev_i32_e32 v25, 31, v20
	v_mov_b32_e32 v24, v20
	v_mad_u64_u32 v[26:27], s[0:1], v20, s21, v[12:13]
	v_mad_u64_u32 v[28:29], s[0:1], v21, s29, v[18:19]
	v_lshlrev_b64 v[24:25], 2, v[24:25]
	v_ashrrev_i32_e32 v23, 31, v21
	v_mov_b32_e32 v22, v21
	v_add_co_u32_e64 v24, s[0:1], s18, v24
	v_lshlrev_b64 v[22:23], 2, v[22:23]
	v_addc_co_u32_e64 v25, s[0:1], v9, v25, s[0:1]
	v_ashrrev_i32_e32 v27, 31, v26
	v_add_co_u32_e64 v22, s[0:1], s18, v22
	v_addc_co_u32_e64 v23, s[0:1], v9, v23, s[0:1]
	v_lshlrev_b64 v[26:27], 2, v[26:27]
	v_ashrrev_i32_e32 v29, 31, v28
	global_load_dword v1, v[24:25], off
	global_load_dword v19, v[22:23], off
	v_add_co_u32_e64 v22, s[0:1], s12, v26
	v_lshlrev_b64 v[28:29], 2, v[28:29]
	v_addc_co_u32_e64 v23, s[0:1], v13, v27, s[0:1]
	v_add_co_u32_e64 v24, s[0:1], s12, v28
	v_addc_co_u32_e64 v25, s[0:1], v13, v29, s[0:1]
	global_load_dword v34, v[22:23], off
	global_load_dword v35, v[24:25], off
	v_subrev_u32_e32 v22, s22, v20
	v_subrev_u32_e32 v24, s26, v21
	v_mad_u64_u32 v[22:23], s[0:1], v22, s27, v[10:11]
	v_add_u32_e32 v17, -2, v17
	v_mad_u64_u32 v[24:25], s[0:1], v24, s28, v[14:15]
	v_ashrrev_i32_e32 v23, 31, v22
	v_cmp_eq_u32_e64 s[0:1], 0, v17
	v_lshlrev_b64 v[22:23], 2, v[22:23]
	v_ashrrev_i32_e32 v25, 31, v24
	s_or_b64 s[4:5], s[0:1], s[4:5]
	v_add_co_u32_e64 v26, s[0:1], s14, v22
	v_lshlrev_b64 v[24:25], 2, v[24:25]
	v_addc_co_u32_e64 v27, s[0:1], v11, v23, s[0:1]
	v_add_co_u32_e64 v28, s[0:1], s14, v24
	v_addc_co_u32_e64 v29, s[0:1], v11, v25, s[0:1]
	v_add_co_u32_e64 v22, s[0:1], s6, v22
	v_addc_co_u32_e64 v23, s[0:1], v15, v23, s[0:1]
	v_add_u32_e32 v21, 64, v21
	v_add_u32_e32 v20, 64, v20
	v_add_co_u32_e64 v24, s[0:1], s6, v24
	v_addc_co_u32_e64 v25, s[0:1], v15, v25, s[0:1]
	s_waitcnt vmcnt(3)
	v_subrev_u32_e32 v1, s20, v1
	s_waitcnt vmcnt(2)
	v_subrev_u32_e32 v19, s25, v19
	v_mad_u64_u32 v[30:31], s[0:1], v19, s28, v[16:17]
	v_mad_u64_u32 v[32:33], s[0:1], v1, s27, v[2:3]
	s_waitcnt vmcnt(1)
	global_store_dword v[22:23], v34, off
	s_waitcnt vmcnt(1)
	global_store_dword v[24:25], v35, off
	global_store_dword v[26:27], v32, off
	global_store_dword v[28:29], v30, off
	s_andn2_b64 exec, exec, s[4:5]
	s_cbranch_execnz .LBB1_7
; %bb.8:
	s_or_b64 exec, exec, s[4:5]
	v_cmp_ne_u32_e64 s[0:1], v5, v7
	v_lshl_add_u32 v0, v7, 5, v0
	s_orn2_b64 s[4:5], s[0:1], exec
.LBB1_9:
	s_or_b64 exec, exec, s[2:3]
	s_and_b64 s[2:3], s[4:5], exec
.LBB1_10:
	s_or_saveexec_b64 s[0:1], s[10:11]
	v_mov_b32_e32 v1, s24
	v_mov_b32_e32 v10, s23
	s_xor_b64 exec, exec, s[0:1]
; %bb.11:
	s_mul_i32 s4, s8, s22
	s_lshl_b32 s5, s9, 5
	v_mov_b32_e32 v1, s4
	v_mov_b32_e32 v10, s5
	s_or_b64 s[2:3], s[2:3], exec
; %bb.12:
	s_or_b64 exec, exec, s[0:1]
	s_and_b64 exec, exec, s[2:3]
	s_cbranch_execz .LBB1_15
; %bb.13:
	v_cndmask_b32_e32 v6, v6, v8, vcc
	v_mul_lo_u32 v5, v0, s9
	v_mad_u64_u32 v[6:7], s[0:1], v5, s8, v[6:7]
	v_add_u32_e32 v5, s20, v0
	v_add3_u32 v1, v5, v1, v3
	v_subrev_u32_e32 v1, s16, v1
	v_mad_u64_u32 v[4:5], s[0:1], s9, v1, v[4:5]
	v_ashrrev_i32_e32 v1, 31, v0
	v_lshlrev_b64 v[8:9], 2, v[0:1]
	v_mov_b32_e32 v1, s19
	v_add_co_u32_e32 v8, vcc, s18, v8
	s_lshl_b32 s4, s21, 5
	v_addc_co_u32_e32 v9, vcc, v1, v9, vcc
	s_mov_b64 s[2:3], 0
	v_mov_b32_e32 v1, s15
	v_mov_b32_e32 v3, s13
	;; [unrolled: 1-line block ×3, first 2 shown]
.LBB1_14:                               ; =>This Inner Loop Header: Depth=1
	v_ashrrev_i32_e32 v7, 31, v6
	global_load_dword v16, v[8:9], off
	v_lshlrev_b64 v[12:13], 2, v[6:7]
	v_add_co_u32_e32 v12, vcc, s12, v12
	v_addc_co_u32_e32 v13, vcc, v3, v13, vcc
	global_load_dword v7, v[12:13], off
	v_ashrrev_i32_e32 v5, 31, v4
	v_lshlrev_b64 v[12:13], 2, v[4:5]
	v_add_co_u32_e32 v8, vcc, 0x80, v8
	v_add_co_u32_e64 v14, s[0:1], s14, v12
	v_add_u32_e32 v0, 32, v0
	v_addc_co_u32_e32 v9, vcc, 0, v9, vcc
	v_addc_co_u32_e64 v15, s[0:1], v1, v13, s[0:1]
	v_cmp_le_i32_e32 vcc, s17, v0
	v_add_co_u32_e64 v12, s[0:1], s6, v12
	v_add_u32_e32 v6, s4, v6
	v_add_u32_e32 v4, v4, v10
	v_addc_co_u32_e64 v13, s[0:1], v11, v13, s[0:1]
	s_or_b64 s[2:3], vcc, s[2:3]
	s_waitcnt vmcnt(1)
	v_subrev_u32_e32 v5, s20, v16
	v_mad_u64_u32 v[16:17], s[0:1], v5, s9, v[2:3]
	global_store_dword v[14:15], v16, off
	s_waitcnt vmcnt(1)
	global_store_dword v[12:13], v7, off
	s_andn2_b64 exec, exec, s[2:3]
	s_cbranch_execnz .LBB1_14
.LBB1_15:
	s_endpgm
	.section	.rodata,"a",@progbits
	.p2align	6, 0x0
	.amdhsa_kernel _ZN9rocsparseL35gebsr2csr_block_per_row_1_32_kernelILi256ELi2ELi4EfEEv20rocsparse_direction_ii21rocsparse_index_base_PKT2_PKiS7_iiS2_PS3_PiS9_
		.amdhsa_group_segment_fixed_size 0
		.amdhsa_private_segment_fixed_size 0
		.amdhsa_kernarg_size 80
		.amdhsa_user_sgpr_count 6
		.amdhsa_user_sgpr_private_segment_buffer 1
		.amdhsa_user_sgpr_dispatch_ptr 0
		.amdhsa_user_sgpr_queue_ptr 0
		.amdhsa_user_sgpr_kernarg_segment_ptr 1
		.amdhsa_user_sgpr_dispatch_id 0
		.amdhsa_user_sgpr_flat_scratch_init 0
		.amdhsa_user_sgpr_kernarg_preload_length 0
		.amdhsa_user_sgpr_kernarg_preload_offset 0
		.amdhsa_user_sgpr_private_segment_size 0
		.amdhsa_uses_dynamic_stack 0
		.amdhsa_system_sgpr_private_segment_wavefront_offset 0
		.amdhsa_system_sgpr_workgroup_id_x 1
		.amdhsa_system_sgpr_workgroup_id_y 0
		.amdhsa_system_sgpr_workgroup_id_z 0
		.amdhsa_system_sgpr_workgroup_info 0
		.amdhsa_system_vgpr_workitem_id 0
		.amdhsa_next_free_vgpr 36
		.amdhsa_next_free_sgpr 30
		.amdhsa_accum_offset 36
		.amdhsa_reserve_vcc 1
		.amdhsa_reserve_flat_scratch 0
		.amdhsa_float_round_mode_32 0
		.amdhsa_float_round_mode_16_64 0
		.amdhsa_float_denorm_mode_32 3
		.amdhsa_float_denorm_mode_16_64 3
		.amdhsa_dx10_clamp 1
		.amdhsa_ieee_mode 1
		.amdhsa_fp16_overflow 0
		.amdhsa_tg_split 0
		.amdhsa_exception_fp_ieee_invalid_op 0
		.amdhsa_exception_fp_denorm_src 0
		.amdhsa_exception_fp_ieee_div_zero 0
		.amdhsa_exception_fp_ieee_overflow 0
		.amdhsa_exception_fp_ieee_underflow 0
		.amdhsa_exception_fp_ieee_inexact 0
		.amdhsa_exception_int_div_zero 0
	.end_amdhsa_kernel
	.section	.text._ZN9rocsparseL35gebsr2csr_block_per_row_1_32_kernelILi256ELi2ELi4EfEEv20rocsparse_direction_ii21rocsparse_index_base_PKT2_PKiS7_iiS2_PS3_PiS9_,"axG",@progbits,_ZN9rocsparseL35gebsr2csr_block_per_row_1_32_kernelILi256ELi2ELi4EfEEv20rocsparse_direction_ii21rocsparse_index_base_PKT2_PKiS7_iiS2_PS3_PiS9_,comdat
.Lfunc_end1:
	.size	_ZN9rocsparseL35gebsr2csr_block_per_row_1_32_kernelILi256ELi2ELi4EfEEv20rocsparse_direction_ii21rocsparse_index_base_PKT2_PKiS7_iiS2_PS3_PiS9_, .Lfunc_end1-_ZN9rocsparseL35gebsr2csr_block_per_row_1_32_kernelILi256ELi2ELi4EfEEv20rocsparse_direction_ii21rocsparse_index_base_PKT2_PKiS7_iiS2_PS3_PiS9_
                                        ; -- End function
	.section	.AMDGPU.csdata,"",@progbits
; Kernel info:
; codeLenInByte = 1340
; NumSgprs: 34
; NumVgprs: 36
; NumAgprs: 0
; TotalNumVgprs: 36
; ScratchSize: 0
; MemoryBound: 0
; FloatMode: 240
; IeeeMode: 1
; LDSByteSize: 0 bytes/workgroup (compile time only)
; SGPRBlocks: 4
; VGPRBlocks: 4
; NumSGPRsForWavesPerEU: 34
; NumVGPRsForWavesPerEU: 36
; AccumOffset: 36
; Occupancy: 8
; WaveLimiterHint : 0
; COMPUTE_PGM_RSRC2:SCRATCH_EN: 0
; COMPUTE_PGM_RSRC2:USER_SGPR: 6
; COMPUTE_PGM_RSRC2:TRAP_HANDLER: 0
; COMPUTE_PGM_RSRC2:TGID_X_EN: 1
; COMPUTE_PGM_RSRC2:TGID_Y_EN: 0
; COMPUTE_PGM_RSRC2:TGID_Z_EN: 0
; COMPUTE_PGM_RSRC2:TIDIG_COMP_CNT: 0
; COMPUTE_PGM_RSRC3_GFX90A:ACCUM_OFFSET: 8
; COMPUTE_PGM_RSRC3_GFX90A:TG_SPLIT: 0
	.section	.text._ZN9rocsparseL35gebsr2csr_block_per_row_1_32_kernelILi256ELi2ELi8EfEEv20rocsparse_direction_ii21rocsparse_index_base_PKT2_PKiS7_iiS2_PS3_PiS9_,"axG",@progbits,_ZN9rocsparseL35gebsr2csr_block_per_row_1_32_kernelILi256ELi2ELi8EfEEv20rocsparse_direction_ii21rocsparse_index_base_PKT2_PKiS7_iiS2_PS3_PiS9_,comdat
	.globl	_ZN9rocsparseL35gebsr2csr_block_per_row_1_32_kernelILi256ELi2ELi8EfEEv20rocsparse_direction_ii21rocsparse_index_base_PKT2_PKiS7_iiS2_PS3_PiS9_ ; -- Begin function _ZN9rocsparseL35gebsr2csr_block_per_row_1_32_kernelILi256ELi2ELi8EfEEv20rocsparse_direction_ii21rocsparse_index_base_PKT2_PKiS7_iiS2_PS3_PiS9_
	.p2align	8
	.type	_ZN9rocsparseL35gebsr2csr_block_per_row_1_32_kernelILi256ELi2ELi8EfEEv20rocsparse_direction_ii21rocsparse_index_base_PKT2_PKiS7_iiS2_PS3_PiS9_,@function
_ZN9rocsparseL35gebsr2csr_block_per_row_1_32_kernelILi256ELi2ELi8EfEEv20rocsparse_direction_ii21rocsparse_index_base_PKT2_PKiS7_iiS2_PS3_PiS9_: ; @_ZN9rocsparseL35gebsr2csr_block_per_row_1_32_kernelILi256ELi2ELi8EfEEv20rocsparse_direction_ii21rocsparse_index_base_PKT2_PKiS7_iiS2_PS3_PiS9_
; %bb.0:
	s_load_dwordx2 s[0:1], s[4:5], 0x18
	s_load_dwordx4 s[8:11], s[4:5], 0x28
	s_load_dwordx2 s[2:3], s[4:5], 0x40
	s_ashr_i32 s7, s6, 31
	s_lshl_b64 s[12:13], s[6:7], 2
	s_waitcnt lgkmcnt(0)
	s_add_u32 s12, s0, s12
	v_or_b32_e32 v1, s6, v0
	s_addc_u32 s13, s1, s13
	v_cmp_eq_u32_e32 vcc, 0, v1
	s_and_saveexec_b64 s[0:1], vcc
	s_cbranch_execz .LBB2_2
; %bb.1:
	v_mov_b32_e32 v1, 0
	v_mov_b32_e32 v2, s10
	global_store_dword v1, v2, s[2:3]
.LBB2_2:
	s_or_b64 exec, exec, s[0:1]
	v_and_b32_e32 v4, 7, v0
	v_bfe_u32 v10, v0, 3, 1
	v_cmp_gt_i32_e32 vcc, s8, v10
	v_cmp_gt_i32_e64 s[0:1], s9, v4
	s_and_b64 s[0:1], vcc, s[0:1]
	s_and_saveexec_b64 s[14:15], s[0:1]
	s_cbranch_execz .LBB2_15
; %bb.3:
	s_load_dwordx2 s[16:17], s[12:13], 0x0
	s_load_dword s20, s[4:5], 0xc
	s_mul_i32 s21, s9, s8
	v_lshrrev_b32_e32 v5, 4, v0
	v_mov_b32_e32 v6, s3
	s_waitcnt lgkmcnt(0)
	s_sub_i32 s22, s16, s20
	s_sub_i32 s17, s17, s20
	;; [unrolled: 1-line block ×3, first 2 shown]
	s_mul_i32 s1, s25, s9
	s_mul_i32 s0, s22, s21
	v_mul_lo_u32 v0, s1, v10
	v_add_u32_e32 v1, s0, v0
	s_mul_i32 s0, s6, s8
	v_add_u32_e32 v2, s0, v10
	v_ashrrev_i32_e32 v3, 31, v2
	v_lshlrev_b64 v[2:3], 2, v[2:3]
	s_add_i32 s1, s1, s10
	v_add_co_u32_e32 v2, vcc, s2, v2
	v_add_u32_e32 v0, s1, v1
	v_addc_co_u32_e32 v3, vcc, v6, v3, vcc
	global_store_dword v[2:3], v0, off offset:4
	v_add_u32_e32 v0, s22, v5
	v_cmp_gt_i32_e32 vcc, s17, v0
	s_and_b64 exec, exec, vcc
	s_cbranch_execz .LBB2_15
; %bb.4:
	s_load_dwordx2 s[18:19], s[4:5], 0x20
	s_load_dwordx2 s[6:7], s[4:5], 0x38
	s_load_dword s0, s[4:5], 0x0
	s_load_dwordx2 s[12:13], s[4:5], 0x10
	s_load_dwordx2 s[14:15], s[4:5], 0x48
	v_add_u32_e32 v3, s16, v5
	v_subrev_u32_e32 v3, s20, v3
	s_waitcnt lgkmcnt(0)
	s_cmp_eq_u32 s0, 0
	v_mad_u64_u32 v[6:7], s[0:1], v4, s8, v[10:11]
	v_mad_u64_u32 v[8:9], s[0:1], v10, s9, v[4:5]
	s_cselect_b64 vcc, -1, 0
	v_add_u32_e32 v3, 16, v3
	s_not_b32 s0, s16
	v_max_i32_e32 v3, s17, v3
	s_add_i32 s0, s0, s20
	v_add_u32_e32 v3, s0, v3
	v_sub_u32_e32 v7, v3, v5
	s_movk_i32 s0, 0x10f
	v_add_u32_e32 v2, s10, v4
	v_cmp_lt_u32_e64 s[0:1], s0, v7
	s_mov_b64 s[2:3], 0
	v_mul_lo_u32 v3, s25, v10
                                        ; implicit-def: $sgpr24
                                        ; implicit-def: $sgpr23
	s_and_saveexec_b64 s[4:5], s[0:1]
	s_xor_b64 s[10:11], exec, s[4:5]
	s_cbranch_execz .LBB2_10
; %bb.5:
	s_lshl_b32 s23, s9, 4
	s_mul_i32 s24, s22, s8
	v_mul_lo_u32 v3, s25, v10
	s_sub_i32 s4, 0, s23
	v_add3_u32 v5, v5, s24, v3
	v_mad_u64_u32 v[10:11], s[0:1], v5, s9, v[4:5]
	s_cmp_lt_i32 s23, 0
	s_cselect_b64 s[0:1], -1, 0
	s_and_b64 s[2:3], s[0:1], exec
	v_lshrrev_b32_e32 v7, 4, v7
	s_cselect_b32 s4, s4, s23
	v_mul_hi_u32 v5, s4, v7
	v_cmp_eq_u32_e64 s[2:3], 0, v5
	v_mul_lo_u32 v5, s4, v7
	v_add_u32_e32 v9, v10, v5
	v_sub_u32_e32 v5, v10, v5
	v_cmp_gt_i32_e64 s[4:5], v5, v10
	v_cndmask_b32_e64 v5, 0, 1, s[4:5]
	v_cmp_lt_i32_e64 s[4:5], v9, v10
	v_cndmask_b32_e64 v9, 0, 1, s[4:5]
	v_cndmask_b32_e64 v5, v9, v5, s[0:1]
	v_and_b32_e32 v5, 1, v5
	v_cmp_eq_u32_e64 s[0:1], 1, v5
	s_xor_b64 s[0:1], s[0:1], -1
	s_mov_b64 s[4:5], -1
	s_and_b64 s[0:1], s[0:1], s[2:3]
	s_and_saveexec_b64 s[2:3], s[0:1]
	s_cbranch_execz .LBB2_9
; %bb.6:
	v_add_u32_e32 v5, 1, v7
	v_add_u32_e32 v10, v1, v4
	v_and_b32_e32 v7, 0x1ffffffe, v5
	v_add_u32_e32 v1, 16, v0
	v_cndmask_b32_e32 v12, v6, v8, vcc
	s_mov_b32 s25, s20
	s_mov_b32 s26, s22
	s_mov_b32 s27, s9
	s_mov_b32 s28, s9
	s_mov_b32 s29, s21
	s_mov_b64 s[4:5], 0
	v_mov_b32_e32 v9, s19
	v_mov_b32_e32 v14, v10
	;; [unrolled: 1-line block ×8, first 2 shown]
	v_pk_mov_b32 v[20:21], v[0:1], v[0:1] op_sel:[0,1]
.LBB2_7:                                ; =>This Inner Loop Header: Depth=1
	v_ashrrev_i32_e32 v25, 31, v20
	v_mov_b32_e32 v24, v20
	v_mad_u64_u32 v[26:27], s[0:1], v20, s21, v[12:13]
	v_mad_u64_u32 v[28:29], s[0:1], v21, s29, v[18:19]
	v_lshlrev_b64 v[24:25], 2, v[24:25]
	v_ashrrev_i32_e32 v23, 31, v21
	v_mov_b32_e32 v22, v21
	v_add_co_u32_e64 v24, s[0:1], s18, v24
	v_lshlrev_b64 v[22:23], 2, v[22:23]
	v_addc_co_u32_e64 v25, s[0:1], v9, v25, s[0:1]
	v_ashrrev_i32_e32 v27, 31, v26
	v_add_co_u32_e64 v22, s[0:1], s18, v22
	v_addc_co_u32_e64 v23, s[0:1], v9, v23, s[0:1]
	v_lshlrev_b64 v[26:27], 2, v[26:27]
	v_ashrrev_i32_e32 v29, 31, v28
	global_load_dword v1, v[24:25], off
	global_load_dword v19, v[22:23], off
	v_add_co_u32_e64 v22, s[0:1], s12, v26
	v_lshlrev_b64 v[28:29], 2, v[28:29]
	v_addc_co_u32_e64 v23, s[0:1], v13, v27, s[0:1]
	v_add_co_u32_e64 v24, s[0:1], s12, v28
	v_addc_co_u32_e64 v25, s[0:1], v13, v29, s[0:1]
	global_load_dword v34, v[22:23], off
	global_load_dword v35, v[24:25], off
	v_subrev_u32_e32 v22, s22, v20
	v_subrev_u32_e32 v24, s26, v21
	v_mad_u64_u32 v[22:23], s[0:1], v22, s27, v[10:11]
	v_add_u32_e32 v17, -2, v17
	v_mad_u64_u32 v[24:25], s[0:1], v24, s28, v[14:15]
	v_ashrrev_i32_e32 v23, 31, v22
	v_cmp_eq_u32_e64 s[0:1], 0, v17
	v_lshlrev_b64 v[22:23], 2, v[22:23]
	v_ashrrev_i32_e32 v25, 31, v24
	s_or_b64 s[4:5], s[0:1], s[4:5]
	v_add_co_u32_e64 v26, s[0:1], s14, v22
	v_lshlrev_b64 v[24:25], 2, v[24:25]
	v_addc_co_u32_e64 v27, s[0:1], v11, v23, s[0:1]
	v_add_co_u32_e64 v28, s[0:1], s14, v24
	v_addc_co_u32_e64 v29, s[0:1], v11, v25, s[0:1]
	v_add_co_u32_e64 v22, s[0:1], s6, v22
	v_addc_co_u32_e64 v23, s[0:1], v15, v23, s[0:1]
	v_add_u32_e32 v21, 32, v21
	v_add_u32_e32 v20, 32, v20
	v_add_co_u32_e64 v24, s[0:1], s6, v24
	v_addc_co_u32_e64 v25, s[0:1], v15, v25, s[0:1]
	s_waitcnt vmcnt(3)
	v_subrev_u32_e32 v1, s20, v1
	s_waitcnt vmcnt(2)
	v_subrev_u32_e32 v19, s25, v19
	v_mad_u64_u32 v[30:31], s[0:1], v19, s28, v[16:17]
	v_mad_u64_u32 v[32:33], s[0:1], v1, s27, v[2:3]
	s_waitcnt vmcnt(1)
	global_store_dword v[22:23], v34, off
	s_waitcnt vmcnt(1)
	global_store_dword v[24:25], v35, off
	global_store_dword v[26:27], v32, off
	global_store_dword v[28:29], v30, off
	s_andn2_b64 exec, exec, s[4:5]
	s_cbranch_execnz .LBB2_7
; %bb.8:
	s_or_b64 exec, exec, s[4:5]
	v_cmp_ne_u32_e64 s[0:1], v5, v7
	v_lshl_add_u32 v0, v7, 4, v0
	s_orn2_b64 s[4:5], s[0:1], exec
.LBB2_9:
	s_or_b64 exec, exec, s[2:3]
	s_and_b64 s[2:3], s[4:5], exec
.LBB2_10:
	s_or_saveexec_b64 s[0:1], s[10:11]
	v_mov_b32_e32 v1, s24
	v_mov_b32_e32 v10, s23
	s_xor_b64 exec, exec, s[0:1]
; %bb.11:
	s_mul_i32 s4, s8, s22
	s_lshl_b32 s5, s9, 4
	v_mov_b32_e32 v1, s4
	v_mov_b32_e32 v10, s5
	s_or_b64 s[2:3], s[2:3], exec
; %bb.12:
	s_or_b64 exec, exec, s[0:1]
	s_and_b64 exec, exec, s[2:3]
	s_cbranch_execz .LBB2_15
; %bb.13:
	v_cndmask_b32_e32 v6, v6, v8, vcc
	v_mul_lo_u32 v5, v0, s9
	v_mad_u64_u32 v[6:7], s[0:1], v5, s8, v[6:7]
	v_add_u32_e32 v5, s20, v0
	v_add3_u32 v1, v5, v1, v3
	v_subrev_u32_e32 v1, s16, v1
	v_mad_u64_u32 v[4:5], s[0:1], s9, v1, v[4:5]
	v_ashrrev_i32_e32 v1, 31, v0
	v_lshlrev_b64 v[8:9], 2, v[0:1]
	v_mov_b32_e32 v1, s19
	v_add_co_u32_e32 v8, vcc, s18, v8
	s_lshl_b32 s4, s21, 4
	v_addc_co_u32_e32 v9, vcc, v1, v9, vcc
	s_mov_b64 s[2:3], 0
	v_mov_b32_e32 v1, s15
	v_mov_b32_e32 v3, s13
	;; [unrolled: 1-line block ×3, first 2 shown]
.LBB2_14:                               ; =>This Inner Loop Header: Depth=1
	v_ashrrev_i32_e32 v7, 31, v6
	global_load_dword v16, v[8:9], off
	v_lshlrev_b64 v[12:13], 2, v[6:7]
	v_add_co_u32_e32 v12, vcc, s12, v12
	v_addc_co_u32_e32 v13, vcc, v3, v13, vcc
	global_load_dword v7, v[12:13], off
	v_ashrrev_i32_e32 v5, 31, v4
	v_lshlrev_b64 v[12:13], 2, v[4:5]
	v_add_co_u32_e32 v8, vcc, 64, v8
	v_add_co_u32_e64 v14, s[0:1], s14, v12
	v_add_u32_e32 v0, 16, v0
	v_addc_co_u32_e32 v9, vcc, 0, v9, vcc
	v_addc_co_u32_e64 v15, s[0:1], v1, v13, s[0:1]
	v_cmp_le_i32_e32 vcc, s17, v0
	v_add_co_u32_e64 v12, s[0:1], s6, v12
	v_add_u32_e32 v6, s4, v6
	v_add_u32_e32 v4, v4, v10
	v_addc_co_u32_e64 v13, s[0:1], v11, v13, s[0:1]
	s_or_b64 s[2:3], vcc, s[2:3]
	s_waitcnt vmcnt(1)
	v_subrev_u32_e32 v5, s20, v16
	v_mad_u64_u32 v[16:17], s[0:1], v5, s9, v[2:3]
	global_store_dword v[14:15], v16, off
	s_waitcnt vmcnt(1)
	global_store_dword v[12:13], v7, off
	s_andn2_b64 exec, exec, s[2:3]
	s_cbranch_execnz .LBB2_14
.LBB2_15:
	s_endpgm
	.section	.rodata,"a",@progbits
	.p2align	6, 0x0
	.amdhsa_kernel _ZN9rocsparseL35gebsr2csr_block_per_row_1_32_kernelILi256ELi2ELi8EfEEv20rocsparse_direction_ii21rocsparse_index_base_PKT2_PKiS7_iiS2_PS3_PiS9_
		.amdhsa_group_segment_fixed_size 0
		.amdhsa_private_segment_fixed_size 0
		.amdhsa_kernarg_size 80
		.amdhsa_user_sgpr_count 6
		.amdhsa_user_sgpr_private_segment_buffer 1
		.amdhsa_user_sgpr_dispatch_ptr 0
		.amdhsa_user_sgpr_queue_ptr 0
		.amdhsa_user_sgpr_kernarg_segment_ptr 1
		.amdhsa_user_sgpr_dispatch_id 0
		.amdhsa_user_sgpr_flat_scratch_init 0
		.amdhsa_user_sgpr_kernarg_preload_length 0
		.amdhsa_user_sgpr_kernarg_preload_offset 0
		.amdhsa_user_sgpr_private_segment_size 0
		.amdhsa_uses_dynamic_stack 0
		.amdhsa_system_sgpr_private_segment_wavefront_offset 0
		.amdhsa_system_sgpr_workgroup_id_x 1
		.amdhsa_system_sgpr_workgroup_id_y 0
		.amdhsa_system_sgpr_workgroup_id_z 0
		.amdhsa_system_sgpr_workgroup_info 0
		.amdhsa_system_vgpr_workitem_id 0
		.amdhsa_next_free_vgpr 36
		.amdhsa_next_free_sgpr 30
		.amdhsa_accum_offset 36
		.amdhsa_reserve_vcc 1
		.amdhsa_reserve_flat_scratch 0
		.amdhsa_float_round_mode_32 0
		.amdhsa_float_round_mode_16_64 0
		.amdhsa_float_denorm_mode_32 3
		.amdhsa_float_denorm_mode_16_64 3
		.amdhsa_dx10_clamp 1
		.amdhsa_ieee_mode 1
		.amdhsa_fp16_overflow 0
		.amdhsa_tg_split 0
		.amdhsa_exception_fp_ieee_invalid_op 0
		.amdhsa_exception_fp_denorm_src 0
		.amdhsa_exception_fp_ieee_div_zero 0
		.amdhsa_exception_fp_ieee_overflow 0
		.amdhsa_exception_fp_ieee_underflow 0
		.amdhsa_exception_fp_ieee_inexact 0
		.amdhsa_exception_int_div_zero 0
	.end_amdhsa_kernel
	.section	.text._ZN9rocsparseL35gebsr2csr_block_per_row_1_32_kernelILi256ELi2ELi8EfEEv20rocsparse_direction_ii21rocsparse_index_base_PKT2_PKiS7_iiS2_PS3_PiS9_,"axG",@progbits,_ZN9rocsparseL35gebsr2csr_block_per_row_1_32_kernelILi256ELi2ELi8EfEEv20rocsparse_direction_ii21rocsparse_index_base_PKT2_PKiS7_iiS2_PS3_PiS9_,comdat
.Lfunc_end2:
	.size	_ZN9rocsparseL35gebsr2csr_block_per_row_1_32_kernelILi256ELi2ELi8EfEEv20rocsparse_direction_ii21rocsparse_index_base_PKT2_PKiS7_iiS2_PS3_PiS9_, .Lfunc_end2-_ZN9rocsparseL35gebsr2csr_block_per_row_1_32_kernelILi256ELi2ELi8EfEEv20rocsparse_direction_ii21rocsparse_index_base_PKT2_PKiS7_iiS2_PS3_PiS9_
                                        ; -- End function
	.section	.AMDGPU.csdata,"",@progbits
; Kernel info:
; codeLenInByte = 1336
; NumSgprs: 34
; NumVgprs: 36
; NumAgprs: 0
; TotalNumVgprs: 36
; ScratchSize: 0
; MemoryBound: 0
; FloatMode: 240
; IeeeMode: 1
; LDSByteSize: 0 bytes/workgroup (compile time only)
; SGPRBlocks: 4
; VGPRBlocks: 4
; NumSGPRsForWavesPerEU: 34
; NumVGPRsForWavesPerEU: 36
; AccumOffset: 36
; Occupancy: 8
; WaveLimiterHint : 0
; COMPUTE_PGM_RSRC2:SCRATCH_EN: 0
; COMPUTE_PGM_RSRC2:USER_SGPR: 6
; COMPUTE_PGM_RSRC2:TRAP_HANDLER: 0
; COMPUTE_PGM_RSRC2:TGID_X_EN: 1
; COMPUTE_PGM_RSRC2:TGID_Y_EN: 0
; COMPUTE_PGM_RSRC2:TGID_Z_EN: 0
; COMPUTE_PGM_RSRC2:TIDIG_COMP_CNT: 0
; COMPUTE_PGM_RSRC3_GFX90A:ACCUM_OFFSET: 8
; COMPUTE_PGM_RSRC3_GFX90A:TG_SPLIT: 0
	.section	.text._ZN9rocsparseL35gebsr2csr_block_per_row_1_32_kernelILi256ELi2ELi16EfEEv20rocsparse_direction_ii21rocsparse_index_base_PKT2_PKiS7_iiS2_PS3_PiS9_,"axG",@progbits,_ZN9rocsparseL35gebsr2csr_block_per_row_1_32_kernelILi256ELi2ELi16EfEEv20rocsparse_direction_ii21rocsparse_index_base_PKT2_PKiS7_iiS2_PS3_PiS9_,comdat
	.globl	_ZN9rocsparseL35gebsr2csr_block_per_row_1_32_kernelILi256ELi2ELi16EfEEv20rocsparse_direction_ii21rocsparse_index_base_PKT2_PKiS7_iiS2_PS3_PiS9_ ; -- Begin function _ZN9rocsparseL35gebsr2csr_block_per_row_1_32_kernelILi256ELi2ELi16EfEEv20rocsparse_direction_ii21rocsparse_index_base_PKT2_PKiS7_iiS2_PS3_PiS9_
	.p2align	8
	.type	_ZN9rocsparseL35gebsr2csr_block_per_row_1_32_kernelILi256ELi2ELi16EfEEv20rocsparse_direction_ii21rocsparse_index_base_PKT2_PKiS7_iiS2_PS3_PiS9_,@function
_ZN9rocsparseL35gebsr2csr_block_per_row_1_32_kernelILi256ELi2ELi16EfEEv20rocsparse_direction_ii21rocsparse_index_base_PKT2_PKiS7_iiS2_PS3_PiS9_: ; @_ZN9rocsparseL35gebsr2csr_block_per_row_1_32_kernelILi256ELi2ELi16EfEEv20rocsparse_direction_ii21rocsparse_index_base_PKT2_PKiS7_iiS2_PS3_PiS9_
; %bb.0:
	s_load_dwordx2 s[0:1], s[4:5], 0x18
	s_load_dwordx4 s[8:11], s[4:5], 0x28
	s_load_dwordx2 s[2:3], s[4:5], 0x40
	s_ashr_i32 s7, s6, 31
	s_lshl_b64 s[12:13], s[6:7], 2
	s_waitcnt lgkmcnt(0)
	s_add_u32 s12, s0, s12
	v_or_b32_e32 v1, s6, v0
	s_addc_u32 s13, s1, s13
	v_cmp_eq_u32_e32 vcc, 0, v1
	s_and_saveexec_b64 s[0:1], vcc
	s_cbranch_execz .LBB3_2
; %bb.1:
	v_mov_b32_e32 v1, 0
	v_mov_b32_e32 v2, s10
	global_store_dword v1, v2, s[2:3]
.LBB3_2:
	s_or_b64 exec, exec, s[0:1]
	v_and_b32_e32 v4, 15, v0
	v_bfe_u32 v10, v0, 4, 1
	v_cmp_gt_i32_e32 vcc, s8, v10
	v_cmp_gt_i32_e64 s[0:1], s9, v4
	s_and_b64 s[0:1], vcc, s[0:1]
	s_and_saveexec_b64 s[14:15], s[0:1]
	s_cbranch_execz .LBB3_15
; %bb.3:
	s_load_dwordx2 s[16:17], s[12:13], 0x0
	s_load_dword s20, s[4:5], 0xc
	s_mul_i32 s21, s9, s8
	v_lshrrev_b32_e32 v5, 5, v0
	v_mov_b32_e32 v6, s3
	s_waitcnt lgkmcnt(0)
	s_sub_i32 s22, s16, s20
	s_sub_i32 s17, s17, s20
	s_sub_i32 s25, s17, s22
	s_mul_i32 s1, s25, s9
	s_mul_i32 s0, s22, s21
	v_mul_lo_u32 v0, s1, v10
	v_add_u32_e32 v1, s0, v0
	s_mul_i32 s0, s6, s8
	v_add_u32_e32 v2, s0, v10
	v_ashrrev_i32_e32 v3, 31, v2
	v_lshlrev_b64 v[2:3], 2, v[2:3]
	s_add_i32 s1, s1, s10
	v_add_co_u32_e32 v2, vcc, s2, v2
	v_add_u32_e32 v0, s1, v1
	v_addc_co_u32_e32 v3, vcc, v6, v3, vcc
	global_store_dword v[2:3], v0, off offset:4
	v_add_u32_e32 v0, s22, v5
	v_cmp_gt_i32_e32 vcc, s17, v0
	s_and_b64 exec, exec, vcc
	s_cbranch_execz .LBB3_15
; %bb.4:
	s_load_dwordx2 s[18:19], s[4:5], 0x20
	s_load_dwordx2 s[6:7], s[4:5], 0x38
	s_load_dword s0, s[4:5], 0x0
	s_load_dwordx2 s[12:13], s[4:5], 0x10
	s_load_dwordx2 s[14:15], s[4:5], 0x48
	v_add_u32_e32 v3, s16, v5
	v_subrev_u32_e32 v3, s20, v3
	s_waitcnt lgkmcnt(0)
	s_cmp_eq_u32 s0, 0
	v_mad_u64_u32 v[6:7], s[0:1], v4, s8, v[10:11]
	v_mad_u64_u32 v[8:9], s[0:1], v10, s9, v[4:5]
	s_cselect_b64 vcc, -1, 0
	v_add_u32_e32 v3, 8, v3
	s_not_b32 s0, s16
	v_max_i32_e32 v3, s17, v3
	s_add_i32 s0, s0, s20
	v_add_u32_e32 v3, s0, v3
	v_sub_u32_e32 v7, v3, v5
	s_movk_i32 s0, 0x87
	v_add_u32_e32 v2, s10, v4
	v_cmp_lt_u32_e64 s[0:1], s0, v7
	s_mov_b64 s[2:3], 0
	v_mul_lo_u32 v3, s25, v10
                                        ; implicit-def: $sgpr24
                                        ; implicit-def: $sgpr23
	s_and_saveexec_b64 s[4:5], s[0:1]
	s_xor_b64 s[10:11], exec, s[4:5]
	s_cbranch_execz .LBB3_10
; %bb.5:
	s_lshl_b32 s23, s9, 3
	s_mul_i32 s24, s22, s8
	v_mul_lo_u32 v3, s25, v10
	s_sub_i32 s4, 0, s23
	v_add3_u32 v5, v5, s24, v3
	v_mad_u64_u32 v[10:11], s[0:1], v5, s9, v[4:5]
	s_cmp_lt_i32 s23, 0
	s_cselect_b64 s[0:1], -1, 0
	s_and_b64 s[2:3], s[0:1], exec
	v_lshrrev_b32_e32 v7, 3, v7
	s_cselect_b32 s4, s4, s23
	v_mul_hi_u32 v5, s4, v7
	v_cmp_eq_u32_e64 s[2:3], 0, v5
	v_mul_lo_u32 v5, s4, v7
	v_add_u32_e32 v9, v10, v5
	v_sub_u32_e32 v5, v10, v5
	v_cmp_gt_i32_e64 s[4:5], v5, v10
	v_cndmask_b32_e64 v5, 0, 1, s[4:5]
	v_cmp_lt_i32_e64 s[4:5], v9, v10
	v_cndmask_b32_e64 v9, 0, 1, s[4:5]
	v_cndmask_b32_e64 v5, v9, v5, s[0:1]
	v_and_b32_e32 v5, 1, v5
	v_cmp_eq_u32_e64 s[0:1], 1, v5
	s_xor_b64 s[0:1], s[0:1], -1
	s_mov_b64 s[4:5], -1
	s_and_b64 s[0:1], s[0:1], s[2:3]
	s_and_saveexec_b64 s[2:3], s[0:1]
	s_cbranch_execz .LBB3_9
; %bb.6:
	v_add_u32_e32 v5, 1, v7
	v_add_u32_e32 v10, v1, v4
	v_and_b32_e32 v7, 0x3ffffffe, v5
	v_add_u32_e32 v1, 8, v0
	v_cndmask_b32_e32 v12, v6, v8, vcc
	s_mov_b32 s25, s20
	s_mov_b32 s26, s22
	;; [unrolled: 1-line block ×5, first 2 shown]
	s_mov_b64 s[4:5], 0
	v_mov_b32_e32 v9, s19
	v_mov_b32_e32 v14, v10
	;; [unrolled: 1-line block ×8, first 2 shown]
	v_pk_mov_b32 v[20:21], v[0:1], v[0:1] op_sel:[0,1]
.LBB3_7:                                ; =>This Inner Loop Header: Depth=1
	v_ashrrev_i32_e32 v25, 31, v20
	v_mov_b32_e32 v24, v20
	v_mad_u64_u32 v[26:27], s[0:1], v20, s21, v[12:13]
	v_mad_u64_u32 v[28:29], s[0:1], v21, s29, v[18:19]
	v_lshlrev_b64 v[24:25], 2, v[24:25]
	v_ashrrev_i32_e32 v23, 31, v21
	v_mov_b32_e32 v22, v21
	v_add_co_u32_e64 v24, s[0:1], s18, v24
	v_lshlrev_b64 v[22:23], 2, v[22:23]
	v_addc_co_u32_e64 v25, s[0:1], v9, v25, s[0:1]
	v_ashrrev_i32_e32 v27, 31, v26
	v_add_co_u32_e64 v22, s[0:1], s18, v22
	v_addc_co_u32_e64 v23, s[0:1], v9, v23, s[0:1]
	v_lshlrev_b64 v[26:27], 2, v[26:27]
	v_ashrrev_i32_e32 v29, 31, v28
	global_load_dword v1, v[24:25], off
	global_load_dword v19, v[22:23], off
	v_add_co_u32_e64 v22, s[0:1], s12, v26
	v_lshlrev_b64 v[28:29], 2, v[28:29]
	v_addc_co_u32_e64 v23, s[0:1], v13, v27, s[0:1]
	v_add_co_u32_e64 v24, s[0:1], s12, v28
	v_addc_co_u32_e64 v25, s[0:1], v13, v29, s[0:1]
	global_load_dword v34, v[22:23], off
	global_load_dword v35, v[24:25], off
	v_subrev_u32_e32 v22, s22, v20
	v_subrev_u32_e32 v24, s26, v21
	v_mad_u64_u32 v[22:23], s[0:1], v22, s27, v[10:11]
	v_add_u32_e32 v17, -2, v17
	v_mad_u64_u32 v[24:25], s[0:1], v24, s28, v[14:15]
	v_ashrrev_i32_e32 v23, 31, v22
	v_cmp_eq_u32_e64 s[0:1], 0, v17
	v_lshlrev_b64 v[22:23], 2, v[22:23]
	v_ashrrev_i32_e32 v25, 31, v24
	s_or_b64 s[4:5], s[0:1], s[4:5]
	v_add_co_u32_e64 v26, s[0:1], s14, v22
	v_lshlrev_b64 v[24:25], 2, v[24:25]
	v_addc_co_u32_e64 v27, s[0:1], v11, v23, s[0:1]
	v_add_co_u32_e64 v28, s[0:1], s14, v24
	v_addc_co_u32_e64 v29, s[0:1], v11, v25, s[0:1]
	v_add_co_u32_e64 v22, s[0:1], s6, v22
	v_addc_co_u32_e64 v23, s[0:1], v15, v23, s[0:1]
	v_add_u32_e32 v21, 16, v21
	v_add_u32_e32 v20, 16, v20
	v_add_co_u32_e64 v24, s[0:1], s6, v24
	v_addc_co_u32_e64 v25, s[0:1], v15, v25, s[0:1]
	s_waitcnt vmcnt(3)
	v_subrev_u32_e32 v1, s20, v1
	s_waitcnt vmcnt(2)
	v_subrev_u32_e32 v19, s25, v19
	v_mad_u64_u32 v[30:31], s[0:1], v19, s28, v[16:17]
	v_mad_u64_u32 v[32:33], s[0:1], v1, s27, v[2:3]
	s_waitcnt vmcnt(1)
	global_store_dword v[22:23], v34, off
	s_waitcnt vmcnt(1)
	global_store_dword v[24:25], v35, off
	global_store_dword v[26:27], v32, off
	;; [unrolled: 1-line block ×3, first 2 shown]
	s_andn2_b64 exec, exec, s[4:5]
	s_cbranch_execnz .LBB3_7
; %bb.8:
	s_or_b64 exec, exec, s[4:5]
	v_cmp_ne_u32_e64 s[0:1], v5, v7
	v_lshl_add_u32 v0, v7, 3, v0
	s_orn2_b64 s[4:5], s[0:1], exec
.LBB3_9:
	s_or_b64 exec, exec, s[2:3]
	s_and_b64 s[2:3], s[4:5], exec
.LBB3_10:
	s_or_saveexec_b64 s[0:1], s[10:11]
	v_mov_b32_e32 v1, s24
	v_mov_b32_e32 v10, s23
	s_xor_b64 exec, exec, s[0:1]
; %bb.11:
	s_mul_i32 s4, s8, s22
	s_lshl_b32 s5, s9, 3
	v_mov_b32_e32 v1, s4
	v_mov_b32_e32 v10, s5
	s_or_b64 s[2:3], s[2:3], exec
; %bb.12:
	s_or_b64 exec, exec, s[0:1]
	s_and_b64 exec, exec, s[2:3]
	s_cbranch_execz .LBB3_15
; %bb.13:
	v_cndmask_b32_e32 v6, v6, v8, vcc
	v_mul_lo_u32 v5, v0, s9
	v_mad_u64_u32 v[6:7], s[0:1], v5, s8, v[6:7]
	v_add_u32_e32 v5, s20, v0
	v_add3_u32 v1, v5, v1, v3
	v_subrev_u32_e32 v1, s16, v1
	v_mad_u64_u32 v[4:5], s[0:1], s9, v1, v[4:5]
	v_ashrrev_i32_e32 v1, 31, v0
	v_lshlrev_b64 v[8:9], 2, v[0:1]
	v_mov_b32_e32 v1, s19
	v_add_co_u32_e32 v8, vcc, s18, v8
	s_lshl_b32 s4, s21, 3
	v_addc_co_u32_e32 v9, vcc, v1, v9, vcc
	s_mov_b64 s[2:3], 0
	v_mov_b32_e32 v1, s15
	v_mov_b32_e32 v3, s13
	;; [unrolled: 1-line block ×3, first 2 shown]
.LBB3_14:                               ; =>This Inner Loop Header: Depth=1
	v_ashrrev_i32_e32 v7, 31, v6
	global_load_dword v16, v[8:9], off
	v_lshlrev_b64 v[12:13], 2, v[6:7]
	v_add_co_u32_e32 v12, vcc, s12, v12
	v_addc_co_u32_e32 v13, vcc, v3, v13, vcc
	global_load_dword v7, v[12:13], off
	v_ashrrev_i32_e32 v5, 31, v4
	v_lshlrev_b64 v[12:13], 2, v[4:5]
	v_add_co_u32_e32 v8, vcc, 32, v8
	v_add_co_u32_e64 v14, s[0:1], s14, v12
	v_add_u32_e32 v0, 8, v0
	v_addc_co_u32_e32 v9, vcc, 0, v9, vcc
	v_addc_co_u32_e64 v15, s[0:1], v1, v13, s[0:1]
	v_cmp_le_i32_e32 vcc, s17, v0
	v_add_co_u32_e64 v12, s[0:1], s6, v12
	v_add_u32_e32 v6, s4, v6
	v_add_u32_e32 v4, v4, v10
	v_addc_co_u32_e64 v13, s[0:1], v11, v13, s[0:1]
	s_or_b64 s[2:3], vcc, s[2:3]
	s_waitcnt vmcnt(1)
	v_subrev_u32_e32 v5, s20, v16
	v_mad_u64_u32 v[16:17], s[0:1], v5, s9, v[2:3]
	global_store_dword v[14:15], v16, off
	s_waitcnt vmcnt(1)
	global_store_dword v[12:13], v7, off
	s_andn2_b64 exec, exec, s[2:3]
	s_cbranch_execnz .LBB3_14
.LBB3_15:
	s_endpgm
	.section	.rodata,"a",@progbits
	.p2align	6, 0x0
	.amdhsa_kernel _ZN9rocsparseL35gebsr2csr_block_per_row_1_32_kernelILi256ELi2ELi16EfEEv20rocsparse_direction_ii21rocsparse_index_base_PKT2_PKiS7_iiS2_PS3_PiS9_
		.amdhsa_group_segment_fixed_size 0
		.amdhsa_private_segment_fixed_size 0
		.amdhsa_kernarg_size 80
		.amdhsa_user_sgpr_count 6
		.amdhsa_user_sgpr_private_segment_buffer 1
		.amdhsa_user_sgpr_dispatch_ptr 0
		.amdhsa_user_sgpr_queue_ptr 0
		.amdhsa_user_sgpr_kernarg_segment_ptr 1
		.amdhsa_user_sgpr_dispatch_id 0
		.amdhsa_user_sgpr_flat_scratch_init 0
		.amdhsa_user_sgpr_kernarg_preload_length 0
		.amdhsa_user_sgpr_kernarg_preload_offset 0
		.amdhsa_user_sgpr_private_segment_size 0
		.amdhsa_uses_dynamic_stack 0
		.amdhsa_system_sgpr_private_segment_wavefront_offset 0
		.amdhsa_system_sgpr_workgroup_id_x 1
		.amdhsa_system_sgpr_workgroup_id_y 0
		.amdhsa_system_sgpr_workgroup_id_z 0
		.amdhsa_system_sgpr_workgroup_info 0
		.amdhsa_system_vgpr_workitem_id 0
		.amdhsa_next_free_vgpr 36
		.amdhsa_next_free_sgpr 30
		.amdhsa_accum_offset 36
		.amdhsa_reserve_vcc 1
		.amdhsa_reserve_flat_scratch 0
		.amdhsa_float_round_mode_32 0
		.amdhsa_float_round_mode_16_64 0
		.amdhsa_float_denorm_mode_32 3
		.amdhsa_float_denorm_mode_16_64 3
		.amdhsa_dx10_clamp 1
		.amdhsa_ieee_mode 1
		.amdhsa_fp16_overflow 0
		.amdhsa_tg_split 0
		.amdhsa_exception_fp_ieee_invalid_op 0
		.amdhsa_exception_fp_denorm_src 0
		.amdhsa_exception_fp_ieee_div_zero 0
		.amdhsa_exception_fp_ieee_overflow 0
		.amdhsa_exception_fp_ieee_underflow 0
		.amdhsa_exception_fp_ieee_inexact 0
		.amdhsa_exception_int_div_zero 0
	.end_amdhsa_kernel
	.section	.text._ZN9rocsparseL35gebsr2csr_block_per_row_1_32_kernelILi256ELi2ELi16EfEEv20rocsparse_direction_ii21rocsparse_index_base_PKT2_PKiS7_iiS2_PS3_PiS9_,"axG",@progbits,_ZN9rocsparseL35gebsr2csr_block_per_row_1_32_kernelILi256ELi2ELi16EfEEv20rocsparse_direction_ii21rocsparse_index_base_PKT2_PKiS7_iiS2_PS3_PiS9_,comdat
.Lfunc_end3:
	.size	_ZN9rocsparseL35gebsr2csr_block_per_row_1_32_kernelILi256ELi2ELi16EfEEv20rocsparse_direction_ii21rocsparse_index_base_PKT2_PKiS7_iiS2_PS3_PiS9_, .Lfunc_end3-_ZN9rocsparseL35gebsr2csr_block_per_row_1_32_kernelILi256ELi2ELi16EfEEv20rocsparse_direction_ii21rocsparse_index_base_PKT2_PKiS7_iiS2_PS3_PiS9_
                                        ; -- End function
	.section	.AMDGPU.csdata,"",@progbits
; Kernel info:
; codeLenInByte = 1336
; NumSgprs: 34
; NumVgprs: 36
; NumAgprs: 0
; TotalNumVgprs: 36
; ScratchSize: 0
; MemoryBound: 0
; FloatMode: 240
; IeeeMode: 1
; LDSByteSize: 0 bytes/workgroup (compile time only)
; SGPRBlocks: 4
; VGPRBlocks: 4
; NumSGPRsForWavesPerEU: 34
; NumVGPRsForWavesPerEU: 36
; AccumOffset: 36
; Occupancy: 8
; WaveLimiterHint : 0
; COMPUTE_PGM_RSRC2:SCRATCH_EN: 0
; COMPUTE_PGM_RSRC2:USER_SGPR: 6
; COMPUTE_PGM_RSRC2:TRAP_HANDLER: 0
; COMPUTE_PGM_RSRC2:TGID_X_EN: 1
; COMPUTE_PGM_RSRC2:TGID_Y_EN: 0
; COMPUTE_PGM_RSRC2:TGID_Z_EN: 0
; COMPUTE_PGM_RSRC2:TIDIG_COMP_CNT: 0
; COMPUTE_PGM_RSRC3_GFX90A:ACCUM_OFFSET: 8
; COMPUTE_PGM_RSRC3_GFX90A:TG_SPLIT: 0
	.section	.text._ZN9rocsparseL35gebsr2csr_block_per_row_1_32_kernelILi256ELi2ELi32EfEEv20rocsparse_direction_ii21rocsparse_index_base_PKT2_PKiS7_iiS2_PS3_PiS9_,"axG",@progbits,_ZN9rocsparseL35gebsr2csr_block_per_row_1_32_kernelILi256ELi2ELi32EfEEv20rocsparse_direction_ii21rocsparse_index_base_PKT2_PKiS7_iiS2_PS3_PiS9_,comdat
	.globl	_ZN9rocsparseL35gebsr2csr_block_per_row_1_32_kernelILi256ELi2ELi32EfEEv20rocsparse_direction_ii21rocsparse_index_base_PKT2_PKiS7_iiS2_PS3_PiS9_ ; -- Begin function _ZN9rocsparseL35gebsr2csr_block_per_row_1_32_kernelILi256ELi2ELi32EfEEv20rocsparse_direction_ii21rocsparse_index_base_PKT2_PKiS7_iiS2_PS3_PiS9_
	.p2align	8
	.type	_ZN9rocsparseL35gebsr2csr_block_per_row_1_32_kernelILi256ELi2ELi32EfEEv20rocsparse_direction_ii21rocsparse_index_base_PKT2_PKiS7_iiS2_PS3_PiS9_,@function
_ZN9rocsparseL35gebsr2csr_block_per_row_1_32_kernelILi256ELi2ELi32EfEEv20rocsparse_direction_ii21rocsparse_index_base_PKT2_PKiS7_iiS2_PS3_PiS9_: ; @_ZN9rocsparseL35gebsr2csr_block_per_row_1_32_kernelILi256ELi2ELi32EfEEv20rocsparse_direction_ii21rocsparse_index_base_PKT2_PKiS7_iiS2_PS3_PiS9_
; %bb.0:
	s_load_dwordx2 s[0:1], s[4:5], 0x18
	s_load_dwordx4 s[8:11], s[4:5], 0x28
	s_load_dwordx2 s[2:3], s[4:5], 0x40
	s_ashr_i32 s7, s6, 31
	s_lshl_b64 s[12:13], s[6:7], 2
	s_waitcnt lgkmcnt(0)
	s_add_u32 s12, s0, s12
	v_or_b32_e32 v1, s6, v0
	s_addc_u32 s13, s1, s13
	v_cmp_eq_u32_e32 vcc, 0, v1
	s_and_saveexec_b64 s[0:1], vcc
	s_cbranch_execz .LBB4_2
; %bb.1:
	v_mov_b32_e32 v1, 0
	v_mov_b32_e32 v2, s10
	global_store_dword v1, v2, s[2:3]
.LBB4_2:
	s_or_b64 exec, exec, s[0:1]
	v_and_b32_e32 v4, 31, v0
	v_bfe_u32 v10, v0, 5, 1
	v_cmp_gt_i32_e32 vcc, s8, v10
	v_cmp_gt_i32_e64 s[0:1], s9, v4
	s_and_b64 s[0:1], vcc, s[0:1]
	s_and_saveexec_b64 s[14:15], s[0:1]
	s_cbranch_execz .LBB4_15
; %bb.3:
	s_load_dwordx2 s[16:17], s[12:13], 0x0
	s_load_dword s20, s[4:5], 0xc
	s_mul_i32 s21, s9, s8
	v_lshrrev_b32_e32 v5, 6, v0
	v_mov_b32_e32 v6, s3
	s_waitcnt lgkmcnt(0)
	s_sub_i32 s22, s16, s20
	s_sub_i32 s17, s17, s20
	;; [unrolled: 1-line block ×3, first 2 shown]
	s_mul_i32 s1, s25, s9
	s_mul_i32 s0, s22, s21
	v_mul_lo_u32 v0, s1, v10
	v_add_u32_e32 v1, s0, v0
	s_mul_i32 s0, s6, s8
	v_add_u32_e32 v2, s0, v10
	v_ashrrev_i32_e32 v3, 31, v2
	v_lshlrev_b64 v[2:3], 2, v[2:3]
	s_add_i32 s1, s1, s10
	v_add_co_u32_e32 v2, vcc, s2, v2
	v_add_u32_e32 v0, s1, v1
	v_addc_co_u32_e32 v3, vcc, v6, v3, vcc
	global_store_dword v[2:3], v0, off offset:4
	v_add_u32_e32 v0, s22, v5
	v_cmp_gt_i32_e32 vcc, s17, v0
	s_and_b64 exec, exec, vcc
	s_cbranch_execz .LBB4_15
; %bb.4:
	s_load_dwordx2 s[18:19], s[4:5], 0x20
	s_load_dwordx2 s[6:7], s[4:5], 0x38
	s_load_dword s0, s[4:5], 0x0
	s_load_dwordx2 s[12:13], s[4:5], 0x10
	s_load_dwordx2 s[14:15], s[4:5], 0x48
	v_add_u32_e32 v3, s16, v5
	v_subrev_u32_e32 v3, s20, v3
	s_waitcnt lgkmcnt(0)
	s_cmp_eq_u32 s0, 0
	v_mad_u64_u32 v[6:7], s[0:1], v4, s8, v[10:11]
	v_mad_u64_u32 v[8:9], s[0:1], v10, s9, v[4:5]
	s_cselect_b64 vcc, -1, 0
	v_add_u32_e32 v3, 4, v3
	s_not_b32 s0, s16
	v_max_i32_e32 v3, s17, v3
	s_add_i32 s0, s0, s20
	v_add_u32_e32 v3, s0, v3
	v_sub_u32_e32 v7, v3, v5
	s_movk_i32 s0, 0x43
	v_add_u32_e32 v2, s10, v4
	v_cmp_lt_u32_e64 s[0:1], s0, v7
	s_mov_b64 s[2:3], 0
	v_mul_lo_u32 v3, s25, v10
                                        ; implicit-def: $sgpr24
                                        ; implicit-def: $sgpr23
	s_and_saveexec_b64 s[4:5], s[0:1]
	s_xor_b64 s[10:11], exec, s[4:5]
	s_cbranch_execz .LBB4_10
; %bb.5:
	s_lshl_b32 s23, s9, 2
	s_mul_i32 s24, s22, s8
	v_mul_lo_u32 v3, s25, v10
	s_sub_i32 s4, 0, s23
	v_add3_u32 v5, v5, s24, v3
	v_mad_u64_u32 v[10:11], s[0:1], v5, s9, v[4:5]
	s_cmp_lt_i32 s23, 0
	s_cselect_b64 s[0:1], -1, 0
	s_and_b64 s[2:3], s[0:1], exec
	v_lshrrev_b32_e32 v7, 2, v7
	s_cselect_b32 s4, s4, s23
	v_mul_hi_u32 v5, s4, v7
	v_cmp_eq_u32_e64 s[2:3], 0, v5
	v_mul_lo_u32 v5, s4, v7
	v_add_u32_e32 v9, v10, v5
	v_sub_u32_e32 v5, v10, v5
	v_cmp_gt_i32_e64 s[4:5], v5, v10
	v_cndmask_b32_e64 v5, 0, 1, s[4:5]
	v_cmp_lt_i32_e64 s[4:5], v9, v10
	v_cndmask_b32_e64 v9, 0, 1, s[4:5]
	v_cndmask_b32_e64 v5, v9, v5, s[0:1]
	v_and_b32_e32 v5, 1, v5
	v_cmp_eq_u32_e64 s[0:1], 1, v5
	s_xor_b64 s[0:1], s[0:1], -1
	s_mov_b64 s[4:5], -1
	s_and_b64 s[0:1], s[0:1], s[2:3]
	s_and_saveexec_b64 s[2:3], s[0:1]
	s_cbranch_execz .LBB4_9
; %bb.6:
	v_add_u32_e32 v5, 1, v7
	v_add_u32_e32 v10, v1, v4
	v_and_b32_e32 v7, 0x7ffffffe, v5
	v_add_u32_e32 v1, 4, v0
	v_cndmask_b32_e32 v12, v6, v8, vcc
	s_mov_b32 s25, s20
	s_mov_b32 s26, s22
	;; [unrolled: 1-line block ×5, first 2 shown]
	s_mov_b64 s[4:5], 0
	v_mov_b32_e32 v9, s19
	v_mov_b32_e32 v14, v10
	;; [unrolled: 1-line block ×8, first 2 shown]
	v_pk_mov_b32 v[20:21], v[0:1], v[0:1] op_sel:[0,1]
.LBB4_7:                                ; =>This Inner Loop Header: Depth=1
	v_ashrrev_i32_e32 v25, 31, v20
	v_mov_b32_e32 v24, v20
	v_mad_u64_u32 v[26:27], s[0:1], v20, s21, v[12:13]
	v_mad_u64_u32 v[28:29], s[0:1], v21, s29, v[18:19]
	v_lshlrev_b64 v[24:25], 2, v[24:25]
	v_ashrrev_i32_e32 v23, 31, v21
	v_mov_b32_e32 v22, v21
	v_add_co_u32_e64 v24, s[0:1], s18, v24
	v_lshlrev_b64 v[22:23], 2, v[22:23]
	v_addc_co_u32_e64 v25, s[0:1], v9, v25, s[0:1]
	v_ashrrev_i32_e32 v27, 31, v26
	v_add_co_u32_e64 v22, s[0:1], s18, v22
	v_addc_co_u32_e64 v23, s[0:1], v9, v23, s[0:1]
	v_lshlrev_b64 v[26:27], 2, v[26:27]
	v_ashrrev_i32_e32 v29, 31, v28
	global_load_dword v1, v[24:25], off
	global_load_dword v19, v[22:23], off
	v_add_co_u32_e64 v22, s[0:1], s12, v26
	v_lshlrev_b64 v[28:29], 2, v[28:29]
	v_addc_co_u32_e64 v23, s[0:1], v13, v27, s[0:1]
	v_add_co_u32_e64 v24, s[0:1], s12, v28
	v_addc_co_u32_e64 v25, s[0:1], v13, v29, s[0:1]
	global_load_dword v34, v[22:23], off
	global_load_dword v35, v[24:25], off
	v_subrev_u32_e32 v22, s22, v20
	v_subrev_u32_e32 v24, s26, v21
	v_mad_u64_u32 v[22:23], s[0:1], v22, s27, v[10:11]
	v_add_u32_e32 v17, -2, v17
	v_mad_u64_u32 v[24:25], s[0:1], v24, s28, v[14:15]
	v_ashrrev_i32_e32 v23, 31, v22
	v_cmp_eq_u32_e64 s[0:1], 0, v17
	v_lshlrev_b64 v[22:23], 2, v[22:23]
	v_ashrrev_i32_e32 v25, 31, v24
	s_or_b64 s[4:5], s[0:1], s[4:5]
	v_add_co_u32_e64 v26, s[0:1], s14, v22
	v_lshlrev_b64 v[24:25], 2, v[24:25]
	v_addc_co_u32_e64 v27, s[0:1], v11, v23, s[0:1]
	v_add_co_u32_e64 v28, s[0:1], s14, v24
	v_addc_co_u32_e64 v29, s[0:1], v11, v25, s[0:1]
	v_add_co_u32_e64 v22, s[0:1], s6, v22
	v_addc_co_u32_e64 v23, s[0:1], v15, v23, s[0:1]
	v_add_u32_e32 v21, 8, v21
	v_add_u32_e32 v20, 8, v20
	v_add_co_u32_e64 v24, s[0:1], s6, v24
	v_addc_co_u32_e64 v25, s[0:1], v15, v25, s[0:1]
	s_waitcnt vmcnt(3)
	v_subrev_u32_e32 v1, s20, v1
	s_waitcnt vmcnt(2)
	v_subrev_u32_e32 v19, s25, v19
	v_mad_u64_u32 v[30:31], s[0:1], v19, s28, v[16:17]
	v_mad_u64_u32 v[32:33], s[0:1], v1, s27, v[2:3]
	s_waitcnt vmcnt(1)
	global_store_dword v[22:23], v34, off
	s_waitcnt vmcnt(1)
	global_store_dword v[24:25], v35, off
	global_store_dword v[26:27], v32, off
	;; [unrolled: 1-line block ×3, first 2 shown]
	s_andn2_b64 exec, exec, s[4:5]
	s_cbranch_execnz .LBB4_7
; %bb.8:
	s_or_b64 exec, exec, s[4:5]
	v_cmp_ne_u32_e64 s[0:1], v5, v7
	v_lshl_add_u32 v0, v7, 2, v0
	s_orn2_b64 s[4:5], s[0:1], exec
.LBB4_9:
	s_or_b64 exec, exec, s[2:3]
	s_and_b64 s[2:3], s[4:5], exec
.LBB4_10:
	s_or_saveexec_b64 s[0:1], s[10:11]
	v_mov_b32_e32 v1, s24
	v_mov_b32_e32 v10, s23
	s_xor_b64 exec, exec, s[0:1]
; %bb.11:
	s_mul_i32 s4, s8, s22
	s_lshl_b32 s5, s9, 2
	v_mov_b32_e32 v1, s4
	v_mov_b32_e32 v10, s5
	s_or_b64 s[2:3], s[2:3], exec
; %bb.12:
	s_or_b64 exec, exec, s[0:1]
	s_and_b64 exec, exec, s[2:3]
	s_cbranch_execz .LBB4_15
; %bb.13:
	v_cndmask_b32_e32 v6, v6, v8, vcc
	v_mul_lo_u32 v5, v0, s9
	v_mad_u64_u32 v[6:7], s[0:1], v5, s8, v[6:7]
	v_add_u32_e32 v5, s20, v0
	v_add3_u32 v1, v5, v1, v3
	v_subrev_u32_e32 v1, s16, v1
	v_mad_u64_u32 v[4:5], s[0:1], s9, v1, v[4:5]
	v_ashrrev_i32_e32 v1, 31, v0
	v_lshlrev_b64 v[8:9], 2, v[0:1]
	v_mov_b32_e32 v1, s19
	v_add_co_u32_e32 v8, vcc, s18, v8
	s_lshl_b32 s4, s21, 2
	v_addc_co_u32_e32 v9, vcc, v1, v9, vcc
	s_mov_b64 s[2:3], 0
	v_mov_b32_e32 v1, s15
	v_mov_b32_e32 v3, s13
	;; [unrolled: 1-line block ×3, first 2 shown]
.LBB4_14:                               ; =>This Inner Loop Header: Depth=1
	v_ashrrev_i32_e32 v7, 31, v6
	global_load_dword v16, v[8:9], off
	v_lshlrev_b64 v[12:13], 2, v[6:7]
	v_add_co_u32_e32 v12, vcc, s12, v12
	v_addc_co_u32_e32 v13, vcc, v3, v13, vcc
	global_load_dword v7, v[12:13], off
	v_ashrrev_i32_e32 v5, 31, v4
	v_lshlrev_b64 v[12:13], 2, v[4:5]
	v_add_co_u32_e32 v8, vcc, 16, v8
	v_add_co_u32_e64 v14, s[0:1], s14, v12
	v_add_u32_e32 v0, 4, v0
	v_addc_co_u32_e32 v9, vcc, 0, v9, vcc
	v_addc_co_u32_e64 v15, s[0:1], v1, v13, s[0:1]
	v_cmp_le_i32_e32 vcc, s17, v0
	v_add_co_u32_e64 v12, s[0:1], s6, v12
	v_add_u32_e32 v6, s4, v6
	v_add_u32_e32 v4, v4, v10
	v_addc_co_u32_e64 v13, s[0:1], v11, v13, s[0:1]
	s_or_b64 s[2:3], vcc, s[2:3]
	s_waitcnt vmcnt(1)
	v_subrev_u32_e32 v5, s20, v16
	v_mad_u64_u32 v[16:17], s[0:1], v5, s9, v[2:3]
	global_store_dword v[14:15], v16, off
	s_waitcnt vmcnt(1)
	global_store_dword v[12:13], v7, off
	s_andn2_b64 exec, exec, s[2:3]
	s_cbranch_execnz .LBB4_14
.LBB4_15:
	s_endpgm
	.section	.rodata,"a",@progbits
	.p2align	6, 0x0
	.amdhsa_kernel _ZN9rocsparseL35gebsr2csr_block_per_row_1_32_kernelILi256ELi2ELi32EfEEv20rocsparse_direction_ii21rocsparse_index_base_PKT2_PKiS7_iiS2_PS3_PiS9_
		.amdhsa_group_segment_fixed_size 0
		.amdhsa_private_segment_fixed_size 0
		.amdhsa_kernarg_size 80
		.amdhsa_user_sgpr_count 6
		.amdhsa_user_sgpr_private_segment_buffer 1
		.amdhsa_user_sgpr_dispatch_ptr 0
		.amdhsa_user_sgpr_queue_ptr 0
		.amdhsa_user_sgpr_kernarg_segment_ptr 1
		.amdhsa_user_sgpr_dispatch_id 0
		.amdhsa_user_sgpr_flat_scratch_init 0
		.amdhsa_user_sgpr_kernarg_preload_length 0
		.amdhsa_user_sgpr_kernarg_preload_offset 0
		.amdhsa_user_sgpr_private_segment_size 0
		.amdhsa_uses_dynamic_stack 0
		.amdhsa_system_sgpr_private_segment_wavefront_offset 0
		.amdhsa_system_sgpr_workgroup_id_x 1
		.amdhsa_system_sgpr_workgroup_id_y 0
		.amdhsa_system_sgpr_workgroup_id_z 0
		.amdhsa_system_sgpr_workgroup_info 0
		.amdhsa_system_vgpr_workitem_id 0
		.amdhsa_next_free_vgpr 36
		.amdhsa_next_free_sgpr 30
		.amdhsa_accum_offset 36
		.amdhsa_reserve_vcc 1
		.amdhsa_reserve_flat_scratch 0
		.amdhsa_float_round_mode_32 0
		.amdhsa_float_round_mode_16_64 0
		.amdhsa_float_denorm_mode_32 3
		.amdhsa_float_denorm_mode_16_64 3
		.amdhsa_dx10_clamp 1
		.amdhsa_ieee_mode 1
		.amdhsa_fp16_overflow 0
		.amdhsa_tg_split 0
		.amdhsa_exception_fp_ieee_invalid_op 0
		.amdhsa_exception_fp_denorm_src 0
		.amdhsa_exception_fp_ieee_div_zero 0
		.amdhsa_exception_fp_ieee_overflow 0
		.amdhsa_exception_fp_ieee_underflow 0
		.amdhsa_exception_fp_ieee_inexact 0
		.amdhsa_exception_int_div_zero 0
	.end_amdhsa_kernel
	.section	.text._ZN9rocsparseL35gebsr2csr_block_per_row_1_32_kernelILi256ELi2ELi32EfEEv20rocsparse_direction_ii21rocsparse_index_base_PKT2_PKiS7_iiS2_PS3_PiS9_,"axG",@progbits,_ZN9rocsparseL35gebsr2csr_block_per_row_1_32_kernelILi256ELi2ELi32EfEEv20rocsparse_direction_ii21rocsparse_index_base_PKT2_PKiS7_iiS2_PS3_PiS9_,comdat
.Lfunc_end4:
	.size	_ZN9rocsparseL35gebsr2csr_block_per_row_1_32_kernelILi256ELi2ELi32EfEEv20rocsparse_direction_ii21rocsparse_index_base_PKT2_PKiS7_iiS2_PS3_PiS9_, .Lfunc_end4-_ZN9rocsparseL35gebsr2csr_block_per_row_1_32_kernelILi256ELi2ELi32EfEEv20rocsparse_direction_ii21rocsparse_index_base_PKT2_PKiS7_iiS2_PS3_PiS9_
                                        ; -- End function
	.section	.AMDGPU.csdata,"",@progbits
; Kernel info:
; codeLenInByte = 1336
; NumSgprs: 34
; NumVgprs: 36
; NumAgprs: 0
; TotalNumVgprs: 36
; ScratchSize: 0
; MemoryBound: 0
; FloatMode: 240
; IeeeMode: 1
; LDSByteSize: 0 bytes/workgroup (compile time only)
; SGPRBlocks: 4
; VGPRBlocks: 4
; NumSGPRsForWavesPerEU: 34
; NumVGPRsForWavesPerEU: 36
; AccumOffset: 36
; Occupancy: 8
; WaveLimiterHint : 0
; COMPUTE_PGM_RSRC2:SCRATCH_EN: 0
; COMPUTE_PGM_RSRC2:USER_SGPR: 6
; COMPUTE_PGM_RSRC2:TRAP_HANDLER: 0
; COMPUTE_PGM_RSRC2:TGID_X_EN: 1
; COMPUTE_PGM_RSRC2:TGID_Y_EN: 0
; COMPUTE_PGM_RSRC2:TGID_Z_EN: 0
; COMPUTE_PGM_RSRC2:TIDIG_COMP_CNT: 0
; COMPUTE_PGM_RSRC3_GFX90A:ACCUM_OFFSET: 8
; COMPUTE_PGM_RSRC3_GFX90A:TG_SPLIT: 0
	.section	.text._ZN9rocsparseL37gebsr2csr_block_per_row_33_128_kernelILi256ELi2ELi64ELi2ELi32EfEEv20rocsparse_direction_ii21rocsparse_index_base_PKT4_PKiS7_iiS2_PS3_PiS9_,"axG",@progbits,_ZN9rocsparseL37gebsr2csr_block_per_row_33_128_kernelILi256ELi2ELi64ELi2ELi32EfEEv20rocsparse_direction_ii21rocsparse_index_base_PKT4_PKiS7_iiS2_PS3_PiS9_,comdat
	.globl	_ZN9rocsparseL37gebsr2csr_block_per_row_33_128_kernelILi256ELi2ELi64ELi2ELi32EfEEv20rocsparse_direction_ii21rocsparse_index_base_PKT4_PKiS7_iiS2_PS3_PiS9_ ; -- Begin function _ZN9rocsparseL37gebsr2csr_block_per_row_33_128_kernelILi256ELi2ELi64ELi2ELi32EfEEv20rocsparse_direction_ii21rocsparse_index_base_PKT4_PKiS7_iiS2_PS3_PiS9_
	.p2align	8
	.type	_ZN9rocsparseL37gebsr2csr_block_per_row_33_128_kernelILi256ELi2ELi64ELi2ELi32EfEEv20rocsparse_direction_ii21rocsparse_index_base_PKT4_PKiS7_iiS2_PS3_PiS9_,@function
_ZN9rocsparseL37gebsr2csr_block_per_row_33_128_kernelILi256ELi2ELi64ELi2ELi32EfEEv20rocsparse_direction_ii21rocsparse_index_base_PKT4_PKiS7_iiS2_PS3_PiS9_: ; @_ZN9rocsparseL37gebsr2csr_block_per_row_33_128_kernelILi256ELi2ELi64ELi2ELi32EfEEv20rocsparse_direction_ii21rocsparse_index_base_PKT4_PKiS7_iiS2_PS3_PiS9_
; %bb.0:
	s_load_dwordx2 s[0:1], s[4:5], 0x18
	s_load_dwordx4 s[8:11], s[4:5], 0x28
	s_load_dwordx2 s[2:3], s[4:5], 0x40
	s_ashr_i32 s7, s6, 31
	s_lshl_b64 s[12:13], s[6:7], 2
	s_waitcnt lgkmcnt(0)
	s_add_u32 s0, s0, s12
	s_addc_u32 s1, s1, s13
	s_load_dwordx2 s[14:15], s[0:1], 0x0
	v_or_b32_e32 v1, s6, v0
	v_cmp_eq_u32_e32 vcc, 0, v1
	s_and_saveexec_b64 s[0:1], vcc
	s_cbranch_execz .LBB5_2
; %bb.1:
	v_mov_b32_e32 v1, 0
	v_mov_b32_e32 v2, s10
	global_store_dword v1, v2, s[2:3]
.LBB5_2:
	s_or_b64 exec, exec, s[0:1]
	s_load_dword s11, s[4:5], 0xc
	v_lshrrev_b32_e32 v4, 5, v0
	v_cmp_gt_i32_e64 s[0:1], s8, v4
	s_mul_i32 s23, s9, s8
	s_waitcnt lgkmcnt(0)
	s_sub_i32 s12, s14, s11
	s_sub_i32 s22, s15, s11
	s_and_saveexec_b64 s[16:17], s[0:1]
	s_cbranch_execz .LBB5_4
; %bb.3:
	s_mul_i32 s6, s6, s8
	v_add_u32_e32 v2, s6, v4
	s_mul_i32 s7, s23, s12
	s_sub_i32 s13, s22, s12
	v_ashrrev_i32_e32 v3, 31, v2
	s_mul_i32 s13, s13, s9
	s_add_i32 s7, s7, s10
	v_lshlrev_b64 v[2:3], 2, v[2:3]
	v_mul_lo_u32 v1, s13, v4
	s_add_i32 s7, s7, s13
	v_mov_b32_e32 v5, s3
	v_add_co_u32_e32 v2, vcc, s2, v2
	v_add_u32_e32 v1, s7, v1
	v_addc_co_u32_e32 v3, vcc, v5, v3, vcc
	global_store_dword v[2:3], v1, off offset:4
.LBB5_4:
	s_or_b64 exec, exec, s[16:17]
	s_cmp_ge_i32 s14, s15
	s_cbranch_scc1 .LBB5_11
; %bb.5:
	s_load_dwordx2 s[18:19], s[4:5], 0x20
	s_load_dwordx2 s[6:7], s[4:5], 0x38
	;; [unrolled: 1-line block ×4, first 2 shown]
	s_load_dword s2, s[4:5], 0x0
	s_mul_i32 s13, s8, s12
	v_and_b32_e32 v0, 31, v0
	v_add_u32_e32 v1, s13, v4
	v_mad_u64_u32 v[2:3], s[4:5], s9, v1, v[0:1]
	s_mul_i32 s4, s9, s12
	s_sub_i32 s3, s22, s12
	v_add_u32_e32 v3, s4, v0
	v_mul_lo_u32 v6, s3, v4
	s_waitcnt lgkmcnt(0)
	s_cmp_eq_u32 s2, 0
	v_cmp_gt_i32_e64 s[2:3], s9, v0
	v_mad_u64_u32 v[8:9], s[4:5], s8, v3, v[4:5]
	v_or_b32_e32 v1, 32, v0
	s_cselect_b64 vcc, -1, 0
	s_and_b64 s[4:5], s[0:1], s[2:3]
	v_cmp_gt_i32_e64 s[2:3], s9, v1
	v_add_u32_e32 v3, 32, v3
	s_and_b64 s[2:3], s[0:1], s[2:3]
	v_mad_u64_u32 v[4:5], s[0:1], s8, v3, v[4:5]
	v_add_u32_e32 v3, s13, v6
	v_mad_u64_u32 v[6:7], s[0:1], s9, v3, v[0:1]
	s_ashr_i32 s13, s12, 31
	s_lshl_b64 s[0:1], s[12:13], 2
	s_add_u32 s18, s18, s0
	s_mov_b32 s24, 0
	s_addc_u32 s19, s19, s1
	v_cndmask_b32_e32 v3, v8, v2, vcc
	s_branch .LBB5_7
.LBB5_6:                                ;   in Loop: Header=BB5_7 Depth=1
	s_or_b64 exec, exec, s[20:21]
	s_add_i32 s12, s12, 1
	s_add_i32 s24, s24, s23
	s_add_u32 s18, s18, 4
	s_addc_u32 s19, s19, 0
	s_cmp_ge_i32 s12, s22
	v_add_u32_e32 v6, s9, v6
	s_cbranch_scc1 .LBB5_11
.LBB5_7:                                ; =>This Inner Loop Header: Depth=1
	s_load_dword s0, s[18:19], 0x0
	s_waitcnt lgkmcnt(0)
	s_sub_i32 s0, s0, s11
	s_mul_i32 s8, s0, s9
	s_add_i32 s8, s8, s10
	s_and_saveexec_b64 s[20:21], s[4:5]
	s_cbranch_execz .LBB5_9
; %bb.8:                                ;   in Loop: Header=BB5_7 Depth=1
	v_add_u32_e32 v8, s24, v3
	v_ashrrev_i32_e32 v9, 31, v8
	v_lshlrev_b64 v[8:9], 2, v[8:9]
	v_mov_b32_e32 v5, s17
	v_add_co_u32_e64 v8, s[0:1], s16, v8
	v_addc_co_u32_e64 v9, s[0:1], v5, v9, s[0:1]
	global_load_dword v5, v[8:9], off
	v_ashrrev_i32_e32 v7, 31, v6
	v_lshlrev_b64 v[8:9], 2, v[6:7]
	v_mov_b32_e32 v7, s15
	v_add_co_u32_e64 v10, s[0:1], s14, v8
	v_addc_co_u32_e64 v11, s[0:1], v7, v9, s[0:1]
	v_mov_b32_e32 v7, s7
	v_add_co_u32_e64 v8, s[0:1], s6, v8
	v_add_u32_e32 v12, s8, v0
	v_addc_co_u32_e64 v9, s[0:1], v7, v9, s[0:1]
	global_store_dword v[10:11], v12, off
	s_waitcnt vmcnt(1)
	global_store_dword v[8:9], v5, off
.LBB5_9:                                ;   in Loop: Header=BB5_7 Depth=1
	s_or_b64 exec, exec, s[20:21]
	s_and_saveexec_b64 s[20:21], s[2:3]
	s_cbranch_execz .LBB5_6
; %bb.10:                               ;   in Loop: Header=BB5_7 Depth=1
	v_add3_u32 v5, v2, s24, 32
	v_add_u32_e32 v7, s24, v4
	v_cndmask_b32_e32 v8, v7, v5, vcc
	v_ashrrev_i32_e32 v9, 31, v8
	v_lshlrev_b64 v[8:9], 2, v[8:9]
	v_mov_b32_e32 v5, s17
	v_add_co_u32_e64 v8, s[0:1], s16, v8
	v_addc_co_u32_e64 v9, s[0:1], v5, v9, s[0:1]
	global_load_dword v5, v[8:9], off
	v_add_u32_e32 v8, 32, v6
	v_ashrrev_i32_e32 v9, 31, v8
	v_lshlrev_b64 v[8:9], 2, v[8:9]
	v_mov_b32_e32 v11, s15
	v_add_co_u32_e64 v10, s[0:1], s14, v8
	v_add_u32_e32 v7, s8, v1
	v_addc_co_u32_e64 v11, s[0:1], v11, v9, s[0:1]
	global_store_dword v[10:11], v7, off
	v_mov_b32_e32 v7, s7
	v_add_co_u32_e64 v8, s[0:1], s6, v8
	v_addc_co_u32_e64 v9, s[0:1], v7, v9, s[0:1]
	s_waitcnt vmcnt(1)
	global_store_dword v[8:9], v5, off
	s_branch .LBB5_6
.LBB5_11:
	s_endpgm
	.section	.rodata,"a",@progbits
	.p2align	6, 0x0
	.amdhsa_kernel _ZN9rocsparseL37gebsr2csr_block_per_row_33_128_kernelILi256ELi2ELi64ELi2ELi32EfEEv20rocsparse_direction_ii21rocsparse_index_base_PKT4_PKiS7_iiS2_PS3_PiS9_
		.amdhsa_group_segment_fixed_size 0
		.amdhsa_private_segment_fixed_size 0
		.amdhsa_kernarg_size 80
		.amdhsa_user_sgpr_count 6
		.amdhsa_user_sgpr_private_segment_buffer 1
		.amdhsa_user_sgpr_dispatch_ptr 0
		.amdhsa_user_sgpr_queue_ptr 0
		.amdhsa_user_sgpr_kernarg_segment_ptr 1
		.amdhsa_user_sgpr_dispatch_id 0
		.amdhsa_user_sgpr_flat_scratch_init 0
		.amdhsa_user_sgpr_kernarg_preload_length 0
		.amdhsa_user_sgpr_kernarg_preload_offset 0
		.amdhsa_user_sgpr_private_segment_size 0
		.amdhsa_uses_dynamic_stack 0
		.amdhsa_system_sgpr_private_segment_wavefront_offset 0
		.amdhsa_system_sgpr_workgroup_id_x 1
		.amdhsa_system_sgpr_workgroup_id_y 0
		.amdhsa_system_sgpr_workgroup_id_z 0
		.amdhsa_system_sgpr_workgroup_info 0
		.amdhsa_system_vgpr_workitem_id 0
		.amdhsa_next_free_vgpr 13
		.amdhsa_next_free_sgpr 25
		.amdhsa_accum_offset 16
		.amdhsa_reserve_vcc 1
		.amdhsa_reserve_flat_scratch 0
		.amdhsa_float_round_mode_32 0
		.amdhsa_float_round_mode_16_64 0
		.amdhsa_float_denorm_mode_32 3
		.amdhsa_float_denorm_mode_16_64 3
		.amdhsa_dx10_clamp 1
		.amdhsa_ieee_mode 1
		.amdhsa_fp16_overflow 0
		.amdhsa_tg_split 0
		.amdhsa_exception_fp_ieee_invalid_op 0
		.amdhsa_exception_fp_denorm_src 0
		.amdhsa_exception_fp_ieee_div_zero 0
		.amdhsa_exception_fp_ieee_overflow 0
		.amdhsa_exception_fp_ieee_underflow 0
		.amdhsa_exception_fp_ieee_inexact 0
		.amdhsa_exception_int_div_zero 0
	.end_amdhsa_kernel
	.section	.text._ZN9rocsparseL37gebsr2csr_block_per_row_33_128_kernelILi256ELi2ELi64ELi2ELi32EfEEv20rocsparse_direction_ii21rocsparse_index_base_PKT4_PKiS7_iiS2_PS3_PiS9_,"axG",@progbits,_ZN9rocsparseL37gebsr2csr_block_per_row_33_128_kernelILi256ELi2ELi64ELi2ELi32EfEEv20rocsparse_direction_ii21rocsparse_index_base_PKT4_PKiS7_iiS2_PS3_PiS9_,comdat
.Lfunc_end5:
	.size	_ZN9rocsparseL37gebsr2csr_block_per_row_33_128_kernelILi256ELi2ELi64ELi2ELi32EfEEv20rocsparse_direction_ii21rocsparse_index_base_PKT4_PKiS7_iiS2_PS3_PiS9_, .Lfunc_end5-_ZN9rocsparseL37gebsr2csr_block_per_row_33_128_kernelILi256ELi2ELi64ELi2ELi32EfEEv20rocsparse_direction_ii21rocsparse_index_base_PKT4_PKiS7_iiS2_PS3_PiS9_
                                        ; -- End function
	.section	.AMDGPU.csdata,"",@progbits
; Kernel info:
; codeLenInByte = 736
; NumSgprs: 29
; NumVgprs: 13
; NumAgprs: 0
; TotalNumVgprs: 13
; ScratchSize: 0
; MemoryBound: 0
; FloatMode: 240
; IeeeMode: 1
; LDSByteSize: 0 bytes/workgroup (compile time only)
; SGPRBlocks: 3
; VGPRBlocks: 1
; NumSGPRsForWavesPerEU: 29
; NumVGPRsForWavesPerEU: 13
; AccumOffset: 16
; Occupancy: 8
; WaveLimiterHint : 1
; COMPUTE_PGM_RSRC2:SCRATCH_EN: 0
; COMPUTE_PGM_RSRC2:USER_SGPR: 6
; COMPUTE_PGM_RSRC2:TRAP_HANDLER: 0
; COMPUTE_PGM_RSRC2:TGID_X_EN: 1
; COMPUTE_PGM_RSRC2:TGID_Y_EN: 0
; COMPUTE_PGM_RSRC2:TGID_Z_EN: 0
; COMPUTE_PGM_RSRC2:TIDIG_COMP_CNT: 0
; COMPUTE_PGM_RSRC3_GFX90A:ACCUM_OFFSET: 3
; COMPUTE_PGM_RSRC3_GFX90A:TG_SPLIT: 0
	.section	.text._ZN9rocsparseL37gebsr2csr_block_per_row_33_128_kernelILi256ELi2ELi128ELi2ELi32EfEEv20rocsparse_direction_ii21rocsparse_index_base_PKT4_PKiS7_iiS2_PS3_PiS9_,"axG",@progbits,_ZN9rocsparseL37gebsr2csr_block_per_row_33_128_kernelILi256ELi2ELi128ELi2ELi32EfEEv20rocsparse_direction_ii21rocsparse_index_base_PKT4_PKiS7_iiS2_PS3_PiS9_,comdat
	.globl	_ZN9rocsparseL37gebsr2csr_block_per_row_33_128_kernelILi256ELi2ELi128ELi2ELi32EfEEv20rocsparse_direction_ii21rocsparse_index_base_PKT4_PKiS7_iiS2_PS3_PiS9_ ; -- Begin function _ZN9rocsparseL37gebsr2csr_block_per_row_33_128_kernelILi256ELi2ELi128ELi2ELi32EfEEv20rocsparse_direction_ii21rocsparse_index_base_PKT4_PKiS7_iiS2_PS3_PiS9_
	.p2align	8
	.type	_ZN9rocsparseL37gebsr2csr_block_per_row_33_128_kernelILi256ELi2ELi128ELi2ELi32EfEEv20rocsparse_direction_ii21rocsparse_index_base_PKT4_PKiS7_iiS2_PS3_PiS9_,@function
_ZN9rocsparseL37gebsr2csr_block_per_row_33_128_kernelILi256ELi2ELi128ELi2ELi32EfEEv20rocsparse_direction_ii21rocsparse_index_base_PKT4_PKiS7_iiS2_PS3_PiS9_: ; @_ZN9rocsparseL37gebsr2csr_block_per_row_33_128_kernelILi256ELi2ELi128ELi2ELi32EfEEv20rocsparse_direction_ii21rocsparse_index_base_PKT4_PKiS7_iiS2_PS3_PiS9_
; %bb.0:
	s_load_dwordx2 s[0:1], s[4:5], 0x18
	s_load_dwordx4 s[8:11], s[4:5], 0x28
	s_load_dwordx2 s[2:3], s[4:5], 0x40
	s_ashr_i32 s7, s6, 31
	s_lshl_b64 s[12:13], s[6:7], 2
	s_waitcnt lgkmcnt(0)
	s_add_u32 s0, s0, s12
	s_addc_u32 s1, s1, s13
	s_load_dwordx2 s[14:15], s[0:1], 0x0
	v_or_b32_e32 v1, s6, v0
	v_cmp_eq_u32_e32 vcc, 0, v1
	s_and_saveexec_b64 s[0:1], vcc
	s_cbranch_execz .LBB6_2
; %bb.1:
	v_mov_b32_e32 v1, 0
	v_mov_b32_e32 v2, s10
	global_store_dword v1, v2, s[2:3]
.LBB6_2:
	s_or_b64 exec, exec, s[0:1]
	s_load_dword s11, s[4:5], 0xc
	v_lshrrev_b32_e32 v1, 5, v0
	v_cmp_gt_i32_e64 s[0:1], s8, v1
	s_mul_i32 s27, s9, s8
	s_waitcnt lgkmcnt(0)
	s_sub_i32 s12, s14, s11
	s_sub_i32 s26, s15, s11
	s_and_saveexec_b64 s[16:17], s[0:1]
	s_cbranch_execz .LBB6_4
; %bb.3:
	s_mul_i32 s7, s27, s12
	s_sub_i32 s13, s26, s12
	s_mul_i32 s13, s13, s9
	s_add_i32 s7, s7, s10
	v_mul_lo_u32 v2, s13, v1
	s_add_i32 s7, s7, s13
	s_mul_i32 s6, s6, s8
	v_add_u32_e32 v4, s7, v2
	v_add_u32_e32 v2, s6, v1
	v_ashrrev_i32_e32 v3, 31, v2
	v_lshlrev_b64 v[2:3], 2, v[2:3]
	v_mov_b32_e32 v5, s3
	v_add_co_u32_e32 v2, vcc, s2, v2
	v_addc_co_u32_e32 v3, vcc, v5, v3, vcc
	global_store_dword v[2:3], v4, off offset:4
.LBB6_4:
	s_or_b64 exec, exec, s[16:17]
	s_cmp_ge_i32 s14, s15
	s_cbranch_scc1 .LBB6_15
; %bb.5:
	s_load_dwordx2 s[22:23], s[4:5], 0x20
	s_load_dwordx2 s[6:7], s[4:5], 0x38
	;; [unrolled: 1-line block ×3, first 2 shown]
	s_load_dword s2, s[4:5], 0x0
	s_load_dwordx2 s[16:17], s[4:5], 0x48
	v_and_b32_e32 v0, 31, v0
	s_sub_i32 s3, s26, s12
	v_mul_lo_u32 v10, s3, v1
	s_waitcnt lgkmcnt(0)
	s_cmp_eq_u32 s2, 0
	v_cmp_gt_i32_e64 s[2:3], s9, v0
	v_or_b32_e32 v2, 32, v0
	s_cselect_b64 vcc, -1, 0
	s_and_b64 s[4:5], s[0:1], s[2:3]
	v_cmp_gt_i32_e64 s[2:3], s9, v2
	v_or_b32_e32 v3, 64, v0
	s_and_b64 s[18:19], s[0:1], s[2:3]
	v_cmp_gt_i32_e64 s[2:3], s9, v3
	v_or_b32_e32 v4, 0x60, v0
	s_and_b64 s[20:21], s[0:1], s[2:3]
	v_cmp_gt_i32_e64 s[2:3], s9, v4
	s_and_b64 s[2:3], s[0:1], s[2:3]
	s_mul_i32 s0, s8, s12
	s_mul_i32 s1, s9, s12
	s_ashr_i32 s13, s12, 31
	v_add_u32_e32 v5, s0, v1
	v_add_u32_e32 v9, s1, v0
	;; [unrolled: 1-line block ×3, first 2 shown]
	s_lshl_b64 s[0:1], s[12:13], 2
	v_add_u32_e32 v6, 0x60, v9
	v_add_u32_e32 v7, 64, v9
	;; [unrolled: 1-line block ×3, first 2 shown]
	s_add_u32 s22, s22, s0
	s_movk_i32 s28, 0x60
	v_mul_lo_u32 v5, s9, v5
	v_mul_lo_u32 v6, s8, v6
	;; [unrolled: 1-line block ×6, first 2 shown]
	s_addc_u32 s23, s23, s1
	s_branch .LBB6_7
.LBB6_6:                                ;   in Loop: Header=BB6_7 Depth=1
	s_or_b64 exec, exec, s[24:25]
	s_add_i32 s12, s12, 1
	s_add_u32 s22, s22, 4
	s_addc_u32 s23, s23, 0
	v_add_u32_e32 v5, s27, v5
	v_add_u32_e32 v1, s27, v1
	s_cmp_ge_i32 s12, s26
	v_add_u32_e32 v10, s9, v10
	s_cbranch_scc1 .LBB6_15
.LBB6_7:                                ; =>This Inner Loop Header: Depth=1
	s_load_dword s0, s[22:23], 0x0
	s_waitcnt lgkmcnt(0)
	s_sub_i32 s0, s0, s11
	s_mul_i32 s8, s0, s9
	s_add_i32 s8, s8, s10
	s_and_saveexec_b64 s[24:25], s[4:5]
	s_cbranch_execnz .LBB6_11
; %bb.8:                                ;   in Loop: Header=BB6_7 Depth=1
	s_or_b64 exec, exec, s[24:25]
	s_and_saveexec_b64 s[24:25], s[18:19]
	s_cbranch_execnz .LBB6_12
.LBB6_9:                                ;   in Loop: Header=BB6_7 Depth=1
	s_or_b64 exec, exec, s[24:25]
	s_and_saveexec_b64 s[24:25], s[20:21]
	s_cbranch_execnz .LBB6_13
.LBB6_10:                               ;   in Loop: Header=BB6_7 Depth=1
	s_or_b64 exec, exec, s[24:25]
	s_and_saveexec_b64 s[24:25], s[2:3]
	s_cbranch_execz .LBB6_6
	s_branch .LBB6_14
.LBB6_11:                               ;   in Loop: Header=BB6_7 Depth=1
	v_add_u32_e32 v11, v0, v5
	v_add_u32_e32 v12, v9, v1
	v_cndmask_b32_e32 v12, v12, v11, vcc
	v_ashrrev_i32_e32 v13, 31, v12
	v_lshlrev_b64 v[12:13], 2, v[12:13]
	v_mov_b32_e32 v11, s15
	v_add_co_u32_e64 v12, s[0:1], s14, v12
	v_addc_co_u32_e64 v13, s[0:1], v11, v13, s[0:1]
	global_load_dword v11, v[12:13], off
	v_add_u32_e32 v12, v0, v10
	v_ashrrev_i32_e32 v13, 31, v12
	v_lshlrev_b64 v[12:13], 2, v[12:13]
	v_mov_b32_e32 v15, s17
	v_add_co_u32_e64 v14, s[0:1], s16, v12
	v_add_u32_e32 v16, s8, v0
	v_addc_co_u32_e64 v15, s[0:1], v15, v13, s[0:1]
	global_store_dword v[14:15], v16, off
	v_mov_b32_e32 v14, s7
	v_add_co_u32_e64 v12, s[0:1], s6, v12
	v_addc_co_u32_e64 v13, s[0:1], v14, v13, s[0:1]
	s_waitcnt vmcnt(1)
	global_store_dword v[12:13], v11, off
	s_or_b64 exec, exec, s[24:25]
	s_and_saveexec_b64 s[24:25], s[18:19]
	s_cbranch_execz .LBB6_9
.LBB6_12:                               ;   in Loop: Header=BB6_7 Depth=1
	v_add3_u32 v11, v0, v5, 32
	v_add_u32_e32 v12, v8, v1
	v_cndmask_b32_e32 v12, v12, v11, vcc
	v_ashrrev_i32_e32 v13, 31, v12
	v_lshlrev_b64 v[12:13], 2, v[12:13]
	v_mov_b32_e32 v11, s15
	v_add_co_u32_e64 v12, s[0:1], s14, v12
	v_addc_co_u32_e64 v13, s[0:1], v11, v13, s[0:1]
	global_load_dword v11, v[12:13], off
	v_add3_u32 v12, v0, v10, 32
	v_ashrrev_i32_e32 v13, 31, v12
	v_lshlrev_b64 v[12:13], 2, v[12:13]
	v_mov_b32_e32 v15, s17
	v_add_co_u32_e64 v14, s[0:1], s16, v12
	v_add_u32_e32 v16, s8, v2
	v_addc_co_u32_e64 v15, s[0:1], v15, v13, s[0:1]
	global_store_dword v[14:15], v16, off
	v_mov_b32_e32 v14, s7
	v_add_co_u32_e64 v12, s[0:1], s6, v12
	v_addc_co_u32_e64 v13, s[0:1], v14, v13, s[0:1]
	s_waitcnt vmcnt(1)
	global_store_dword v[12:13], v11, off
	s_or_b64 exec, exec, s[24:25]
	s_and_saveexec_b64 s[24:25], s[20:21]
	s_cbranch_execz .LBB6_10
.LBB6_13:                               ;   in Loop: Header=BB6_7 Depth=1
	v_add3_u32 v11, v0, v5, 64
	v_add_u32_e32 v12, v7, v1
	v_cndmask_b32_e32 v12, v12, v11, vcc
	v_ashrrev_i32_e32 v13, 31, v12
	v_lshlrev_b64 v[12:13], 2, v[12:13]
	v_mov_b32_e32 v11, s15
	v_add_co_u32_e64 v12, s[0:1], s14, v12
	v_addc_co_u32_e64 v13, s[0:1], v11, v13, s[0:1]
	global_load_dword v11, v[12:13], off
	v_add3_u32 v12, v0, v10, 64
	v_ashrrev_i32_e32 v13, 31, v12
	v_lshlrev_b64 v[12:13], 2, v[12:13]
	v_mov_b32_e32 v15, s17
	v_add_co_u32_e64 v14, s[0:1], s16, v12
	v_add_u32_e32 v16, s8, v3
	v_addc_co_u32_e64 v15, s[0:1], v15, v13, s[0:1]
	global_store_dword v[14:15], v16, off
	v_mov_b32_e32 v14, s7
	v_add_co_u32_e64 v12, s[0:1], s6, v12
	v_addc_co_u32_e64 v13, s[0:1], v14, v13, s[0:1]
	s_waitcnt vmcnt(1)
	global_store_dword v[12:13], v11, off
	s_or_b64 exec, exec, s[24:25]
	s_and_saveexec_b64 s[24:25], s[2:3]
	s_cbranch_execz .LBB6_6
.LBB6_14:                               ;   in Loop: Header=BB6_7 Depth=1
	v_add3_u32 v11, v0, v5, s28
	v_add_u32_e32 v12, v6, v1
	v_cndmask_b32_e32 v12, v12, v11, vcc
	v_ashrrev_i32_e32 v13, 31, v12
	v_lshlrev_b64 v[12:13], 2, v[12:13]
	v_mov_b32_e32 v11, s15
	v_add_co_u32_e64 v12, s[0:1], s14, v12
	v_addc_co_u32_e64 v13, s[0:1], v11, v13, s[0:1]
	global_load_dword v11, v[12:13], off
	v_add3_u32 v12, v0, v10, s28
	v_ashrrev_i32_e32 v13, 31, v12
	v_lshlrev_b64 v[12:13], 2, v[12:13]
	v_mov_b32_e32 v15, s17
	v_add_co_u32_e64 v14, s[0:1], s16, v12
	v_add_u32_e32 v16, s8, v4
	v_addc_co_u32_e64 v15, s[0:1], v15, v13, s[0:1]
	global_store_dword v[14:15], v16, off
	v_mov_b32_e32 v14, s7
	v_add_co_u32_e64 v12, s[0:1], s6, v12
	v_addc_co_u32_e64 v13, s[0:1], v14, v13, s[0:1]
	s_waitcnt vmcnt(1)
	global_store_dword v[12:13], v11, off
	s_branch .LBB6_6
.LBB6_15:
	s_endpgm
	.section	.rodata,"a",@progbits
	.p2align	6, 0x0
	.amdhsa_kernel _ZN9rocsparseL37gebsr2csr_block_per_row_33_128_kernelILi256ELi2ELi128ELi2ELi32EfEEv20rocsparse_direction_ii21rocsparse_index_base_PKT4_PKiS7_iiS2_PS3_PiS9_
		.amdhsa_group_segment_fixed_size 0
		.amdhsa_private_segment_fixed_size 0
		.amdhsa_kernarg_size 80
		.amdhsa_user_sgpr_count 6
		.amdhsa_user_sgpr_private_segment_buffer 1
		.amdhsa_user_sgpr_dispatch_ptr 0
		.amdhsa_user_sgpr_queue_ptr 0
		.amdhsa_user_sgpr_kernarg_segment_ptr 1
		.amdhsa_user_sgpr_dispatch_id 0
		.amdhsa_user_sgpr_flat_scratch_init 0
		.amdhsa_user_sgpr_kernarg_preload_length 0
		.amdhsa_user_sgpr_kernarg_preload_offset 0
		.amdhsa_user_sgpr_private_segment_size 0
		.amdhsa_uses_dynamic_stack 0
		.amdhsa_system_sgpr_private_segment_wavefront_offset 0
		.amdhsa_system_sgpr_workgroup_id_x 1
		.amdhsa_system_sgpr_workgroup_id_y 0
		.amdhsa_system_sgpr_workgroup_id_z 0
		.amdhsa_system_sgpr_workgroup_info 0
		.amdhsa_system_vgpr_workitem_id 0
		.amdhsa_next_free_vgpr 17
		.amdhsa_next_free_sgpr 29
		.amdhsa_accum_offset 20
		.amdhsa_reserve_vcc 1
		.amdhsa_reserve_flat_scratch 0
		.amdhsa_float_round_mode_32 0
		.amdhsa_float_round_mode_16_64 0
		.amdhsa_float_denorm_mode_32 3
		.amdhsa_float_denorm_mode_16_64 3
		.amdhsa_dx10_clamp 1
		.amdhsa_ieee_mode 1
		.amdhsa_fp16_overflow 0
		.amdhsa_tg_split 0
		.amdhsa_exception_fp_ieee_invalid_op 0
		.amdhsa_exception_fp_denorm_src 0
		.amdhsa_exception_fp_ieee_div_zero 0
		.amdhsa_exception_fp_ieee_overflow 0
		.amdhsa_exception_fp_ieee_underflow 0
		.amdhsa_exception_fp_ieee_inexact 0
		.amdhsa_exception_int_div_zero 0
	.end_amdhsa_kernel
	.section	.text._ZN9rocsparseL37gebsr2csr_block_per_row_33_128_kernelILi256ELi2ELi128ELi2ELi32EfEEv20rocsparse_direction_ii21rocsparse_index_base_PKT4_PKiS7_iiS2_PS3_PiS9_,"axG",@progbits,_ZN9rocsparseL37gebsr2csr_block_per_row_33_128_kernelILi256ELi2ELi128ELi2ELi32EfEEv20rocsparse_direction_ii21rocsparse_index_base_PKT4_PKiS7_iiS2_PS3_PiS9_,comdat
.Lfunc_end6:
	.size	_ZN9rocsparseL37gebsr2csr_block_per_row_33_128_kernelILi256ELi2ELi128ELi2ELi32EfEEv20rocsparse_direction_ii21rocsparse_index_base_PKT4_PKiS7_iiS2_PS3_PiS9_, .Lfunc_end6-_ZN9rocsparseL37gebsr2csr_block_per_row_33_128_kernelILi256ELi2ELi128ELi2ELi32EfEEv20rocsparse_direction_ii21rocsparse_index_base_PKT4_PKiS7_iiS2_PS3_PiS9_
                                        ; -- End function
	.section	.AMDGPU.csdata,"",@progbits
; Kernel info:
; codeLenInByte = 1160
; NumSgprs: 33
; NumVgprs: 17
; NumAgprs: 0
; TotalNumVgprs: 17
; ScratchSize: 0
; MemoryBound: 0
; FloatMode: 240
; IeeeMode: 1
; LDSByteSize: 0 bytes/workgroup (compile time only)
; SGPRBlocks: 4
; VGPRBlocks: 2
; NumSGPRsForWavesPerEU: 33
; NumVGPRsForWavesPerEU: 17
; AccumOffset: 20
; Occupancy: 8
; WaveLimiterHint : 1
; COMPUTE_PGM_RSRC2:SCRATCH_EN: 0
; COMPUTE_PGM_RSRC2:USER_SGPR: 6
; COMPUTE_PGM_RSRC2:TRAP_HANDLER: 0
; COMPUTE_PGM_RSRC2:TGID_X_EN: 1
; COMPUTE_PGM_RSRC2:TGID_Y_EN: 0
; COMPUTE_PGM_RSRC2:TGID_Z_EN: 0
; COMPUTE_PGM_RSRC2:TIDIG_COMP_CNT: 0
; COMPUTE_PGM_RSRC3_GFX90A:ACCUM_OFFSET: 4
; COMPUTE_PGM_RSRC3_GFX90A:TG_SPLIT: 0
	.section	.text._ZN9rocsparseL35gebsr2csr_block_per_row_1_32_kernelILi256ELi4ELi2EfEEv20rocsparse_direction_ii21rocsparse_index_base_PKT2_PKiS7_iiS2_PS3_PiS9_,"axG",@progbits,_ZN9rocsparseL35gebsr2csr_block_per_row_1_32_kernelILi256ELi4ELi2EfEEv20rocsparse_direction_ii21rocsparse_index_base_PKT2_PKiS7_iiS2_PS3_PiS9_,comdat
	.globl	_ZN9rocsparseL35gebsr2csr_block_per_row_1_32_kernelILi256ELi4ELi2EfEEv20rocsparse_direction_ii21rocsparse_index_base_PKT2_PKiS7_iiS2_PS3_PiS9_ ; -- Begin function _ZN9rocsparseL35gebsr2csr_block_per_row_1_32_kernelILi256ELi4ELi2EfEEv20rocsparse_direction_ii21rocsparse_index_base_PKT2_PKiS7_iiS2_PS3_PiS9_
	.p2align	8
	.type	_ZN9rocsparseL35gebsr2csr_block_per_row_1_32_kernelILi256ELi4ELi2EfEEv20rocsparse_direction_ii21rocsparse_index_base_PKT2_PKiS7_iiS2_PS3_PiS9_,@function
_ZN9rocsparseL35gebsr2csr_block_per_row_1_32_kernelILi256ELi4ELi2EfEEv20rocsparse_direction_ii21rocsparse_index_base_PKT2_PKiS7_iiS2_PS3_PiS9_: ; @_ZN9rocsparseL35gebsr2csr_block_per_row_1_32_kernelILi256ELi4ELi2EfEEv20rocsparse_direction_ii21rocsparse_index_base_PKT2_PKiS7_iiS2_PS3_PiS9_
; %bb.0:
	s_load_dwordx2 s[0:1], s[4:5], 0x18
	s_load_dwordx4 s[8:11], s[4:5], 0x28
	s_load_dwordx2 s[2:3], s[4:5], 0x40
	s_ashr_i32 s7, s6, 31
	s_lshl_b64 s[12:13], s[6:7], 2
	s_waitcnt lgkmcnt(0)
	s_add_u32 s12, s0, s12
	v_or_b32_e32 v1, s6, v0
	s_addc_u32 s13, s1, s13
	v_cmp_eq_u32_e32 vcc, 0, v1
	s_and_saveexec_b64 s[0:1], vcc
	s_cbranch_execz .LBB7_2
; %bb.1:
	v_mov_b32_e32 v1, 0
	v_mov_b32_e32 v2, s10
	global_store_dword v1, v2, s[2:3]
.LBB7_2:
	s_or_b64 exec, exec, s[0:1]
	v_and_b32_e32 v4, 1, v0
	v_bfe_u32 v10, v0, 1, 2
	v_cmp_gt_i32_e32 vcc, s8, v10
	v_cmp_gt_i32_e64 s[0:1], s9, v4
	s_and_b64 s[0:1], vcc, s[0:1]
	s_and_saveexec_b64 s[14:15], s[0:1]
	s_cbranch_execz .LBB7_15
; %bb.3:
	s_load_dwordx2 s[16:17], s[12:13], 0x0
	s_load_dword s20, s[4:5], 0xc
	s_mul_i32 s21, s9, s8
	v_lshrrev_b32_e32 v5, 3, v0
	v_mov_b32_e32 v6, s3
	s_waitcnt lgkmcnt(0)
	s_sub_i32 s22, s16, s20
	s_sub_i32 s17, s17, s20
	;; [unrolled: 1-line block ×3, first 2 shown]
	s_mul_i32 s1, s25, s9
	s_mul_i32 s0, s22, s21
	v_mul_lo_u32 v0, s1, v10
	v_add_u32_e32 v1, s0, v0
	s_mul_i32 s0, s6, s8
	v_add_u32_e32 v2, s0, v10
	v_ashrrev_i32_e32 v3, 31, v2
	v_lshlrev_b64 v[2:3], 2, v[2:3]
	s_add_i32 s1, s1, s10
	v_add_co_u32_e32 v2, vcc, s2, v2
	v_add_u32_e32 v0, s1, v1
	v_addc_co_u32_e32 v3, vcc, v6, v3, vcc
	global_store_dword v[2:3], v0, off offset:4
	v_add_u32_e32 v0, s22, v5
	v_cmp_gt_i32_e32 vcc, s17, v0
	s_and_b64 exec, exec, vcc
	s_cbranch_execz .LBB7_15
; %bb.4:
	s_load_dwordx2 s[18:19], s[4:5], 0x20
	s_load_dwordx2 s[6:7], s[4:5], 0x38
	s_load_dword s0, s[4:5], 0x0
	s_load_dwordx2 s[12:13], s[4:5], 0x10
	s_load_dwordx2 s[14:15], s[4:5], 0x48
	v_add_u32_e32 v3, s16, v5
	v_subrev_u32_e32 v3, s20, v3
	s_waitcnt lgkmcnt(0)
	s_cmp_eq_u32 s0, 0
	v_mad_u64_u32 v[6:7], s[0:1], v4, s8, v[10:11]
	v_mad_u64_u32 v[8:9], s[0:1], v10, s9, v[4:5]
	s_cselect_b64 vcc, -1, 0
	v_add_u32_e32 v3, 32, v3
	s_not_b32 s0, s16
	v_max_i32_e32 v3, s17, v3
	s_add_i32 s0, s0, s20
	v_add_u32_e32 v3, s0, v3
	v_sub_u32_e32 v7, v3, v5
	s_movk_i32 s0, 0x21f
	v_add_u32_e32 v2, s10, v4
	v_cmp_lt_u32_e64 s[0:1], s0, v7
	s_mov_b64 s[2:3], 0
	v_mul_lo_u32 v3, s25, v10
                                        ; implicit-def: $sgpr24
                                        ; implicit-def: $sgpr23
	s_and_saveexec_b64 s[4:5], s[0:1]
	s_xor_b64 s[10:11], exec, s[4:5]
	s_cbranch_execz .LBB7_10
; %bb.5:
	s_lshl_b32 s23, s9, 5
	s_mul_i32 s24, s22, s8
	v_mul_lo_u32 v3, s25, v10
	s_sub_i32 s4, 0, s23
	v_add3_u32 v5, v5, s24, v3
	v_mad_u64_u32 v[10:11], s[0:1], v5, s9, v[4:5]
	s_cmp_lt_i32 s23, 0
	s_cselect_b64 s[0:1], -1, 0
	s_and_b64 s[2:3], s[0:1], exec
	v_lshrrev_b32_e32 v7, 5, v7
	s_cselect_b32 s4, s4, s23
	v_mul_hi_u32 v5, s4, v7
	v_cmp_eq_u32_e64 s[2:3], 0, v5
	v_mul_lo_u32 v5, s4, v7
	v_add_u32_e32 v9, v10, v5
	v_sub_u32_e32 v5, v10, v5
	v_cmp_gt_i32_e64 s[4:5], v5, v10
	v_cndmask_b32_e64 v5, 0, 1, s[4:5]
	v_cmp_lt_i32_e64 s[4:5], v9, v10
	v_cndmask_b32_e64 v9, 0, 1, s[4:5]
	v_cndmask_b32_e64 v5, v9, v5, s[0:1]
	v_and_b32_e32 v5, 1, v5
	v_cmp_eq_u32_e64 s[0:1], 1, v5
	s_xor_b64 s[0:1], s[0:1], -1
	s_mov_b64 s[4:5], -1
	s_and_b64 s[0:1], s[0:1], s[2:3]
	s_and_saveexec_b64 s[2:3], s[0:1]
	s_cbranch_execz .LBB7_9
; %bb.6:
	v_add_u32_e32 v5, 1, v7
	v_add_u32_e32 v10, v1, v4
	v_and_b32_e32 v7, 0xffffffe, v5
	v_add_u32_e32 v1, 32, v0
	v_cndmask_b32_e32 v12, v6, v8, vcc
	s_mov_b32 s25, s20
	s_mov_b32 s26, s22
	;; [unrolled: 1-line block ×5, first 2 shown]
	s_mov_b64 s[4:5], 0
	v_mov_b32_e32 v9, s19
	v_mov_b32_e32 v14, v10
	;; [unrolled: 1-line block ×8, first 2 shown]
	v_pk_mov_b32 v[20:21], v[0:1], v[0:1] op_sel:[0,1]
.LBB7_7:                                ; =>This Inner Loop Header: Depth=1
	v_ashrrev_i32_e32 v25, 31, v20
	v_mov_b32_e32 v24, v20
	v_mad_u64_u32 v[26:27], s[0:1], v20, s21, v[12:13]
	v_mad_u64_u32 v[28:29], s[0:1], v21, s29, v[18:19]
	v_lshlrev_b64 v[24:25], 2, v[24:25]
	v_ashrrev_i32_e32 v23, 31, v21
	v_mov_b32_e32 v22, v21
	v_add_co_u32_e64 v24, s[0:1], s18, v24
	v_lshlrev_b64 v[22:23], 2, v[22:23]
	v_addc_co_u32_e64 v25, s[0:1], v9, v25, s[0:1]
	v_ashrrev_i32_e32 v27, 31, v26
	v_add_co_u32_e64 v22, s[0:1], s18, v22
	v_addc_co_u32_e64 v23, s[0:1], v9, v23, s[0:1]
	v_lshlrev_b64 v[26:27], 2, v[26:27]
	v_ashrrev_i32_e32 v29, 31, v28
	global_load_dword v1, v[24:25], off
	global_load_dword v19, v[22:23], off
	v_add_co_u32_e64 v22, s[0:1], s12, v26
	v_lshlrev_b64 v[28:29], 2, v[28:29]
	v_addc_co_u32_e64 v23, s[0:1], v13, v27, s[0:1]
	v_add_co_u32_e64 v24, s[0:1], s12, v28
	v_addc_co_u32_e64 v25, s[0:1], v13, v29, s[0:1]
	global_load_dword v34, v[22:23], off
	global_load_dword v35, v[24:25], off
	v_subrev_u32_e32 v22, s22, v20
	v_subrev_u32_e32 v24, s26, v21
	v_mad_u64_u32 v[22:23], s[0:1], v22, s27, v[10:11]
	v_add_u32_e32 v17, -2, v17
	v_mad_u64_u32 v[24:25], s[0:1], v24, s28, v[14:15]
	v_ashrrev_i32_e32 v23, 31, v22
	v_cmp_eq_u32_e64 s[0:1], 0, v17
	v_lshlrev_b64 v[22:23], 2, v[22:23]
	v_ashrrev_i32_e32 v25, 31, v24
	s_or_b64 s[4:5], s[0:1], s[4:5]
	v_add_co_u32_e64 v26, s[0:1], s14, v22
	v_lshlrev_b64 v[24:25], 2, v[24:25]
	v_addc_co_u32_e64 v27, s[0:1], v11, v23, s[0:1]
	v_add_co_u32_e64 v28, s[0:1], s14, v24
	v_addc_co_u32_e64 v29, s[0:1], v11, v25, s[0:1]
	v_add_co_u32_e64 v22, s[0:1], s6, v22
	v_addc_co_u32_e64 v23, s[0:1], v15, v23, s[0:1]
	v_add_u32_e32 v21, 64, v21
	v_add_u32_e32 v20, 64, v20
	v_add_co_u32_e64 v24, s[0:1], s6, v24
	v_addc_co_u32_e64 v25, s[0:1], v15, v25, s[0:1]
	s_waitcnt vmcnt(3)
	v_subrev_u32_e32 v1, s20, v1
	s_waitcnt vmcnt(2)
	v_subrev_u32_e32 v19, s25, v19
	v_mad_u64_u32 v[30:31], s[0:1], v19, s28, v[16:17]
	v_mad_u64_u32 v[32:33], s[0:1], v1, s27, v[2:3]
	s_waitcnt vmcnt(1)
	global_store_dword v[22:23], v34, off
	s_waitcnt vmcnt(1)
	global_store_dword v[24:25], v35, off
	global_store_dword v[26:27], v32, off
	;; [unrolled: 1-line block ×3, first 2 shown]
	s_andn2_b64 exec, exec, s[4:5]
	s_cbranch_execnz .LBB7_7
; %bb.8:
	s_or_b64 exec, exec, s[4:5]
	v_cmp_ne_u32_e64 s[0:1], v5, v7
	v_lshl_add_u32 v0, v7, 5, v0
	s_orn2_b64 s[4:5], s[0:1], exec
.LBB7_9:
	s_or_b64 exec, exec, s[2:3]
	s_and_b64 s[2:3], s[4:5], exec
.LBB7_10:
	s_or_saveexec_b64 s[0:1], s[10:11]
	v_mov_b32_e32 v1, s24
	v_mov_b32_e32 v10, s23
	s_xor_b64 exec, exec, s[0:1]
; %bb.11:
	s_mul_i32 s4, s8, s22
	s_lshl_b32 s5, s9, 5
	v_mov_b32_e32 v1, s4
	v_mov_b32_e32 v10, s5
	s_or_b64 s[2:3], s[2:3], exec
; %bb.12:
	s_or_b64 exec, exec, s[0:1]
	s_and_b64 exec, exec, s[2:3]
	s_cbranch_execz .LBB7_15
; %bb.13:
	v_cndmask_b32_e32 v6, v6, v8, vcc
	v_mul_lo_u32 v5, v0, s9
	v_mad_u64_u32 v[6:7], s[0:1], v5, s8, v[6:7]
	v_add_u32_e32 v5, s20, v0
	v_add3_u32 v1, v5, v1, v3
	v_subrev_u32_e32 v1, s16, v1
	v_mad_u64_u32 v[4:5], s[0:1], s9, v1, v[4:5]
	v_ashrrev_i32_e32 v1, 31, v0
	v_lshlrev_b64 v[8:9], 2, v[0:1]
	v_mov_b32_e32 v1, s19
	v_add_co_u32_e32 v8, vcc, s18, v8
	s_lshl_b32 s4, s21, 5
	v_addc_co_u32_e32 v9, vcc, v1, v9, vcc
	s_mov_b64 s[2:3], 0
	v_mov_b32_e32 v1, s15
	v_mov_b32_e32 v3, s13
	;; [unrolled: 1-line block ×3, first 2 shown]
.LBB7_14:                               ; =>This Inner Loop Header: Depth=1
	v_ashrrev_i32_e32 v7, 31, v6
	global_load_dword v16, v[8:9], off
	v_lshlrev_b64 v[12:13], 2, v[6:7]
	v_add_co_u32_e32 v12, vcc, s12, v12
	v_addc_co_u32_e32 v13, vcc, v3, v13, vcc
	global_load_dword v7, v[12:13], off
	v_ashrrev_i32_e32 v5, 31, v4
	v_lshlrev_b64 v[12:13], 2, v[4:5]
	v_add_co_u32_e32 v8, vcc, 0x80, v8
	v_add_co_u32_e64 v14, s[0:1], s14, v12
	v_add_u32_e32 v0, 32, v0
	v_addc_co_u32_e32 v9, vcc, 0, v9, vcc
	v_addc_co_u32_e64 v15, s[0:1], v1, v13, s[0:1]
	v_cmp_le_i32_e32 vcc, s17, v0
	v_add_co_u32_e64 v12, s[0:1], s6, v12
	v_add_u32_e32 v6, s4, v6
	v_add_u32_e32 v4, v4, v10
	v_addc_co_u32_e64 v13, s[0:1], v11, v13, s[0:1]
	s_or_b64 s[2:3], vcc, s[2:3]
	s_waitcnt vmcnt(1)
	v_subrev_u32_e32 v5, s20, v16
	v_mad_u64_u32 v[16:17], s[0:1], v5, s9, v[2:3]
	global_store_dword v[14:15], v16, off
	s_waitcnt vmcnt(1)
	global_store_dword v[12:13], v7, off
	s_andn2_b64 exec, exec, s[2:3]
	s_cbranch_execnz .LBB7_14
.LBB7_15:
	s_endpgm
	.section	.rodata,"a",@progbits
	.p2align	6, 0x0
	.amdhsa_kernel _ZN9rocsparseL35gebsr2csr_block_per_row_1_32_kernelILi256ELi4ELi2EfEEv20rocsparse_direction_ii21rocsparse_index_base_PKT2_PKiS7_iiS2_PS3_PiS9_
		.amdhsa_group_segment_fixed_size 0
		.amdhsa_private_segment_fixed_size 0
		.amdhsa_kernarg_size 80
		.amdhsa_user_sgpr_count 6
		.amdhsa_user_sgpr_private_segment_buffer 1
		.amdhsa_user_sgpr_dispatch_ptr 0
		.amdhsa_user_sgpr_queue_ptr 0
		.amdhsa_user_sgpr_kernarg_segment_ptr 1
		.amdhsa_user_sgpr_dispatch_id 0
		.amdhsa_user_sgpr_flat_scratch_init 0
		.amdhsa_user_sgpr_kernarg_preload_length 0
		.amdhsa_user_sgpr_kernarg_preload_offset 0
		.amdhsa_user_sgpr_private_segment_size 0
		.amdhsa_uses_dynamic_stack 0
		.amdhsa_system_sgpr_private_segment_wavefront_offset 0
		.amdhsa_system_sgpr_workgroup_id_x 1
		.amdhsa_system_sgpr_workgroup_id_y 0
		.amdhsa_system_sgpr_workgroup_id_z 0
		.amdhsa_system_sgpr_workgroup_info 0
		.amdhsa_system_vgpr_workitem_id 0
		.amdhsa_next_free_vgpr 36
		.amdhsa_next_free_sgpr 30
		.amdhsa_accum_offset 36
		.amdhsa_reserve_vcc 1
		.amdhsa_reserve_flat_scratch 0
		.amdhsa_float_round_mode_32 0
		.amdhsa_float_round_mode_16_64 0
		.amdhsa_float_denorm_mode_32 3
		.amdhsa_float_denorm_mode_16_64 3
		.amdhsa_dx10_clamp 1
		.amdhsa_ieee_mode 1
		.amdhsa_fp16_overflow 0
		.amdhsa_tg_split 0
		.amdhsa_exception_fp_ieee_invalid_op 0
		.amdhsa_exception_fp_denorm_src 0
		.amdhsa_exception_fp_ieee_div_zero 0
		.amdhsa_exception_fp_ieee_overflow 0
		.amdhsa_exception_fp_ieee_underflow 0
		.amdhsa_exception_fp_ieee_inexact 0
		.amdhsa_exception_int_div_zero 0
	.end_amdhsa_kernel
	.section	.text._ZN9rocsparseL35gebsr2csr_block_per_row_1_32_kernelILi256ELi4ELi2EfEEv20rocsparse_direction_ii21rocsparse_index_base_PKT2_PKiS7_iiS2_PS3_PiS9_,"axG",@progbits,_ZN9rocsparseL35gebsr2csr_block_per_row_1_32_kernelILi256ELi4ELi2EfEEv20rocsparse_direction_ii21rocsparse_index_base_PKT2_PKiS7_iiS2_PS3_PiS9_,comdat
.Lfunc_end7:
	.size	_ZN9rocsparseL35gebsr2csr_block_per_row_1_32_kernelILi256ELi4ELi2EfEEv20rocsparse_direction_ii21rocsparse_index_base_PKT2_PKiS7_iiS2_PS3_PiS9_, .Lfunc_end7-_ZN9rocsparseL35gebsr2csr_block_per_row_1_32_kernelILi256ELi4ELi2EfEEv20rocsparse_direction_ii21rocsparse_index_base_PKT2_PKiS7_iiS2_PS3_PiS9_
                                        ; -- End function
	.section	.AMDGPU.csdata,"",@progbits
; Kernel info:
; codeLenInByte = 1340
; NumSgprs: 34
; NumVgprs: 36
; NumAgprs: 0
; TotalNumVgprs: 36
; ScratchSize: 0
; MemoryBound: 0
; FloatMode: 240
; IeeeMode: 1
; LDSByteSize: 0 bytes/workgroup (compile time only)
; SGPRBlocks: 4
; VGPRBlocks: 4
; NumSGPRsForWavesPerEU: 34
; NumVGPRsForWavesPerEU: 36
; AccumOffset: 36
; Occupancy: 8
; WaveLimiterHint : 0
; COMPUTE_PGM_RSRC2:SCRATCH_EN: 0
; COMPUTE_PGM_RSRC2:USER_SGPR: 6
; COMPUTE_PGM_RSRC2:TRAP_HANDLER: 0
; COMPUTE_PGM_RSRC2:TGID_X_EN: 1
; COMPUTE_PGM_RSRC2:TGID_Y_EN: 0
; COMPUTE_PGM_RSRC2:TGID_Z_EN: 0
; COMPUTE_PGM_RSRC2:TIDIG_COMP_CNT: 0
; COMPUTE_PGM_RSRC3_GFX90A:ACCUM_OFFSET: 8
; COMPUTE_PGM_RSRC3_GFX90A:TG_SPLIT: 0
	.section	.text._ZN9rocsparseL35gebsr2csr_block_per_row_1_32_kernelILi256ELi4ELi4EfEEv20rocsparse_direction_ii21rocsparse_index_base_PKT2_PKiS7_iiS2_PS3_PiS9_,"axG",@progbits,_ZN9rocsparseL35gebsr2csr_block_per_row_1_32_kernelILi256ELi4ELi4EfEEv20rocsparse_direction_ii21rocsparse_index_base_PKT2_PKiS7_iiS2_PS3_PiS9_,comdat
	.globl	_ZN9rocsparseL35gebsr2csr_block_per_row_1_32_kernelILi256ELi4ELi4EfEEv20rocsparse_direction_ii21rocsparse_index_base_PKT2_PKiS7_iiS2_PS3_PiS9_ ; -- Begin function _ZN9rocsparseL35gebsr2csr_block_per_row_1_32_kernelILi256ELi4ELi4EfEEv20rocsparse_direction_ii21rocsparse_index_base_PKT2_PKiS7_iiS2_PS3_PiS9_
	.p2align	8
	.type	_ZN9rocsparseL35gebsr2csr_block_per_row_1_32_kernelILi256ELi4ELi4EfEEv20rocsparse_direction_ii21rocsparse_index_base_PKT2_PKiS7_iiS2_PS3_PiS9_,@function
_ZN9rocsparseL35gebsr2csr_block_per_row_1_32_kernelILi256ELi4ELi4EfEEv20rocsparse_direction_ii21rocsparse_index_base_PKT2_PKiS7_iiS2_PS3_PiS9_: ; @_ZN9rocsparseL35gebsr2csr_block_per_row_1_32_kernelILi256ELi4ELi4EfEEv20rocsparse_direction_ii21rocsparse_index_base_PKT2_PKiS7_iiS2_PS3_PiS9_
; %bb.0:
	s_load_dwordx2 s[0:1], s[4:5], 0x18
	s_load_dwordx4 s[8:11], s[4:5], 0x28
	s_load_dwordx2 s[2:3], s[4:5], 0x40
	s_ashr_i32 s7, s6, 31
	s_lshl_b64 s[12:13], s[6:7], 2
	s_waitcnt lgkmcnt(0)
	s_add_u32 s12, s0, s12
	v_or_b32_e32 v1, s6, v0
	s_addc_u32 s13, s1, s13
	v_cmp_eq_u32_e32 vcc, 0, v1
	s_and_saveexec_b64 s[0:1], vcc
	s_cbranch_execz .LBB8_2
; %bb.1:
	v_mov_b32_e32 v1, 0
	v_mov_b32_e32 v2, s10
	global_store_dword v1, v2, s[2:3]
.LBB8_2:
	s_or_b64 exec, exec, s[0:1]
	v_and_b32_e32 v4, 3, v0
	v_bfe_u32 v10, v0, 2, 2
	v_cmp_gt_i32_e32 vcc, s8, v10
	v_cmp_gt_i32_e64 s[0:1], s9, v4
	s_and_b64 s[0:1], vcc, s[0:1]
	s_and_saveexec_b64 s[14:15], s[0:1]
	s_cbranch_execz .LBB8_15
; %bb.3:
	s_load_dwordx2 s[16:17], s[12:13], 0x0
	s_load_dword s20, s[4:5], 0xc
	s_mul_i32 s21, s9, s8
	v_lshrrev_b32_e32 v5, 4, v0
	v_mov_b32_e32 v6, s3
	s_waitcnt lgkmcnt(0)
	s_sub_i32 s22, s16, s20
	s_sub_i32 s17, s17, s20
	;; [unrolled: 1-line block ×3, first 2 shown]
	s_mul_i32 s1, s25, s9
	s_mul_i32 s0, s22, s21
	v_mul_lo_u32 v0, s1, v10
	v_add_u32_e32 v1, s0, v0
	s_mul_i32 s0, s6, s8
	v_add_u32_e32 v2, s0, v10
	v_ashrrev_i32_e32 v3, 31, v2
	v_lshlrev_b64 v[2:3], 2, v[2:3]
	s_add_i32 s1, s1, s10
	v_add_co_u32_e32 v2, vcc, s2, v2
	v_add_u32_e32 v0, s1, v1
	v_addc_co_u32_e32 v3, vcc, v6, v3, vcc
	global_store_dword v[2:3], v0, off offset:4
	v_add_u32_e32 v0, s22, v5
	v_cmp_gt_i32_e32 vcc, s17, v0
	s_and_b64 exec, exec, vcc
	s_cbranch_execz .LBB8_15
; %bb.4:
	s_load_dwordx2 s[18:19], s[4:5], 0x20
	s_load_dwordx2 s[6:7], s[4:5], 0x38
	s_load_dword s0, s[4:5], 0x0
	s_load_dwordx2 s[12:13], s[4:5], 0x10
	s_load_dwordx2 s[14:15], s[4:5], 0x48
	v_add_u32_e32 v3, s16, v5
	v_subrev_u32_e32 v3, s20, v3
	s_waitcnt lgkmcnt(0)
	s_cmp_eq_u32 s0, 0
	v_mad_u64_u32 v[6:7], s[0:1], v4, s8, v[10:11]
	v_mad_u64_u32 v[8:9], s[0:1], v10, s9, v[4:5]
	s_cselect_b64 vcc, -1, 0
	v_add_u32_e32 v3, 16, v3
	s_not_b32 s0, s16
	v_max_i32_e32 v3, s17, v3
	s_add_i32 s0, s0, s20
	v_add_u32_e32 v3, s0, v3
	v_sub_u32_e32 v7, v3, v5
	s_movk_i32 s0, 0x10f
	v_add_u32_e32 v2, s10, v4
	v_cmp_lt_u32_e64 s[0:1], s0, v7
	s_mov_b64 s[2:3], 0
	v_mul_lo_u32 v3, s25, v10
                                        ; implicit-def: $sgpr24
                                        ; implicit-def: $sgpr23
	s_and_saveexec_b64 s[4:5], s[0:1]
	s_xor_b64 s[10:11], exec, s[4:5]
	s_cbranch_execz .LBB8_10
; %bb.5:
	s_lshl_b32 s23, s9, 4
	s_mul_i32 s24, s22, s8
	v_mul_lo_u32 v3, s25, v10
	s_sub_i32 s4, 0, s23
	v_add3_u32 v5, v5, s24, v3
	v_mad_u64_u32 v[10:11], s[0:1], v5, s9, v[4:5]
	s_cmp_lt_i32 s23, 0
	s_cselect_b64 s[0:1], -1, 0
	s_and_b64 s[2:3], s[0:1], exec
	v_lshrrev_b32_e32 v7, 4, v7
	s_cselect_b32 s4, s4, s23
	v_mul_hi_u32 v5, s4, v7
	v_cmp_eq_u32_e64 s[2:3], 0, v5
	v_mul_lo_u32 v5, s4, v7
	v_add_u32_e32 v9, v10, v5
	v_sub_u32_e32 v5, v10, v5
	v_cmp_gt_i32_e64 s[4:5], v5, v10
	v_cndmask_b32_e64 v5, 0, 1, s[4:5]
	v_cmp_lt_i32_e64 s[4:5], v9, v10
	v_cndmask_b32_e64 v9, 0, 1, s[4:5]
	v_cndmask_b32_e64 v5, v9, v5, s[0:1]
	v_and_b32_e32 v5, 1, v5
	v_cmp_eq_u32_e64 s[0:1], 1, v5
	s_xor_b64 s[0:1], s[0:1], -1
	s_mov_b64 s[4:5], -1
	s_and_b64 s[0:1], s[0:1], s[2:3]
	s_and_saveexec_b64 s[2:3], s[0:1]
	s_cbranch_execz .LBB8_9
; %bb.6:
	v_add_u32_e32 v5, 1, v7
	v_add_u32_e32 v10, v1, v4
	v_and_b32_e32 v7, 0x1ffffffe, v5
	v_add_u32_e32 v1, 16, v0
	v_cndmask_b32_e32 v12, v6, v8, vcc
	s_mov_b32 s25, s20
	s_mov_b32 s26, s22
	;; [unrolled: 1-line block ×5, first 2 shown]
	s_mov_b64 s[4:5], 0
	v_mov_b32_e32 v9, s19
	v_mov_b32_e32 v14, v10
	;; [unrolled: 1-line block ×8, first 2 shown]
	v_pk_mov_b32 v[20:21], v[0:1], v[0:1] op_sel:[0,1]
.LBB8_7:                                ; =>This Inner Loop Header: Depth=1
	v_ashrrev_i32_e32 v25, 31, v20
	v_mov_b32_e32 v24, v20
	v_mad_u64_u32 v[26:27], s[0:1], v20, s21, v[12:13]
	v_mad_u64_u32 v[28:29], s[0:1], v21, s29, v[18:19]
	v_lshlrev_b64 v[24:25], 2, v[24:25]
	v_ashrrev_i32_e32 v23, 31, v21
	v_mov_b32_e32 v22, v21
	v_add_co_u32_e64 v24, s[0:1], s18, v24
	v_lshlrev_b64 v[22:23], 2, v[22:23]
	v_addc_co_u32_e64 v25, s[0:1], v9, v25, s[0:1]
	v_ashrrev_i32_e32 v27, 31, v26
	v_add_co_u32_e64 v22, s[0:1], s18, v22
	v_addc_co_u32_e64 v23, s[0:1], v9, v23, s[0:1]
	v_lshlrev_b64 v[26:27], 2, v[26:27]
	v_ashrrev_i32_e32 v29, 31, v28
	global_load_dword v1, v[24:25], off
	global_load_dword v19, v[22:23], off
	v_add_co_u32_e64 v22, s[0:1], s12, v26
	v_lshlrev_b64 v[28:29], 2, v[28:29]
	v_addc_co_u32_e64 v23, s[0:1], v13, v27, s[0:1]
	v_add_co_u32_e64 v24, s[0:1], s12, v28
	v_addc_co_u32_e64 v25, s[0:1], v13, v29, s[0:1]
	global_load_dword v34, v[22:23], off
	global_load_dword v35, v[24:25], off
	v_subrev_u32_e32 v22, s22, v20
	v_subrev_u32_e32 v24, s26, v21
	v_mad_u64_u32 v[22:23], s[0:1], v22, s27, v[10:11]
	v_add_u32_e32 v17, -2, v17
	v_mad_u64_u32 v[24:25], s[0:1], v24, s28, v[14:15]
	v_ashrrev_i32_e32 v23, 31, v22
	v_cmp_eq_u32_e64 s[0:1], 0, v17
	v_lshlrev_b64 v[22:23], 2, v[22:23]
	v_ashrrev_i32_e32 v25, 31, v24
	s_or_b64 s[4:5], s[0:1], s[4:5]
	v_add_co_u32_e64 v26, s[0:1], s14, v22
	v_lshlrev_b64 v[24:25], 2, v[24:25]
	v_addc_co_u32_e64 v27, s[0:1], v11, v23, s[0:1]
	v_add_co_u32_e64 v28, s[0:1], s14, v24
	v_addc_co_u32_e64 v29, s[0:1], v11, v25, s[0:1]
	v_add_co_u32_e64 v22, s[0:1], s6, v22
	v_addc_co_u32_e64 v23, s[0:1], v15, v23, s[0:1]
	v_add_u32_e32 v21, 32, v21
	v_add_u32_e32 v20, 32, v20
	v_add_co_u32_e64 v24, s[0:1], s6, v24
	v_addc_co_u32_e64 v25, s[0:1], v15, v25, s[0:1]
	s_waitcnt vmcnt(3)
	v_subrev_u32_e32 v1, s20, v1
	s_waitcnt vmcnt(2)
	v_subrev_u32_e32 v19, s25, v19
	v_mad_u64_u32 v[30:31], s[0:1], v19, s28, v[16:17]
	v_mad_u64_u32 v[32:33], s[0:1], v1, s27, v[2:3]
	s_waitcnt vmcnt(1)
	global_store_dword v[22:23], v34, off
	s_waitcnt vmcnt(1)
	global_store_dword v[24:25], v35, off
	global_store_dword v[26:27], v32, off
	;; [unrolled: 1-line block ×3, first 2 shown]
	s_andn2_b64 exec, exec, s[4:5]
	s_cbranch_execnz .LBB8_7
; %bb.8:
	s_or_b64 exec, exec, s[4:5]
	v_cmp_ne_u32_e64 s[0:1], v5, v7
	v_lshl_add_u32 v0, v7, 4, v0
	s_orn2_b64 s[4:5], s[0:1], exec
.LBB8_9:
	s_or_b64 exec, exec, s[2:3]
	s_and_b64 s[2:3], s[4:5], exec
.LBB8_10:
	s_or_saveexec_b64 s[0:1], s[10:11]
	v_mov_b32_e32 v1, s24
	v_mov_b32_e32 v10, s23
	s_xor_b64 exec, exec, s[0:1]
; %bb.11:
	s_mul_i32 s4, s8, s22
	s_lshl_b32 s5, s9, 4
	v_mov_b32_e32 v1, s4
	v_mov_b32_e32 v10, s5
	s_or_b64 s[2:3], s[2:3], exec
; %bb.12:
	s_or_b64 exec, exec, s[0:1]
	s_and_b64 exec, exec, s[2:3]
	s_cbranch_execz .LBB8_15
; %bb.13:
	v_cndmask_b32_e32 v6, v6, v8, vcc
	v_mul_lo_u32 v5, v0, s9
	v_mad_u64_u32 v[6:7], s[0:1], v5, s8, v[6:7]
	v_add_u32_e32 v5, s20, v0
	v_add3_u32 v1, v5, v1, v3
	v_subrev_u32_e32 v1, s16, v1
	v_mad_u64_u32 v[4:5], s[0:1], s9, v1, v[4:5]
	v_ashrrev_i32_e32 v1, 31, v0
	v_lshlrev_b64 v[8:9], 2, v[0:1]
	v_mov_b32_e32 v1, s19
	v_add_co_u32_e32 v8, vcc, s18, v8
	s_lshl_b32 s4, s21, 4
	v_addc_co_u32_e32 v9, vcc, v1, v9, vcc
	s_mov_b64 s[2:3], 0
	v_mov_b32_e32 v1, s15
	v_mov_b32_e32 v3, s13
	;; [unrolled: 1-line block ×3, first 2 shown]
.LBB8_14:                               ; =>This Inner Loop Header: Depth=1
	v_ashrrev_i32_e32 v7, 31, v6
	global_load_dword v16, v[8:9], off
	v_lshlrev_b64 v[12:13], 2, v[6:7]
	v_add_co_u32_e32 v12, vcc, s12, v12
	v_addc_co_u32_e32 v13, vcc, v3, v13, vcc
	global_load_dword v7, v[12:13], off
	v_ashrrev_i32_e32 v5, 31, v4
	v_lshlrev_b64 v[12:13], 2, v[4:5]
	v_add_co_u32_e32 v8, vcc, 64, v8
	v_add_co_u32_e64 v14, s[0:1], s14, v12
	v_add_u32_e32 v0, 16, v0
	v_addc_co_u32_e32 v9, vcc, 0, v9, vcc
	v_addc_co_u32_e64 v15, s[0:1], v1, v13, s[0:1]
	v_cmp_le_i32_e32 vcc, s17, v0
	v_add_co_u32_e64 v12, s[0:1], s6, v12
	v_add_u32_e32 v6, s4, v6
	v_add_u32_e32 v4, v4, v10
	v_addc_co_u32_e64 v13, s[0:1], v11, v13, s[0:1]
	s_or_b64 s[2:3], vcc, s[2:3]
	s_waitcnt vmcnt(1)
	v_subrev_u32_e32 v5, s20, v16
	v_mad_u64_u32 v[16:17], s[0:1], v5, s9, v[2:3]
	global_store_dword v[14:15], v16, off
	s_waitcnt vmcnt(1)
	global_store_dword v[12:13], v7, off
	s_andn2_b64 exec, exec, s[2:3]
	s_cbranch_execnz .LBB8_14
.LBB8_15:
	s_endpgm
	.section	.rodata,"a",@progbits
	.p2align	6, 0x0
	.amdhsa_kernel _ZN9rocsparseL35gebsr2csr_block_per_row_1_32_kernelILi256ELi4ELi4EfEEv20rocsparse_direction_ii21rocsparse_index_base_PKT2_PKiS7_iiS2_PS3_PiS9_
		.amdhsa_group_segment_fixed_size 0
		.amdhsa_private_segment_fixed_size 0
		.amdhsa_kernarg_size 80
		.amdhsa_user_sgpr_count 6
		.amdhsa_user_sgpr_private_segment_buffer 1
		.amdhsa_user_sgpr_dispatch_ptr 0
		.amdhsa_user_sgpr_queue_ptr 0
		.amdhsa_user_sgpr_kernarg_segment_ptr 1
		.amdhsa_user_sgpr_dispatch_id 0
		.amdhsa_user_sgpr_flat_scratch_init 0
		.amdhsa_user_sgpr_kernarg_preload_length 0
		.amdhsa_user_sgpr_kernarg_preload_offset 0
		.amdhsa_user_sgpr_private_segment_size 0
		.amdhsa_uses_dynamic_stack 0
		.amdhsa_system_sgpr_private_segment_wavefront_offset 0
		.amdhsa_system_sgpr_workgroup_id_x 1
		.amdhsa_system_sgpr_workgroup_id_y 0
		.amdhsa_system_sgpr_workgroup_id_z 0
		.amdhsa_system_sgpr_workgroup_info 0
		.amdhsa_system_vgpr_workitem_id 0
		.amdhsa_next_free_vgpr 36
		.amdhsa_next_free_sgpr 30
		.amdhsa_accum_offset 36
		.amdhsa_reserve_vcc 1
		.amdhsa_reserve_flat_scratch 0
		.amdhsa_float_round_mode_32 0
		.amdhsa_float_round_mode_16_64 0
		.amdhsa_float_denorm_mode_32 3
		.amdhsa_float_denorm_mode_16_64 3
		.amdhsa_dx10_clamp 1
		.amdhsa_ieee_mode 1
		.amdhsa_fp16_overflow 0
		.amdhsa_tg_split 0
		.amdhsa_exception_fp_ieee_invalid_op 0
		.amdhsa_exception_fp_denorm_src 0
		.amdhsa_exception_fp_ieee_div_zero 0
		.amdhsa_exception_fp_ieee_overflow 0
		.amdhsa_exception_fp_ieee_underflow 0
		.amdhsa_exception_fp_ieee_inexact 0
		.amdhsa_exception_int_div_zero 0
	.end_amdhsa_kernel
	.section	.text._ZN9rocsparseL35gebsr2csr_block_per_row_1_32_kernelILi256ELi4ELi4EfEEv20rocsparse_direction_ii21rocsparse_index_base_PKT2_PKiS7_iiS2_PS3_PiS9_,"axG",@progbits,_ZN9rocsparseL35gebsr2csr_block_per_row_1_32_kernelILi256ELi4ELi4EfEEv20rocsparse_direction_ii21rocsparse_index_base_PKT2_PKiS7_iiS2_PS3_PiS9_,comdat
.Lfunc_end8:
	.size	_ZN9rocsparseL35gebsr2csr_block_per_row_1_32_kernelILi256ELi4ELi4EfEEv20rocsparse_direction_ii21rocsparse_index_base_PKT2_PKiS7_iiS2_PS3_PiS9_, .Lfunc_end8-_ZN9rocsparseL35gebsr2csr_block_per_row_1_32_kernelILi256ELi4ELi4EfEEv20rocsparse_direction_ii21rocsparse_index_base_PKT2_PKiS7_iiS2_PS3_PiS9_
                                        ; -- End function
	.section	.AMDGPU.csdata,"",@progbits
; Kernel info:
; codeLenInByte = 1336
; NumSgprs: 34
; NumVgprs: 36
; NumAgprs: 0
; TotalNumVgprs: 36
; ScratchSize: 0
; MemoryBound: 0
; FloatMode: 240
; IeeeMode: 1
; LDSByteSize: 0 bytes/workgroup (compile time only)
; SGPRBlocks: 4
; VGPRBlocks: 4
; NumSGPRsForWavesPerEU: 34
; NumVGPRsForWavesPerEU: 36
; AccumOffset: 36
; Occupancy: 8
; WaveLimiterHint : 0
; COMPUTE_PGM_RSRC2:SCRATCH_EN: 0
; COMPUTE_PGM_RSRC2:USER_SGPR: 6
; COMPUTE_PGM_RSRC2:TRAP_HANDLER: 0
; COMPUTE_PGM_RSRC2:TGID_X_EN: 1
; COMPUTE_PGM_RSRC2:TGID_Y_EN: 0
; COMPUTE_PGM_RSRC2:TGID_Z_EN: 0
; COMPUTE_PGM_RSRC2:TIDIG_COMP_CNT: 0
; COMPUTE_PGM_RSRC3_GFX90A:ACCUM_OFFSET: 8
; COMPUTE_PGM_RSRC3_GFX90A:TG_SPLIT: 0
	.section	.text._ZN9rocsparseL35gebsr2csr_block_per_row_1_32_kernelILi256ELi4ELi8EfEEv20rocsparse_direction_ii21rocsparse_index_base_PKT2_PKiS7_iiS2_PS3_PiS9_,"axG",@progbits,_ZN9rocsparseL35gebsr2csr_block_per_row_1_32_kernelILi256ELi4ELi8EfEEv20rocsparse_direction_ii21rocsparse_index_base_PKT2_PKiS7_iiS2_PS3_PiS9_,comdat
	.globl	_ZN9rocsparseL35gebsr2csr_block_per_row_1_32_kernelILi256ELi4ELi8EfEEv20rocsparse_direction_ii21rocsparse_index_base_PKT2_PKiS7_iiS2_PS3_PiS9_ ; -- Begin function _ZN9rocsparseL35gebsr2csr_block_per_row_1_32_kernelILi256ELi4ELi8EfEEv20rocsparse_direction_ii21rocsparse_index_base_PKT2_PKiS7_iiS2_PS3_PiS9_
	.p2align	8
	.type	_ZN9rocsparseL35gebsr2csr_block_per_row_1_32_kernelILi256ELi4ELi8EfEEv20rocsparse_direction_ii21rocsparse_index_base_PKT2_PKiS7_iiS2_PS3_PiS9_,@function
_ZN9rocsparseL35gebsr2csr_block_per_row_1_32_kernelILi256ELi4ELi8EfEEv20rocsparse_direction_ii21rocsparse_index_base_PKT2_PKiS7_iiS2_PS3_PiS9_: ; @_ZN9rocsparseL35gebsr2csr_block_per_row_1_32_kernelILi256ELi4ELi8EfEEv20rocsparse_direction_ii21rocsparse_index_base_PKT2_PKiS7_iiS2_PS3_PiS9_
; %bb.0:
	s_load_dwordx2 s[0:1], s[4:5], 0x18
	s_load_dwordx4 s[8:11], s[4:5], 0x28
	s_load_dwordx2 s[2:3], s[4:5], 0x40
	s_ashr_i32 s7, s6, 31
	s_lshl_b64 s[12:13], s[6:7], 2
	s_waitcnt lgkmcnt(0)
	s_add_u32 s12, s0, s12
	v_or_b32_e32 v1, s6, v0
	s_addc_u32 s13, s1, s13
	v_cmp_eq_u32_e32 vcc, 0, v1
	s_and_saveexec_b64 s[0:1], vcc
	s_cbranch_execz .LBB9_2
; %bb.1:
	v_mov_b32_e32 v1, 0
	v_mov_b32_e32 v2, s10
	global_store_dword v1, v2, s[2:3]
.LBB9_2:
	s_or_b64 exec, exec, s[0:1]
	v_and_b32_e32 v4, 7, v0
	v_bfe_u32 v10, v0, 3, 2
	v_cmp_gt_i32_e32 vcc, s8, v10
	v_cmp_gt_i32_e64 s[0:1], s9, v4
	s_and_b64 s[0:1], vcc, s[0:1]
	s_and_saveexec_b64 s[14:15], s[0:1]
	s_cbranch_execz .LBB9_15
; %bb.3:
	s_load_dwordx2 s[16:17], s[12:13], 0x0
	s_load_dword s20, s[4:5], 0xc
	s_mul_i32 s21, s9, s8
	v_lshrrev_b32_e32 v5, 5, v0
	v_mov_b32_e32 v6, s3
	s_waitcnt lgkmcnt(0)
	s_sub_i32 s22, s16, s20
	s_sub_i32 s17, s17, s20
	;; [unrolled: 1-line block ×3, first 2 shown]
	s_mul_i32 s1, s25, s9
	s_mul_i32 s0, s22, s21
	v_mul_lo_u32 v0, s1, v10
	v_add_u32_e32 v1, s0, v0
	s_mul_i32 s0, s6, s8
	v_add_u32_e32 v2, s0, v10
	v_ashrrev_i32_e32 v3, 31, v2
	v_lshlrev_b64 v[2:3], 2, v[2:3]
	s_add_i32 s1, s1, s10
	v_add_co_u32_e32 v2, vcc, s2, v2
	v_add_u32_e32 v0, s1, v1
	v_addc_co_u32_e32 v3, vcc, v6, v3, vcc
	global_store_dword v[2:3], v0, off offset:4
	v_add_u32_e32 v0, s22, v5
	v_cmp_gt_i32_e32 vcc, s17, v0
	s_and_b64 exec, exec, vcc
	s_cbranch_execz .LBB9_15
; %bb.4:
	s_load_dwordx2 s[18:19], s[4:5], 0x20
	s_load_dwordx2 s[6:7], s[4:5], 0x38
	s_load_dword s0, s[4:5], 0x0
	s_load_dwordx2 s[12:13], s[4:5], 0x10
	s_load_dwordx2 s[14:15], s[4:5], 0x48
	v_add_u32_e32 v3, s16, v5
	v_subrev_u32_e32 v3, s20, v3
	s_waitcnt lgkmcnt(0)
	s_cmp_eq_u32 s0, 0
	v_mad_u64_u32 v[6:7], s[0:1], v4, s8, v[10:11]
	v_mad_u64_u32 v[8:9], s[0:1], v10, s9, v[4:5]
	s_cselect_b64 vcc, -1, 0
	v_add_u32_e32 v3, 8, v3
	s_not_b32 s0, s16
	v_max_i32_e32 v3, s17, v3
	s_add_i32 s0, s0, s20
	v_add_u32_e32 v3, s0, v3
	v_sub_u32_e32 v7, v3, v5
	s_movk_i32 s0, 0x87
	v_add_u32_e32 v2, s10, v4
	v_cmp_lt_u32_e64 s[0:1], s0, v7
	s_mov_b64 s[2:3], 0
	v_mul_lo_u32 v3, s25, v10
                                        ; implicit-def: $sgpr24
                                        ; implicit-def: $sgpr23
	s_and_saveexec_b64 s[4:5], s[0:1]
	s_xor_b64 s[10:11], exec, s[4:5]
	s_cbranch_execz .LBB9_10
; %bb.5:
	s_lshl_b32 s23, s9, 3
	s_mul_i32 s24, s22, s8
	v_mul_lo_u32 v3, s25, v10
	s_sub_i32 s4, 0, s23
	v_add3_u32 v5, v5, s24, v3
	v_mad_u64_u32 v[10:11], s[0:1], v5, s9, v[4:5]
	s_cmp_lt_i32 s23, 0
	s_cselect_b64 s[0:1], -1, 0
	s_and_b64 s[2:3], s[0:1], exec
	v_lshrrev_b32_e32 v7, 3, v7
	s_cselect_b32 s4, s4, s23
	v_mul_hi_u32 v5, s4, v7
	v_cmp_eq_u32_e64 s[2:3], 0, v5
	v_mul_lo_u32 v5, s4, v7
	v_add_u32_e32 v9, v10, v5
	v_sub_u32_e32 v5, v10, v5
	v_cmp_gt_i32_e64 s[4:5], v5, v10
	v_cndmask_b32_e64 v5, 0, 1, s[4:5]
	v_cmp_lt_i32_e64 s[4:5], v9, v10
	v_cndmask_b32_e64 v9, 0, 1, s[4:5]
	v_cndmask_b32_e64 v5, v9, v5, s[0:1]
	v_and_b32_e32 v5, 1, v5
	v_cmp_eq_u32_e64 s[0:1], 1, v5
	s_xor_b64 s[0:1], s[0:1], -1
	s_mov_b64 s[4:5], -1
	s_and_b64 s[0:1], s[0:1], s[2:3]
	s_and_saveexec_b64 s[2:3], s[0:1]
	s_cbranch_execz .LBB9_9
; %bb.6:
	v_add_u32_e32 v5, 1, v7
	v_add_u32_e32 v10, v1, v4
	v_and_b32_e32 v7, 0x3ffffffe, v5
	v_add_u32_e32 v1, 8, v0
	v_cndmask_b32_e32 v12, v6, v8, vcc
	s_mov_b32 s25, s20
	s_mov_b32 s26, s22
	;; [unrolled: 1-line block ×5, first 2 shown]
	s_mov_b64 s[4:5], 0
	v_mov_b32_e32 v9, s19
	v_mov_b32_e32 v14, v10
	;; [unrolled: 1-line block ×8, first 2 shown]
	v_pk_mov_b32 v[20:21], v[0:1], v[0:1] op_sel:[0,1]
.LBB9_7:                                ; =>This Inner Loop Header: Depth=1
	v_ashrrev_i32_e32 v25, 31, v20
	v_mov_b32_e32 v24, v20
	v_mad_u64_u32 v[26:27], s[0:1], v20, s21, v[12:13]
	v_mad_u64_u32 v[28:29], s[0:1], v21, s29, v[18:19]
	v_lshlrev_b64 v[24:25], 2, v[24:25]
	v_ashrrev_i32_e32 v23, 31, v21
	v_mov_b32_e32 v22, v21
	v_add_co_u32_e64 v24, s[0:1], s18, v24
	v_lshlrev_b64 v[22:23], 2, v[22:23]
	v_addc_co_u32_e64 v25, s[0:1], v9, v25, s[0:1]
	v_ashrrev_i32_e32 v27, 31, v26
	v_add_co_u32_e64 v22, s[0:1], s18, v22
	v_addc_co_u32_e64 v23, s[0:1], v9, v23, s[0:1]
	v_lshlrev_b64 v[26:27], 2, v[26:27]
	v_ashrrev_i32_e32 v29, 31, v28
	global_load_dword v1, v[24:25], off
	global_load_dword v19, v[22:23], off
	v_add_co_u32_e64 v22, s[0:1], s12, v26
	v_lshlrev_b64 v[28:29], 2, v[28:29]
	v_addc_co_u32_e64 v23, s[0:1], v13, v27, s[0:1]
	v_add_co_u32_e64 v24, s[0:1], s12, v28
	v_addc_co_u32_e64 v25, s[0:1], v13, v29, s[0:1]
	global_load_dword v34, v[22:23], off
	global_load_dword v35, v[24:25], off
	v_subrev_u32_e32 v22, s22, v20
	v_subrev_u32_e32 v24, s26, v21
	v_mad_u64_u32 v[22:23], s[0:1], v22, s27, v[10:11]
	v_add_u32_e32 v17, -2, v17
	v_mad_u64_u32 v[24:25], s[0:1], v24, s28, v[14:15]
	v_ashrrev_i32_e32 v23, 31, v22
	v_cmp_eq_u32_e64 s[0:1], 0, v17
	v_lshlrev_b64 v[22:23], 2, v[22:23]
	v_ashrrev_i32_e32 v25, 31, v24
	s_or_b64 s[4:5], s[0:1], s[4:5]
	v_add_co_u32_e64 v26, s[0:1], s14, v22
	v_lshlrev_b64 v[24:25], 2, v[24:25]
	v_addc_co_u32_e64 v27, s[0:1], v11, v23, s[0:1]
	v_add_co_u32_e64 v28, s[0:1], s14, v24
	v_addc_co_u32_e64 v29, s[0:1], v11, v25, s[0:1]
	v_add_co_u32_e64 v22, s[0:1], s6, v22
	v_addc_co_u32_e64 v23, s[0:1], v15, v23, s[0:1]
	v_add_u32_e32 v21, 16, v21
	v_add_u32_e32 v20, 16, v20
	v_add_co_u32_e64 v24, s[0:1], s6, v24
	v_addc_co_u32_e64 v25, s[0:1], v15, v25, s[0:1]
	s_waitcnt vmcnt(3)
	v_subrev_u32_e32 v1, s20, v1
	s_waitcnt vmcnt(2)
	v_subrev_u32_e32 v19, s25, v19
	v_mad_u64_u32 v[30:31], s[0:1], v19, s28, v[16:17]
	v_mad_u64_u32 v[32:33], s[0:1], v1, s27, v[2:3]
	s_waitcnt vmcnt(1)
	global_store_dword v[22:23], v34, off
	s_waitcnt vmcnt(1)
	global_store_dword v[24:25], v35, off
	global_store_dword v[26:27], v32, off
	;; [unrolled: 1-line block ×3, first 2 shown]
	s_andn2_b64 exec, exec, s[4:5]
	s_cbranch_execnz .LBB9_7
; %bb.8:
	s_or_b64 exec, exec, s[4:5]
	v_cmp_ne_u32_e64 s[0:1], v5, v7
	v_lshl_add_u32 v0, v7, 3, v0
	s_orn2_b64 s[4:5], s[0:1], exec
.LBB9_9:
	s_or_b64 exec, exec, s[2:3]
	s_and_b64 s[2:3], s[4:5], exec
.LBB9_10:
	s_or_saveexec_b64 s[0:1], s[10:11]
	v_mov_b32_e32 v1, s24
	v_mov_b32_e32 v10, s23
	s_xor_b64 exec, exec, s[0:1]
; %bb.11:
	s_mul_i32 s4, s8, s22
	s_lshl_b32 s5, s9, 3
	v_mov_b32_e32 v1, s4
	v_mov_b32_e32 v10, s5
	s_or_b64 s[2:3], s[2:3], exec
; %bb.12:
	s_or_b64 exec, exec, s[0:1]
	s_and_b64 exec, exec, s[2:3]
	s_cbranch_execz .LBB9_15
; %bb.13:
	v_cndmask_b32_e32 v6, v6, v8, vcc
	v_mul_lo_u32 v5, v0, s9
	v_mad_u64_u32 v[6:7], s[0:1], v5, s8, v[6:7]
	v_add_u32_e32 v5, s20, v0
	v_add3_u32 v1, v5, v1, v3
	v_subrev_u32_e32 v1, s16, v1
	v_mad_u64_u32 v[4:5], s[0:1], s9, v1, v[4:5]
	v_ashrrev_i32_e32 v1, 31, v0
	v_lshlrev_b64 v[8:9], 2, v[0:1]
	v_mov_b32_e32 v1, s19
	v_add_co_u32_e32 v8, vcc, s18, v8
	s_lshl_b32 s4, s21, 3
	v_addc_co_u32_e32 v9, vcc, v1, v9, vcc
	s_mov_b64 s[2:3], 0
	v_mov_b32_e32 v1, s15
	v_mov_b32_e32 v3, s13
	;; [unrolled: 1-line block ×3, first 2 shown]
.LBB9_14:                               ; =>This Inner Loop Header: Depth=1
	v_ashrrev_i32_e32 v7, 31, v6
	global_load_dword v16, v[8:9], off
	v_lshlrev_b64 v[12:13], 2, v[6:7]
	v_add_co_u32_e32 v12, vcc, s12, v12
	v_addc_co_u32_e32 v13, vcc, v3, v13, vcc
	global_load_dword v7, v[12:13], off
	v_ashrrev_i32_e32 v5, 31, v4
	v_lshlrev_b64 v[12:13], 2, v[4:5]
	v_add_co_u32_e32 v8, vcc, 32, v8
	v_add_co_u32_e64 v14, s[0:1], s14, v12
	v_add_u32_e32 v0, 8, v0
	v_addc_co_u32_e32 v9, vcc, 0, v9, vcc
	v_addc_co_u32_e64 v15, s[0:1], v1, v13, s[0:1]
	v_cmp_le_i32_e32 vcc, s17, v0
	v_add_co_u32_e64 v12, s[0:1], s6, v12
	v_add_u32_e32 v6, s4, v6
	v_add_u32_e32 v4, v4, v10
	v_addc_co_u32_e64 v13, s[0:1], v11, v13, s[0:1]
	s_or_b64 s[2:3], vcc, s[2:3]
	s_waitcnt vmcnt(1)
	v_subrev_u32_e32 v5, s20, v16
	v_mad_u64_u32 v[16:17], s[0:1], v5, s9, v[2:3]
	global_store_dword v[14:15], v16, off
	s_waitcnt vmcnt(1)
	global_store_dword v[12:13], v7, off
	s_andn2_b64 exec, exec, s[2:3]
	s_cbranch_execnz .LBB9_14
.LBB9_15:
	s_endpgm
	.section	.rodata,"a",@progbits
	.p2align	6, 0x0
	.amdhsa_kernel _ZN9rocsparseL35gebsr2csr_block_per_row_1_32_kernelILi256ELi4ELi8EfEEv20rocsparse_direction_ii21rocsparse_index_base_PKT2_PKiS7_iiS2_PS3_PiS9_
		.amdhsa_group_segment_fixed_size 0
		.amdhsa_private_segment_fixed_size 0
		.amdhsa_kernarg_size 80
		.amdhsa_user_sgpr_count 6
		.amdhsa_user_sgpr_private_segment_buffer 1
		.amdhsa_user_sgpr_dispatch_ptr 0
		.amdhsa_user_sgpr_queue_ptr 0
		.amdhsa_user_sgpr_kernarg_segment_ptr 1
		.amdhsa_user_sgpr_dispatch_id 0
		.amdhsa_user_sgpr_flat_scratch_init 0
		.amdhsa_user_sgpr_kernarg_preload_length 0
		.amdhsa_user_sgpr_kernarg_preload_offset 0
		.amdhsa_user_sgpr_private_segment_size 0
		.amdhsa_uses_dynamic_stack 0
		.amdhsa_system_sgpr_private_segment_wavefront_offset 0
		.amdhsa_system_sgpr_workgroup_id_x 1
		.amdhsa_system_sgpr_workgroup_id_y 0
		.amdhsa_system_sgpr_workgroup_id_z 0
		.amdhsa_system_sgpr_workgroup_info 0
		.amdhsa_system_vgpr_workitem_id 0
		.amdhsa_next_free_vgpr 36
		.amdhsa_next_free_sgpr 30
		.amdhsa_accum_offset 36
		.amdhsa_reserve_vcc 1
		.amdhsa_reserve_flat_scratch 0
		.amdhsa_float_round_mode_32 0
		.amdhsa_float_round_mode_16_64 0
		.amdhsa_float_denorm_mode_32 3
		.amdhsa_float_denorm_mode_16_64 3
		.amdhsa_dx10_clamp 1
		.amdhsa_ieee_mode 1
		.amdhsa_fp16_overflow 0
		.amdhsa_tg_split 0
		.amdhsa_exception_fp_ieee_invalid_op 0
		.amdhsa_exception_fp_denorm_src 0
		.amdhsa_exception_fp_ieee_div_zero 0
		.amdhsa_exception_fp_ieee_overflow 0
		.amdhsa_exception_fp_ieee_underflow 0
		.amdhsa_exception_fp_ieee_inexact 0
		.amdhsa_exception_int_div_zero 0
	.end_amdhsa_kernel
	.section	.text._ZN9rocsparseL35gebsr2csr_block_per_row_1_32_kernelILi256ELi4ELi8EfEEv20rocsparse_direction_ii21rocsparse_index_base_PKT2_PKiS7_iiS2_PS3_PiS9_,"axG",@progbits,_ZN9rocsparseL35gebsr2csr_block_per_row_1_32_kernelILi256ELi4ELi8EfEEv20rocsparse_direction_ii21rocsparse_index_base_PKT2_PKiS7_iiS2_PS3_PiS9_,comdat
.Lfunc_end9:
	.size	_ZN9rocsparseL35gebsr2csr_block_per_row_1_32_kernelILi256ELi4ELi8EfEEv20rocsparse_direction_ii21rocsparse_index_base_PKT2_PKiS7_iiS2_PS3_PiS9_, .Lfunc_end9-_ZN9rocsparseL35gebsr2csr_block_per_row_1_32_kernelILi256ELi4ELi8EfEEv20rocsparse_direction_ii21rocsparse_index_base_PKT2_PKiS7_iiS2_PS3_PiS9_
                                        ; -- End function
	.section	.AMDGPU.csdata,"",@progbits
; Kernel info:
; codeLenInByte = 1336
; NumSgprs: 34
; NumVgprs: 36
; NumAgprs: 0
; TotalNumVgprs: 36
; ScratchSize: 0
; MemoryBound: 0
; FloatMode: 240
; IeeeMode: 1
; LDSByteSize: 0 bytes/workgroup (compile time only)
; SGPRBlocks: 4
; VGPRBlocks: 4
; NumSGPRsForWavesPerEU: 34
; NumVGPRsForWavesPerEU: 36
; AccumOffset: 36
; Occupancy: 8
; WaveLimiterHint : 0
; COMPUTE_PGM_RSRC2:SCRATCH_EN: 0
; COMPUTE_PGM_RSRC2:USER_SGPR: 6
; COMPUTE_PGM_RSRC2:TRAP_HANDLER: 0
; COMPUTE_PGM_RSRC2:TGID_X_EN: 1
; COMPUTE_PGM_RSRC2:TGID_Y_EN: 0
; COMPUTE_PGM_RSRC2:TGID_Z_EN: 0
; COMPUTE_PGM_RSRC2:TIDIG_COMP_CNT: 0
; COMPUTE_PGM_RSRC3_GFX90A:ACCUM_OFFSET: 8
; COMPUTE_PGM_RSRC3_GFX90A:TG_SPLIT: 0
	.section	.text._ZN9rocsparseL35gebsr2csr_block_per_row_1_32_kernelILi1024ELi4ELi16EfEEv20rocsparse_direction_ii21rocsparse_index_base_PKT2_PKiS7_iiS2_PS3_PiS9_,"axG",@progbits,_ZN9rocsparseL35gebsr2csr_block_per_row_1_32_kernelILi1024ELi4ELi16EfEEv20rocsparse_direction_ii21rocsparse_index_base_PKT2_PKiS7_iiS2_PS3_PiS9_,comdat
	.globl	_ZN9rocsparseL35gebsr2csr_block_per_row_1_32_kernelILi1024ELi4ELi16EfEEv20rocsparse_direction_ii21rocsparse_index_base_PKT2_PKiS7_iiS2_PS3_PiS9_ ; -- Begin function _ZN9rocsparseL35gebsr2csr_block_per_row_1_32_kernelILi1024ELi4ELi16EfEEv20rocsparse_direction_ii21rocsparse_index_base_PKT2_PKiS7_iiS2_PS3_PiS9_
	.p2align	8
	.type	_ZN9rocsparseL35gebsr2csr_block_per_row_1_32_kernelILi1024ELi4ELi16EfEEv20rocsparse_direction_ii21rocsparse_index_base_PKT2_PKiS7_iiS2_PS3_PiS9_,@function
_ZN9rocsparseL35gebsr2csr_block_per_row_1_32_kernelILi1024ELi4ELi16EfEEv20rocsparse_direction_ii21rocsparse_index_base_PKT2_PKiS7_iiS2_PS3_PiS9_: ; @_ZN9rocsparseL35gebsr2csr_block_per_row_1_32_kernelILi1024ELi4ELi16EfEEv20rocsparse_direction_ii21rocsparse_index_base_PKT2_PKiS7_iiS2_PS3_PiS9_
; %bb.0:
	s_load_dwordx2 s[0:1], s[4:5], 0x18
	s_load_dwordx4 s[8:11], s[4:5], 0x28
	s_load_dwordx2 s[2:3], s[4:5], 0x40
	s_ashr_i32 s7, s6, 31
	s_lshl_b64 s[12:13], s[6:7], 2
	s_waitcnt lgkmcnt(0)
	s_add_u32 s12, s0, s12
	v_or_b32_e32 v1, s6, v0
	s_addc_u32 s13, s1, s13
	v_cmp_eq_u32_e32 vcc, 0, v1
	s_and_saveexec_b64 s[0:1], vcc
	s_cbranch_execz .LBB10_2
; %bb.1:
	v_mov_b32_e32 v1, 0
	v_mov_b32_e32 v2, s10
	global_store_dword v1, v2, s[2:3]
.LBB10_2:
	s_or_b64 exec, exec, s[0:1]
	v_and_b32_e32 v4, 15, v0
	v_bfe_u32 v10, v0, 4, 2
	v_cmp_gt_i32_e32 vcc, s8, v10
	v_cmp_gt_i32_e64 s[0:1], s9, v4
	s_and_b64 s[0:1], vcc, s[0:1]
	s_and_saveexec_b64 s[14:15], s[0:1]
	s_cbranch_execz .LBB10_15
; %bb.3:
	s_load_dwordx2 s[16:17], s[12:13], 0x0
	s_load_dword s20, s[4:5], 0xc
	s_mul_i32 s21, s9, s8
	v_lshrrev_b32_e32 v5, 6, v0
	v_mov_b32_e32 v6, s3
	s_waitcnt lgkmcnt(0)
	s_sub_i32 s22, s16, s20
	s_sub_i32 s17, s17, s20
	;; [unrolled: 1-line block ×3, first 2 shown]
	s_mul_i32 s1, s25, s9
	s_mul_i32 s0, s22, s21
	v_mul_lo_u32 v0, s1, v10
	v_add_u32_e32 v1, s0, v0
	s_mul_i32 s0, s6, s8
	v_add_u32_e32 v2, s0, v10
	v_ashrrev_i32_e32 v3, 31, v2
	v_lshlrev_b64 v[2:3], 2, v[2:3]
	s_add_i32 s1, s1, s10
	v_add_co_u32_e32 v2, vcc, s2, v2
	v_add_u32_e32 v0, s1, v1
	v_addc_co_u32_e32 v3, vcc, v6, v3, vcc
	global_store_dword v[2:3], v0, off offset:4
	v_add_u32_e32 v0, s22, v5
	v_cmp_gt_i32_e32 vcc, s17, v0
	s_and_b64 exec, exec, vcc
	s_cbranch_execz .LBB10_15
; %bb.4:
	s_load_dwordx2 s[18:19], s[4:5], 0x20
	s_load_dwordx2 s[6:7], s[4:5], 0x38
	s_load_dword s0, s[4:5], 0x0
	s_load_dwordx2 s[12:13], s[4:5], 0x10
	s_load_dwordx2 s[14:15], s[4:5], 0x48
	v_add_u32_e32 v3, s16, v5
	v_subrev_u32_e32 v3, s20, v3
	s_waitcnt lgkmcnt(0)
	s_cmp_eq_u32 s0, 0
	v_mad_u64_u32 v[6:7], s[0:1], v4, s8, v[10:11]
	v_mad_u64_u32 v[8:9], s[0:1], v10, s9, v[4:5]
	s_cselect_b64 vcc, -1, 0
	v_add_u32_e32 v3, 16, v3
	s_not_b32 s0, s16
	v_max_i32_e32 v3, s17, v3
	s_add_i32 s0, s0, s20
	v_add_u32_e32 v3, s0, v3
	v_sub_u32_e32 v7, v3, v5
	s_movk_i32 s0, 0x10f
	v_add_u32_e32 v2, s10, v4
	v_cmp_lt_u32_e64 s[0:1], s0, v7
	s_mov_b64 s[2:3], 0
	v_mul_lo_u32 v3, s25, v10
                                        ; implicit-def: $sgpr24
                                        ; implicit-def: $sgpr23
	s_and_saveexec_b64 s[4:5], s[0:1]
	s_xor_b64 s[10:11], exec, s[4:5]
	s_cbranch_execz .LBB10_10
; %bb.5:
	s_lshl_b32 s23, s9, 4
	s_mul_i32 s24, s22, s8
	v_mul_lo_u32 v3, s25, v10
	s_sub_i32 s4, 0, s23
	v_add3_u32 v5, v5, s24, v3
	v_mad_u64_u32 v[10:11], s[0:1], v5, s9, v[4:5]
	s_cmp_lt_i32 s23, 0
	s_cselect_b64 s[0:1], -1, 0
	s_and_b64 s[2:3], s[0:1], exec
	v_lshrrev_b32_e32 v7, 4, v7
	s_cselect_b32 s4, s4, s23
	v_mul_hi_u32 v5, s4, v7
	v_cmp_eq_u32_e64 s[2:3], 0, v5
	v_mul_lo_u32 v5, s4, v7
	v_add_u32_e32 v9, v10, v5
	v_sub_u32_e32 v5, v10, v5
	v_cmp_gt_i32_e64 s[4:5], v5, v10
	v_cndmask_b32_e64 v5, 0, 1, s[4:5]
	v_cmp_lt_i32_e64 s[4:5], v9, v10
	v_cndmask_b32_e64 v9, 0, 1, s[4:5]
	v_cndmask_b32_e64 v5, v9, v5, s[0:1]
	v_and_b32_e32 v5, 1, v5
	v_cmp_eq_u32_e64 s[0:1], 1, v5
	s_xor_b64 s[0:1], s[0:1], -1
	s_mov_b64 s[4:5], -1
	s_and_b64 s[0:1], s[0:1], s[2:3]
	s_and_saveexec_b64 s[2:3], s[0:1]
	s_cbranch_execz .LBB10_9
; %bb.6:
	v_add_u32_e32 v5, 1, v7
	v_add_u32_e32 v10, v1, v4
	v_and_b32_e32 v7, 0x1ffffffe, v5
	v_add_u32_e32 v1, 16, v0
	v_cndmask_b32_e32 v12, v6, v8, vcc
	s_mov_b32 s25, s20
	s_mov_b32 s26, s22
	;; [unrolled: 1-line block ×5, first 2 shown]
	s_mov_b64 s[4:5], 0
	v_mov_b32_e32 v9, s19
	v_mov_b32_e32 v14, v10
	;; [unrolled: 1-line block ×8, first 2 shown]
	v_pk_mov_b32 v[20:21], v[0:1], v[0:1] op_sel:[0,1]
.LBB10_7:                               ; =>This Inner Loop Header: Depth=1
	v_ashrrev_i32_e32 v25, 31, v20
	v_mov_b32_e32 v24, v20
	v_mad_u64_u32 v[26:27], s[0:1], v20, s21, v[12:13]
	v_mad_u64_u32 v[28:29], s[0:1], v21, s29, v[18:19]
	v_lshlrev_b64 v[24:25], 2, v[24:25]
	v_ashrrev_i32_e32 v23, 31, v21
	v_mov_b32_e32 v22, v21
	v_add_co_u32_e64 v24, s[0:1], s18, v24
	v_lshlrev_b64 v[22:23], 2, v[22:23]
	v_addc_co_u32_e64 v25, s[0:1], v9, v25, s[0:1]
	v_ashrrev_i32_e32 v27, 31, v26
	v_add_co_u32_e64 v22, s[0:1], s18, v22
	v_addc_co_u32_e64 v23, s[0:1], v9, v23, s[0:1]
	v_lshlrev_b64 v[26:27], 2, v[26:27]
	v_ashrrev_i32_e32 v29, 31, v28
	global_load_dword v1, v[24:25], off
	global_load_dword v19, v[22:23], off
	v_add_co_u32_e64 v22, s[0:1], s12, v26
	v_lshlrev_b64 v[28:29], 2, v[28:29]
	v_addc_co_u32_e64 v23, s[0:1], v13, v27, s[0:1]
	v_add_co_u32_e64 v24, s[0:1], s12, v28
	v_addc_co_u32_e64 v25, s[0:1], v13, v29, s[0:1]
	global_load_dword v34, v[22:23], off
	global_load_dword v35, v[24:25], off
	v_subrev_u32_e32 v22, s22, v20
	v_subrev_u32_e32 v24, s26, v21
	v_mad_u64_u32 v[22:23], s[0:1], v22, s27, v[10:11]
	v_add_u32_e32 v17, -2, v17
	v_mad_u64_u32 v[24:25], s[0:1], v24, s28, v[14:15]
	v_ashrrev_i32_e32 v23, 31, v22
	v_cmp_eq_u32_e64 s[0:1], 0, v17
	v_lshlrev_b64 v[22:23], 2, v[22:23]
	v_ashrrev_i32_e32 v25, 31, v24
	s_or_b64 s[4:5], s[0:1], s[4:5]
	v_add_co_u32_e64 v26, s[0:1], s14, v22
	v_lshlrev_b64 v[24:25], 2, v[24:25]
	v_addc_co_u32_e64 v27, s[0:1], v11, v23, s[0:1]
	v_add_co_u32_e64 v28, s[0:1], s14, v24
	v_addc_co_u32_e64 v29, s[0:1], v11, v25, s[0:1]
	v_add_co_u32_e64 v22, s[0:1], s6, v22
	v_addc_co_u32_e64 v23, s[0:1], v15, v23, s[0:1]
	v_add_u32_e32 v21, 32, v21
	v_add_u32_e32 v20, 32, v20
	v_add_co_u32_e64 v24, s[0:1], s6, v24
	v_addc_co_u32_e64 v25, s[0:1], v15, v25, s[0:1]
	s_waitcnt vmcnt(3)
	v_subrev_u32_e32 v1, s20, v1
	s_waitcnt vmcnt(2)
	v_subrev_u32_e32 v19, s25, v19
	v_mad_u64_u32 v[30:31], s[0:1], v19, s28, v[16:17]
	v_mad_u64_u32 v[32:33], s[0:1], v1, s27, v[2:3]
	s_waitcnt vmcnt(1)
	global_store_dword v[22:23], v34, off
	s_waitcnt vmcnt(1)
	global_store_dword v[24:25], v35, off
	global_store_dword v[26:27], v32, off
	;; [unrolled: 1-line block ×3, first 2 shown]
	s_andn2_b64 exec, exec, s[4:5]
	s_cbranch_execnz .LBB10_7
; %bb.8:
	s_or_b64 exec, exec, s[4:5]
	v_cmp_ne_u32_e64 s[0:1], v5, v7
	v_lshl_add_u32 v0, v7, 4, v0
	s_orn2_b64 s[4:5], s[0:1], exec
.LBB10_9:
	s_or_b64 exec, exec, s[2:3]
	s_and_b64 s[2:3], s[4:5], exec
.LBB10_10:
	s_or_saveexec_b64 s[0:1], s[10:11]
	v_mov_b32_e32 v1, s24
	v_mov_b32_e32 v10, s23
	s_xor_b64 exec, exec, s[0:1]
; %bb.11:
	s_mul_i32 s4, s8, s22
	s_lshl_b32 s5, s9, 4
	v_mov_b32_e32 v1, s4
	v_mov_b32_e32 v10, s5
	s_or_b64 s[2:3], s[2:3], exec
; %bb.12:
	s_or_b64 exec, exec, s[0:1]
	s_and_b64 exec, exec, s[2:3]
	s_cbranch_execz .LBB10_15
; %bb.13:
	v_cndmask_b32_e32 v6, v6, v8, vcc
	v_mul_lo_u32 v5, v0, s9
	v_mad_u64_u32 v[6:7], s[0:1], v5, s8, v[6:7]
	v_add_u32_e32 v5, s20, v0
	v_add3_u32 v1, v5, v1, v3
	v_subrev_u32_e32 v1, s16, v1
	v_mad_u64_u32 v[4:5], s[0:1], s9, v1, v[4:5]
	v_ashrrev_i32_e32 v1, 31, v0
	v_lshlrev_b64 v[8:9], 2, v[0:1]
	v_mov_b32_e32 v1, s19
	v_add_co_u32_e32 v8, vcc, s18, v8
	s_lshl_b32 s4, s21, 4
	v_addc_co_u32_e32 v9, vcc, v1, v9, vcc
	s_mov_b64 s[2:3], 0
	v_mov_b32_e32 v1, s15
	v_mov_b32_e32 v3, s13
	;; [unrolled: 1-line block ×3, first 2 shown]
.LBB10_14:                              ; =>This Inner Loop Header: Depth=1
	v_ashrrev_i32_e32 v7, 31, v6
	global_load_dword v16, v[8:9], off
	v_lshlrev_b64 v[12:13], 2, v[6:7]
	v_add_co_u32_e32 v12, vcc, s12, v12
	v_addc_co_u32_e32 v13, vcc, v3, v13, vcc
	global_load_dword v7, v[12:13], off
	v_ashrrev_i32_e32 v5, 31, v4
	v_lshlrev_b64 v[12:13], 2, v[4:5]
	v_add_co_u32_e32 v8, vcc, 64, v8
	v_add_co_u32_e64 v14, s[0:1], s14, v12
	v_add_u32_e32 v0, 16, v0
	v_addc_co_u32_e32 v9, vcc, 0, v9, vcc
	v_addc_co_u32_e64 v15, s[0:1], v1, v13, s[0:1]
	v_cmp_le_i32_e32 vcc, s17, v0
	v_add_co_u32_e64 v12, s[0:1], s6, v12
	v_add_u32_e32 v6, s4, v6
	v_add_u32_e32 v4, v4, v10
	v_addc_co_u32_e64 v13, s[0:1], v11, v13, s[0:1]
	s_or_b64 s[2:3], vcc, s[2:3]
	s_waitcnt vmcnt(1)
	v_subrev_u32_e32 v5, s20, v16
	v_mad_u64_u32 v[16:17], s[0:1], v5, s9, v[2:3]
	global_store_dword v[14:15], v16, off
	s_waitcnt vmcnt(1)
	global_store_dword v[12:13], v7, off
	s_andn2_b64 exec, exec, s[2:3]
	s_cbranch_execnz .LBB10_14
.LBB10_15:
	s_endpgm
	.section	.rodata,"a",@progbits
	.p2align	6, 0x0
	.amdhsa_kernel _ZN9rocsparseL35gebsr2csr_block_per_row_1_32_kernelILi1024ELi4ELi16EfEEv20rocsparse_direction_ii21rocsparse_index_base_PKT2_PKiS7_iiS2_PS3_PiS9_
		.amdhsa_group_segment_fixed_size 0
		.amdhsa_private_segment_fixed_size 0
		.amdhsa_kernarg_size 80
		.amdhsa_user_sgpr_count 6
		.amdhsa_user_sgpr_private_segment_buffer 1
		.amdhsa_user_sgpr_dispatch_ptr 0
		.amdhsa_user_sgpr_queue_ptr 0
		.amdhsa_user_sgpr_kernarg_segment_ptr 1
		.amdhsa_user_sgpr_dispatch_id 0
		.amdhsa_user_sgpr_flat_scratch_init 0
		.amdhsa_user_sgpr_kernarg_preload_length 0
		.amdhsa_user_sgpr_kernarg_preload_offset 0
		.amdhsa_user_sgpr_private_segment_size 0
		.amdhsa_uses_dynamic_stack 0
		.amdhsa_system_sgpr_private_segment_wavefront_offset 0
		.amdhsa_system_sgpr_workgroup_id_x 1
		.amdhsa_system_sgpr_workgroup_id_y 0
		.amdhsa_system_sgpr_workgroup_id_z 0
		.amdhsa_system_sgpr_workgroup_info 0
		.amdhsa_system_vgpr_workitem_id 0
		.amdhsa_next_free_vgpr 36
		.amdhsa_next_free_sgpr 30
		.amdhsa_accum_offset 36
		.amdhsa_reserve_vcc 1
		.amdhsa_reserve_flat_scratch 0
		.amdhsa_float_round_mode_32 0
		.amdhsa_float_round_mode_16_64 0
		.amdhsa_float_denorm_mode_32 3
		.amdhsa_float_denorm_mode_16_64 3
		.amdhsa_dx10_clamp 1
		.amdhsa_ieee_mode 1
		.amdhsa_fp16_overflow 0
		.amdhsa_tg_split 0
		.amdhsa_exception_fp_ieee_invalid_op 0
		.amdhsa_exception_fp_denorm_src 0
		.amdhsa_exception_fp_ieee_div_zero 0
		.amdhsa_exception_fp_ieee_overflow 0
		.amdhsa_exception_fp_ieee_underflow 0
		.amdhsa_exception_fp_ieee_inexact 0
		.amdhsa_exception_int_div_zero 0
	.end_amdhsa_kernel
	.section	.text._ZN9rocsparseL35gebsr2csr_block_per_row_1_32_kernelILi1024ELi4ELi16EfEEv20rocsparse_direction_ii21rocsparse_index_base_PKT2_PKiS7_iiS2_PS3_PiS9_,"axG",@progbits,_ZN9rocsparseL35gebsr2csr_block_per_row_1_32_kernelILi1024ELi4ELi16EfEEv20rocsparse_direction_ii21rocsparse_index_base_PKT2_PKiS7_iiS2_PS3_PiS9_,comdat
.Lfunc_end10:
	.size	_ZN9rocsparseL35gebsr2csr_block_per_row_1_32_kernelILi1024ELi4ELi16EfEEv20rocsparse_direction_ii21rocsparse_index_base_PKT2_PKiS7_iiS2_PS3_PiS9_, .Lfunc_end10-_ZN9rocsparseL35gebsr2csr_block_per_row_1_32_kernelILi1024ELi4ELi16EfEEv20rocsparse_direction_ii21rocsparse_index_base_PKT2_PKiS7_iiS2_PS3_PiS9_
                                        ; -- End function
	.section	.AMDGPU.csdata,"",@progbits
; Kernel info:
; codeLenInByte = 1336
; NumSgprs: 34
; NumVgprs: 36
; NumAgprs: 0
; TotalNumVgprs: 36
; ScratchSize: 0
; MemoryBound: 0
; FloatMode: 240
; IeeeMode: 1
; LDSByteSize: 0 bytes/workgroup (compile time only)
; SGPRBlocks: 4
; VGPRBlocks: 4
; NumSGPRsForWavesPerEU: 34
; NumVGPRsForWavesPerEU: 36
; AccumOffset: 36
; Occupancy: 8
; WaveLimiterHint : 0
; COMPUTE_PGM_RSRC2:SCRATCH_EN: 0
; COMPUTE_PGM_RSRC2:USER_SGPR: 6
; COMPUTE_PGM_RSRC2:TRAP_HANDLER: 0
; COMPUTE_PGM_RSRC2:TGID_X_EN: 1
; COMPUTE_PGM_RSRC2:TGID_Y_EN: 0
; COMPUTE_PGM_RSRC2:TGID_Z_EN: 0
; COMPUTE_PGM_RSRC2:TIDIG_COMP_CNT: 0
; COMPUTE_PGM_RSRC3_GFX90A:ACCUM_OFFSET: 8
; COMPUTE_PGM_RSRC3_GFX90A:TG_SPLIT: 0
	.section	.text._ZN9rocsparseL35gebsr2csr_block_per_row_1_32_kernelILi1024ELi4ELi32EfEEv20rocsparse_direction_ii21rocsparse_index_base_PKT2_PKiS7_iiS2_PS3_PiS9_,"axG",@progbits,_ZN9rocsparseL35gebsr2csr_block_per_row_1_32_kernelILi1024ELi4ELi32EfEEv20rocsparse_direction_ii21rocsparse_index_base_PKT2_PKiS7_iiS2_PS3_PiS9_,comdat
	.globl	_ZN9rocsparseL35gebsr2csr_block_per_row_1_32_kernelILi1024ELi4ELi32EfEEv20rocsparse_direction_ii21rocsparse_index_base_PKT2_PKiS7_iiS2_PS3_PiS9_ ; -- Begin function _ZN9rocsparseL35gebsr2csr_block_per_row_1_32_kernelILi1024ELi4ELi32EfEEv20rocsparse_direction_ii21rocsparse_index_base_PKT2_PKiS7_iiS2_PS3_PiS9_
	.p2align	8
	.type	_ZN9rocsparseL35gebsr2csr_block_per_row_1_32_kernelILi1024ELi4ELi32EfEEv20rocsparse_direction_ii21rocsparse_index_base_PKT2_PKiS7_iiS2_PS3_PiS9_,@function
_ZN9rocsparseL35gebsr2csr_block_per_row_1_32_kernelILi1024ELi4ELi32EfEEv20rocsparse_direction_ii21rocsparse_index_base_PKT2_PKiS7_iiS2_PS3_PiS9_: ; @_ZN9rocsparseL35gebsr2csr_block_per_row_1_32_kernelILi1024ELi4ELi32EfEEv20rocsparse_direction_ii21rocsparse_index_base_PKT2_PKiS7_iiS2_PS3_PiS9_
; %bb.0:
	s_load_dwordx2 s[0:1], s[4:5], 0x18
	s_load_dwordx4 s[8:11], s[4:5], 0x28
	s_load_dwordx2 s[2:3], s[4:5], 0x40
	s_ashr_i32 s7, s6, 31
	s_lshl_b64 s[12:13], s[6:7], 2
	s_waitcnt lgkmcnt(0)
	s_add_u32 s12, s0, s12
	v_or_b32_e32 v1, s6, v0
	s_addc_u32 s13, s1, s13
	v_cmp_eq_u32_e32 vcc, 0, v1
	s_and_saveexec_b64 s[0:1], vcc
	s_cbranch_execz .LBB11_2
; %bb.1:
	v_mov_b32_e32 v1, 0
	v_mov_b32_e32 v2, s10
	global_store_dword v1, v2, s[2:3]
.LBB11_2:
	s_or_b64 exec, exec, s[0:1]
	v_and_b32_e32 v4, 31, v0
	v_bfe_u32 v10, v0, 5, 2
	v_cmp_gt_i32_e32 vcc, s8, v10
	v_cmp_gt_i32_e64 s[0:1], s9, v4
	s_and_b64 s[0:1], vcc, s[0:1]
	s_and_saveexec_b64 s[14:15], s[0:1]
	s_cbranch_execz .LBB11_15
; %bb.3:
	s_load_dwordx2 s[16:17], s[12:13], 0x0
	s_load_dword s20, s[4:5], 0xc
	s_mul_i32 s21, s9, s8
	v_lshrrev_b32_e32 v5, 7, v0
	v_mov_b32_e32 v6, s3
	s_waitcnt lgkmcnt(0)
	s_sub_i32 s22, s16, s20
	s_sub_i32 s17, s17, s20
	;; [unrolled: 1-line block ×3, first 2 shown]
	s_mul_i32 s1, s25, s9
	s_mul_i32 s0, s22, s21
	v_mul_lo_u32 v0, s1, v10
	v_add_u32_e32 v1, s0, v0
	s_mul_i32 s0, s6, s8
	v_add_u32_e32 v2, s0, v10
	v_ashrrev_i32_e32 v3, 31, v2
	v_lshlrev_b64 v[2:3], 2, v[2:3]
	s_add_i32 s1, s1, s10
	v_add_co_u32_e32 v2, vcc, s2, v2
	v_add_u32_e32 v0, s1, v1
	v_addc_co_u32_e32 v3, vcc, v6, v3, vcc
	global_store_dword v[2:3], v0, off offset:4
	v_add_u32_e32 v0, s22, v5
	v_cmp_gt_i32_e32 vcc, s17, v0
	s_and_b64 exec, exec, vcc
	s_cbranch_execz .LBB11_15
; %bb.4:
	s_load_dwordx2 s[18:19], s[4:5], 0x20
	s_load_dwordx2 s[6:7], s[4:5], 0x38
	s_load_dword s0, s[4:5], 0x0
	s_load_dwordx2 s[12:13], s[4:5], 0x10
	s_load_dwordx2 s[14:15], s[4:5], 0x48
	v_add_u32_e32 v3, s16, v5
	v_subrev_u32_e32 v3, s20, v3
	s_waitcnt lgkmcnt(0)
	s_cmp_eq_u32 s0, 0
	v_mad_u64_u32 v[6:7], s[0:1], v4, s8, v[10:11]
	v_mad_u64_u32 v[8:9], s[0:1], v10, s9, v[4:5]
	s_cselect_b64 vcc, -1, 0
	v_add_u32_e32 v3, 8, v3
	s_not_b32 s0, s16
	v_max_i32_e32 v3, s17, v3
	s_add_i32 s0, s0, s20
	v_add_u32_e32 v3, s0, v3
	v_sub_u32_e32 v7, v3, v5
	s_movk_i32 s0, 0x87
	v_add_u32_e32 v2, s10, v4
	v_cmp_lt_u32_e64 s[0:1], s0, v7
	s_mov_b64 s[2:3], 0
	v_mul_lo_u32 v3, s25, v10
                                        ; implicit-def: $sgpr24
                                        ; implicit-def: $sgpr23
	s_and_saveexec_b64 s[4:5], s[0:1]
	s_xor_b64 s[10:11], exec, s[4:5]
	s_cbranch_execz .LBB11_10
; %bb.5:
	s_lshl_b32 s23, s9, 3
	s_mul_i32 s24, s22, s8
	v_mul_lo_u32 v3, s25, v10
	s_sub_i32 s4, 0, s23
	v_add3_u32 v5, v5, s24, v3
	v_mad_u64_u32 v[10:11], s[0:1], v5, s9, v[4:5]
	s_cmp_lt_i32 s23, 0
	s_cselect_b64 s[0:1], -1, 0
	s_and_b64 s[2:3], s[0:1], exec
	v_lshrrev_b32_e32 v7, 3, v7
	s_cselect_b32 s4, s4, s23
	v_mul_hi_u32 v5, s4, v7
	v_cmp_eq_u32_e64 s[2:3], 0, v5
	v_mul_lo_u32 v5, s4, v7
	v_add_u32_e32 v9, v10, v5
	v_sub_u32_e32 v5, v10, v5
	v_cmp_gt_i32_e64 s[4:5], v5, v10
	v_cndmask_b32_e64 v5, 0, 1, s[4:5]
	v_cmp_lt_i32_e64 s[4:5], v9, v10
	v_cndmask_b32_e64 v9, 0, 1, s[4:5]
	v_cndmask_b32_e64 v5, v9, v5, s[0:1]
	v_and_b32_e32 v5, 1, v5
	v_cmp_eq_u32_e64 s[0:1], 1, v5
	s_xor_b64 s[0:1], s[0:1], -1
	s_mov_b64 s[4:5], -1
	s_and_b64 s[0:1], s[0:1], s[2:3]
	s_and_saveexec_b64 s[2:3], s[0:1]
	s_cbranch_execz .LBB11_9
; %bb.6:
	v_add_u32_e32 v5, 1, v7
	v_add_u32_e32 v10, v1, v4
	v_and_b32_e32 v7, 0x3ffffffe, v5
	v_add_u32_e32 v1, 8, v0
	v_cndmask_b32_e32 v12, v6, v8, vcc
	s_mov_b32 s25, s20
	s_mov_b32 s26, s22
	;; [unrolled: 1-line block ×5, first 2 shown]
	s_mov_b64 s[4:5], 0
	v_mov_b32_e32 v9, s19
	v_mov_b32_e32 v14, v10
	;; [unrolled: 1-line block ×8, first 2 shown]
	v_pk_mov_b32 v[20:21], v[0:1], v[0:1] op_sel:[0,1]
.LBB11_7:                               ; =>This Inner Loop Header: Depth=1
	v_ashrrev_i32_e32 v25, 31, v20
	v_mov_b32_e32 v24, v20
	v_mad_u64_u32 v[26:27], s[0:1], v20, s21, v[12:13]
	v_mad_u64_u32 v[28:29], s[0:1], v21, s29, v[18:19]
	v_lshlrev_b64 v[24:25], 2, v[24:25]
	v_ashrrev_i32_e32 v23, 31, v21
	v_mov_b32_e32 v22, v21
	v_add_co_u32_e64 v24, s[0:1], s18, v24
	v_lshlrev_b64 v[22:23], 2, v[22:23]
	v_addc_co_u32_e64 v25, s[0:1], v9, v25, s[0:1]
	v_ashrrev_i32_e32 v27, 31, v26
	v_add_co_u32_e64 v22, s[0:1], s18, v22
	v_addc_co_u32_e64 v23, s[0:1], v9, v23, s[0:1]
	v_lshlrev_b64 v[26:27], 2, v[26:27]
	v_ashrrev_i32_e32 v29, 31, v28
	global_load_dword v1, v[24:25], off
	global_load_dword v19, v[22:23], off
	v_add_co_u32_e64 v22, s[0:1], s12, v26
	v_lshlrev_b64 v[28:29], 2, v[28:29]
	v_addc_co_u32_e64 v23, s[0:1], v13, v27, s[0:1]
	v_add_co_u32_e64 v24, s[0:1], s12, v28
	v_addc_co_u32_e64 v25, s[0:1], v13, v29, s[0:1]
	global_load_dword v34, v[22:23], off
	global_load_dword v35, v[24:25], off
	v_subrev_u32_e32 v22, s22, v20
	v_subrev_u32_e32 v24, s26, v21
	v_mad_u64_u32 v[22:23], s[0:1], v22, s27, v[10:11]
	v_add_u32_e32 v17, -2, v17
	v_mad_u64_u32 v[24:25], s[0:1], v24, s28, v[14:15]
	v_ashrrev_i32_e32 v23, 31, v22
	v_cmp_eq_u32_e64 s[0:1], 0, v17
	v_lshlrev_b64 v[22:23], 2, v[22:23]
	v_ashrrev_i32_e32 v25, 31, v24
	s_or_b64 s[4:5], s[0:1], s[4:5]
	v_add_co_u32_e64 v26, s[0:1], s14, v22
	v_lshlrev_b64 v[24:25], 2, v[24:25]
	v_addc_co_u32_e64 v27, s[0:1], v11, v23, s[0:1]
	v_add_co_u32_e64 v28, s[0:1], s14, v24
	v_addc_co_u32_e64 v29, s[0:1], v11, v25, s[0:1]
	v_add_co_u32_e64 v22, s[0:1], s6, v22
	v_addc_co_u32_e64 v23, s[0:1], v15, v23, s[0:1]
	v_add_u32_e32 v21, 16, v21
	v_add_u32_e32 v20, 16, v20
	v_add_co_u32_e64 v24, s[0:1], s6, v24
	v_addc_co_u32_e64 v25, s[0:1], v15, v25, s[0:1]
	s_waitcnt vmcnt(3)
	v_subrev_u32_e32 v1, s20, v1
	s_waitcnt vmcnt(2)
	v_subrev_u32_e32 v19, s25, v19
	v_mad_u64_u32 v[30:31], s[0:1], v19, s28, v[16:17]
	v_mad_u64_u32 v[32:33], s[0:1], v1, s27, v[2:3]
	s_waitcnt vmcnt(1)
	global_store_dword v[22:23], v34, off
	s_waitcnt vmcnt(1)
	global_store_dword v[24:25], v35, off
	global_store_dword v[26:27], v32, off
	;; [unrolled: 1-line block ×3, first 2 shown]
	s_andn2_b64 exec, exec, s[4:5]
	s_cbranch_execnz .LBB11_7
; %bb.8:
	s_or_b64 exec, exec, s[4:5]
	v_cmp_ne_u32_e64 s[0:1], v5, v7
	v_lshl_add_u32 v0, v7, 3, v0
	s_orn2_b64 s[4:5], s[0:1], exec
.LBB11_9:
	s_or_b64 exec, exec, s[2:3]
	s_and_b64 s[2:3], s[4:5], exec
.LBB11_10:
	s_or_saveexec_b64 s[0:1], s[10:11]
	v_mov_b32_e32 v1, s24
	v_mov_b32_e32 v10, s23
	s_xor_b64 exec, exec, s[0:1]
; %bb.11:
	s_mul_i32 s4, s8, s22
	s_lshl_b32 s5, s9, 3
	v_mov_b32_e32 v1, s4
	v_mov_b32_e32 v10, s5
	s_or_b64 s[2:3], s[2:3], exec
; %bb.12:
	s_or_b64 exec, exec, s[0:1]
	s_and_b64 exec, exec, s[2:3]
	s_cbranch_execz .LBB11_15
; %bb.13:
	v_cndmask_b32_e32 v6, v6, v8, vcc
	v_mul_lo_u32 v5, v0, s9
	v_mad_u64_u32 v[6:7], s[0:1], v5, s8, v[6:7]
	v_add_u32_e32 v5, s20, v0
	v_add3_u32 v1, v5, v1, v3
	v_subrev_u32_e32 v1, s16, v1
	v_mad_u64_u32 v[4:5], s[0:1], s9, v1, v[4:5]
	v_ashrrev_i32_e32 v1, 31, v0
	v_lshlrev_b64 v[8:9], 2, v[0:1]
	v_mov_b32_e32 v1, s19
	v_add_co_u32_e32 v8, vcc, s18, v8
	s_lshl_b32 s4, s21, 3
	v_addc_co_u32_e32 v9, vcc, v1, v9, vcc
	s_mov_b64 s[2:3], 0
	v_mov_b32_e32 v1, s15
	v_mov_b32_e32 v3, s13
	;; [unrolled: 1-line block ×3, first 2 shown]
.LBB11_14:                              ; =>This Inner Loop Header: Depth=1
	v_ashrrev_i32_e32 v7, 31, v6
	global_load_dword v16, v[8:9], off
	v_lshlrev_b64 v[12:13], 2, v[6:7]
	v_add_co_u32_e32 v12, vcc, s12, v12
	v_addc_co_u32_e32 v13, vcc, v3, v13, vcc
	global_load_dword v7, v[12:13], off
	v_ashrrev_i32_e32 v5, 31, v4
	v_lshlrev_b64 v[12:13], 2, v[4:5]
	v_add_co_u32_e32 v8, vcc, 32, v8
	v_add_co_u32_e64 v14, s[0:1], s14, v12
	v_add_u32_e32 v0, 8, v0
	v_addc_co_u32_e32 v9, vcc, 0, v9, vcc
	v_addc_co_u32_e64 v15, s[0:1], v1, v13, s[0:1]
	v_cmp_le_i32_e32 vcc, s17, v0
	v_add_co_u32_e64 v12, s[0:1], s6, v12
	v_add_u32_e32 v6, s4, v6
	v_add_u32_e32 v4, v4, v10
	v_addc_co_u32_e64 v13, s[0:1], v11, v13, s[0:1]
	s_or_b64 s[2:3], vcc, s[2:3]
	s_waitcnt vmcnt(1)
	v_subrev_u32_e32 v5, s20, v16
	v_mad_u64_u32 v[16:17], s[0:1], v5, s9, v[2:3]
	global_store_dword v[14:15], v16, off
	s_waitcnt vmcnt(1)
	global_store_dword v[12:13], v7, off
	s_andn2_b64 exec, exec, s[2:3]
	s_cbranch_execnz .LBB11_14
.LBB11_15:
	s_endpgm
	.section	.rodata,"a",@progbits
	.p2align	6, 0x0
	.amdhsa_kernel _ZN9rocsparseL35gebsr2csr_block_per_row_1_32_kernelILi1024ELi4ELi32EfEEv20rocsparse_direction_ii21rocsparse_index_base_PKT2_PKiS7_iiS2_PS3_PiS9_
		.amdhsa_group_segment_fixed_size 0
		.amdhsa_private_segment_fixed_size 0
		.amdhsa_kernarg_size 80
		.amdhsa_user_sgpr_count 6
		.amdhsa_user_sgpr_private_segment_buffer 1
		.amdhsa_user_sgpr_dispatch_ptr 0
		.amdhsa_user_sgpr_queue_ptr 0
		.amdhsa_user_sgpr_kernarg_segment_ptr 1
		.amdhsa_user_sgpr_dispatch_id 0
		.amdhsa_user_sgpr_flat_scratch_init 0
		.amdhsa_user_sgpr_kernarg_preload_length 0
		.amdhsa_user_sgpr_kernarg_preload_offset 0
		.amdhsa_user_sgpr_private_segment_size 0
		.amdhsa_uses_dynamic_stack 0
		.amdhsa_system_sgpr_private_segment_wavefront_offset 0
		.amdhsa_system_sgpr_workgroup_id_x 1
		.amdhsa_system_sgpr_workgroup_id_y 0
		.amdhsa_system_sgpr_workgroup_id_z 0
		.amdhsa_system_sgpr_workgroup_info 0
		.amdhsa_system_vgpr_workitem_id 0
		.amdhsa_next_free_vgpr 36
		.amdhsa_next_free_sgpr 30
		.amdhsa_accum_offset 36
		.amdhsa_reserve_vcc 1
		.amdhsa_reserve_flat_scratch 0
		.amdhsa_float_round_mode_32 0
		.amdhsa_float_round_mode_16_64 0
		.amdhsa_float_denorm_mode_32 3
		.amdhsa_float_denorm_mode_16_64 3
		.amdhsa_dx10_clamp 1
		.amdhsa_ieee_mode 1
		.amdhsa_fp16_overflow 0
		.amdhsa_tg_split 0
		.amdhsa_exception_fp_ieee_invalid_op 0
		.amdhsa_exception_fp_denorm_src 0
		.amdhsa_exception_fp_ieee_div_zero 0
		.amdhsa_exception_fp_ieee_overflow 0
		.amdhsa_exception_fp_ieee_underflow 0
		.amdhsa_exception_fp_ieee_inexact 0
		.amdhsa_exception_int_div_zero 0
	.end_amdhsa_kernel
	.section	.text._ZN9rocsparseL35gebsr2csr_block_per_row_1_32_kernelILi1024ELi4ELi32EfEEv20rocsparse_direction_ii21rocsparse_index_base_PKT2_PKiS7_iiS2_PS3_PiS9_,"axG",@progbits,_ZN9rocsparseL35gebsr2csr_block_per_row_1_32_kernelILi1024ELi4ELi32EfEEv20rocsparse_direction_ii21rocsparse_index_base_PKT2_PKiS7_iiS2_PS3_PiS9_,comdat
.Lfunc_end11:
	.size	_ZN9rocsparseL35gebsr2csr_block_per_row_1_32_kernelILi1024ELi4ELi32EfEEv20rocsparse_direction_ii21rocsparse_index_base_PKT2_PKiS7_iiS2_PS3_PiS9_, .Lfunc_end11-_ZN9rocsparseL35gebsr2csr_block_per_row_1_32_kernelILi1024ELi4ELi32EfEEv20rocsparse_direction_ii21rocsparse_index_base_PKT2_PKiS7_iiS2_PS3_PiS9_
                                        ; -- End function
	.section	.AMDGPU.csdata,"",@progbits
; Kernel info:
; codeLenInByte = 1336
; NumSgprs: 34
; NumVgprs: 36
; NumAgprs: 0
; TotalNumVgprs: 36
; ScratchSize: 0
; MemoryBound: 0
; FloatMode: 240
; IeeeMode: 1
; LDSByteSize: 0 bytes/workgroup (compile time only)
; SGPRBlocks: 4
; VGPRBlocks: 4
; NumSGPRsForWavesPerEU: 34
; NumVGPRsForWavesPerEU: 36
; AccumOffset: 36
; Occupancy: 8
; WaveLimiterHint : 0
; COMPUTE_PGM_RSRC2:SCRATCH_EN: 0
; COMPUTE_PGM_RSRC2:USER_SGPR: 6
; COMPUTE_PGM_RSRC2:TRAP_HANDLER: 0
; COMPUTE_PGM_RSRC2:TGID_X_EN: 1
; COMPUTE_PGM_RSRC2:TGID_Y_EN: 0
; COMPUTE_PGM_RSRC2:TGID_Z_EN: 0
; COMPUTE_PGM_RSRC2:TIDIG_COMP_CNT: 0
; COMPUTE_PGM_RSRC3_GFX90A:ACCUM_OFFSET: 8
; COMPUTE_PGM_RSRC3_GFX90A:TG_SPLIT: 0
	.section	.text._ZN9rocsparseL37gebsr2csr_block_per_row_33_128_kernelILi1024ELi4ELi64ELi4ELi32EfEEv20rocsparse_direction_ii21rocsparse_index_base_PKT4_PKiS7_iiS2_PS3_PiS9_,"axG",@progbits,_ZN9rocsparseL37gebsr2csr_block_per_row_33_128_kernelILi1024ELi4ELi64ELi4ELi32EfEEv20rocsparse_direction_ii21rocsparse_index_base_PKT4_PKiS7_iiS2_PS3_PiS9_,comdat
	.globl	_ZN9rocsparseL37gebsr2csr_block_per_row_33_128_kernelILi1024ELi4ELi64ELi4ELi32EfEEv20rocsparse_direction_ii21rocsparse_index_base_PKT4_PKiS7_iiS2_PS3_PiS9_ ; -- Begin function _ZN9rocsparseL37gebsr2csr_block_per_row_33_128_kernelILi1024ELi4ELi64ELi4ELi32EfEEv20rocsparse_direction_ii21rocsparse_index_base_PKT4_PKiS7_iiS2_PS3_PiS9_
	.p2align	8
	.type	_ZN9rocsparseL37gebsr2csr_block_per_row_33_128_kernelILi1024ELi4ELi64ELi4ELi32EfEEv20rocsparse_direction_ii21rocsparse_index_base_PKT4_PKiS7_iiS2_PS3_PiS9_,@function
_ZN9rocsparseL37gebsr2csr_block_per_row_33_128_kernelILi1024ELi4ELi64ELi4ELi32EfEEv20rocsparse_direction_ii21rocsparse_index_base_PKT4_PKiS7_iiS2_PS3_PiS9_: ; @_ZN9rocsparseL37gebsr2csr_block_per_row_33_128_kernelILi1024ELi4ELi64ELi4ELi32EfEEv20rocsparse_direction_ii21rocsparse_index_base_PKT4_PKiS7_iiS2_PS3_PiS9_
; %bb.0:
	s_load_dwordx2 s[0:1], s[4:5], 0x18
	s_load_dwordx4 s[8:11], s[4:5], 0x28
	s_load_dwordx2 s[2:3], s[4:5], 0x40
	s_ashr_i32 s7, s6, 31
	s_lshl_b64 s[12:13], s[6:7], 2
	s_waitcnt lgkmcnt(0)
	s_add_u32 s0, s0, s12
	s_addc_u32 s1, s1, s13
	s_load_dwordx2 s[14:15], s[0:1], 0x0
	v_or_b32_e32 v1, s6, v0
	v_cmp_eq_u32_e32 vcc, 0, v1
	s_and_saveexec_b64 s[0:1], vcc
	s_cbranch_execz .LBB12_2
; %bb.1:
	v_mov_b32_e32 v1, 0
	v_mov_b32_e32 v2, s10
	global_store_dword v1, v2, s[2:3]
.LBB12_2:
	s_or_b64 exec, exec, s[0:1]
	s_load_dword s11, s[4:5], 0xc
	v_lshrrev_b32_e32 v4, 5, v0
	v_cmp_gt_i32_e64 s[0:1], s8, v4
	s_mul_i32 s23, s9, s8
	s_waitcnt lgkmcnt(0)
	s_sub_i32 s12, s14, s11
	s_sub_i32 s22, s15, s11
	s_and_saveexec_b64 s[16:17], s[0:1]
	s_cbranch_execz .LBB12_4
; %bb.3:
	s_mul_i32 s6, s6, s8
	v_add_u32_e32 v2, s6, v4
	s_mul_i32 s7, s23, s12
	s_sub_i32 s13, s22, s12
	v_ashrrev_i32_e32 v3, 31, v2
	s_mul_i32 s13, s13, s9
	s_add_i32 s7, s7, s10
	v_lshlrev_b64 v[2:3], 2, v[2:3]
	v_mul_lo_u32 v1, s13, v4
	s_add_i32 s7, s7, s13
	v_mov_b32_e32 v5, s3
	v_add_co_u32_e32 v2, vcc, s2, v2
	v_add_u32_e32 v1, s7, v1
	v_addc_co_u32_e32 v3, vcc, v5, v3, vcc
	global_store_dword v[2:3], v1, off offset:4
.LBB12_4:
	s_or_b64 exec, exec, s[16:17]
	s_cmp_ge_i32 s14, s15
	s_cbranch_scc1 .LBB12_11
; %bb.5:
	s_load_dwordx2 s[18:19], s[4:5], 0x20
	s_load_dwordx2 s[6:7], s[4:5], 0x38
	;; [unrolled: 1-line block ×4, first 2 shown]
	s_load_dword s2, s[4:5], 0x0
	s_mul_i32 s13, s8, s12
	v_and_b32_e32 v0, 31, v0
	v_add_u32_e32 v1, s13, v4
	v_mad_u64_u32 v[2:3], s[4:5], s9, v1, v[0:1]
	s_mul_i32 s4, s9, s12
	s_sub_i32 s3, s22, s12
	v_add_u32_e32 v3, s4, v0
	v_mul_lo_u32 v6, s3, v4
	s_waitcnt lgkmcnt(0)
	s_cmp_eq_u32 s2, 0
	v_cmp_gt_i32_e64 s[2:3], s9, v0
	v_mad_u64_u32 v[8:9], s[4:5], s8, v3, v[4:5]
	v_or_b32_e32 v1, 32, v0
	s_cselect_b64 vcc, -1, 0
	s_and_b64 s[4:5], s[0:1], s[2:3]
	v_cmp_gt_i32_e64 s[2:3], s9, v1
	v_add_u32_e32 v3, 32, v3
	s_and_b64 s[2:3], s[0:1], s[2:3]
	v_mad_u64_u32 v[4:5], s[0:1], s8, v3, v[4:5]
	v_add_u32_e32 v3, s13, v6
	v_mad_u64_u32 v[6:7], s[0:1], s9, v3, v[0:1]
	s_ashr_i32 s13, s12, 31
	s_lshl_b64 s[0:1], s[12:13], 2
	s_add_u32 s18, s18, s0
	s_mov_b32 s24, 0
	s_addc_u32 s19, s19, s1
	v_cndmask_b32_e32 v3, v8, v2, vcc
	s_branch .LBB12_7
.LBB12_6:                               ;   in Loop: Header=BB12_7 Depth=1
	s_or_b64 exec, exec, s[20:21]
	s_add_i32 s12, s12, 1
	s_add_i32 s24, s24, s23
	s_add_u32 s18, s18, 4
	s_addc_u32 s19, s19, 0
	s_cmp_ge_i32 s12, s22
	v_add_u32_e32 v6, s9, v6
	s_cbranch_scc1 .LBB12_11
.LBB12_7:                               ; =>This Inner Loop Header: Depth=1
	s_load_dword s0, s[18:19], 0x0
	s_waitcnt lgkmcnt(0)
	s_sub_i32 s0, s0, s11
	s_mul_i32 s8, s0, s9
	s_add_i32 s8, s8, s10
	s_and_saveexec_b64 s[20:21], s[4:5]
	s_cbranch_execz .LBB12_9
; %bb.8:                                ;   in Loop: Header=BB12_7 Depth=1
	v_add_u32_e32 v8, s24, v3
	v_ashrrev_i32_e32 v9, 31, v8
	v_lshlrev_b64 v[8:9], 2, v[8:9]
	v_mov_b32_e32 v5, s17
	v_add_co_u32_e64 v8, s[0:1], s16, v8
	v_addc_co_u32_e64 v9, s[0:1], v5, v9, s[0:1]
	global_load_dword v5, v[8:9], off
	v_ashrrev_i32_e32 v7, 31, v6
	v_lshlrev_b64 v[8:9], 2, v[6:7]
	v_mov_b32_e32 v7, s15
	v_add_co_u32_e64 v10, s[0:1], s14, v8
	v_addc_co_u32_e64 v11, s[0:1], v7, v9, s[0:1]
	v_mov_b32_e32 v7, s7
	v_add_co_u32_e64 v8, s[0:1], s6, v8
	v_add_u32_e32 v12, s8, v0
	v_addc_co_u32_e64 v9, s[0:1], v7, v9, s[0:1]
	global_store_dword v[10:11], v12, off
	s_waitcnt vmcnt(1)
	global_store_dword v[8:9], v5, off
.LBB12_9:                               ;   in Loop: Header=BB12_7 Depth=1
	s_or_b64 exec, exec, s[20:21]
	s_and_saveexec_b64 s[20:21], s[2:3]
	s_cbranch_execz .LBB12_6
; %bb.10:                               ;   in Loop: Header=BB12_7 Depth=1
	v_add3_u32 v5, v2, s24, 32
	v_add_u32_e32 v7, s24, v4
	v_cndmask_b32_e32 v8, v7, v5, vcc
	v_ashrrev_i32_e32 v9, 31, v8
	v_lshlrev_b64 v[8:9], 2, v[8:9]
	v_mov_b32_e32 v5, s17
	v_add_co_u32_e64 v8, s[0:1], s16, v8
	v_addc_co_u32_e64 v9, s[0:1], v5, v9, s[0:1]
	global_load_dword v5, v[8:9], off
	v_add_u32_e32 v8, 32, v6
	v_ashrrev_i32_e32 v9, 31, v8
	v_lshlrev_b64 v[8:9], 2, v[8:9]
	v_mov_b32_e32 v11, s15
	v_add_co_u32_e64 v10, s[0:1], s14, v8
	v_add_u32_e32 v7, s8, v1
	v_addc_co_u32_e64 v11, s[0:1], v11, v9, s[0:1]
	global_store_dword v[10:11], v7, off
	v_mov_b32_e32 v7, s7
	v_add_co_u32_e64 v8, s[0:1], s6, v8
	v_addc_co_u32_e64 v9, s[0:1], v7, v9, s[0:1]
	s_waitcnt vmcnt(1)
	global_store_dword v[8:9], v5, off
	s_branch .LBB12_6
.LBB12_11:
	s_endpgm
	.section	.rodata,"a",@progbits
	.p2align	6, 0x0
	.amdhsa_kernel _ZN9rocsparseL37gebsr2csr_block_per_row_33_128_kernelILi1024ELi4ELi64ELi4ELi32EfEEv20rocsparse_direction_ii21rocsparse_index_base_PKT4_PKiS7_iiS2_PS3_PiS9_
		.amdhsa_group_segment_fixed_size 0
		.amdhsa_private_segment_fixed_size 0
		.amdhsa_kernarg_size 80
		.amdhsa_user_sgpr_count 6
		.amdhsa_user_sgpr_private_segment_buffer 1
		.amdhsa_user_sgpr_dispatch_ptr 0
		.amdhsa_user_sgpr_queue_ptr 0
		.amdhsa_user_sgpr_kernarg_segment_ptr 1
		.amdhsa_user_sgpr_dispatch_id 0
		.amdhsa_user_sgpr_flat_scratch_init 0
		.amdhsa_user_sgpr_kernarg_preload_length 0
		.amdhsa_user_sgpr_kernarg_preload_offset 0
		.amdhsa_user_sgpr_private_segment_size 0
		.amdhsa_uses_dynamic_stack 0
		.amdhsa_system_sgpr_private_segment_wavefront_offset 0
		.amdhsa_system_sgpr_workgroup_id_x 1
		.amdhsa_system_sgpr_workgroup_id_y 0
		.amdhsa_system_sgpr_workgroup_id_z 0
		.amdhsa_system_sgpr_workgroup_info 0
		.amdhsa_system_vgpr_workitem_id 0
		.amdhsa_next_free_vgpr 13
		.amdhsa_next_free_sgpr 25
		.amdhsa_accum_offset 16
		.amdhsa_reserve_vcc 1
		.amdhsa_reserve_flat_scratch 0
		.amdhsa_float_round_mode_32 0
		.amdhsa_float_round_mode_16_64 0
		.amdhsa_float_denorm_mode_32 3
		.amdhsa_float_denorm_mode_16_64 3
		.amdhsa_dx10_clamp 1
		.amdhsa_ieee_mode 1
		.amdhsa_fp16_overflow 0
		.amdhsa_tg_split 0
		.amdhsa_exception_fp_ieee_invalid_op 0
		.amdhsa_exception_fp_denorm_src 0
		.amdhsa_exception_fp_ieee_div_zero 0
		.amdhsa_exception_fp_ieee_overflow 0
		.amdhsa_exception_fp_ieee_underflow 0
		.amdhsa_exception_fp_ieee_inexact 0
		.amdhsa_exception_int_div_zero 0
	.end_amdhsa_kernel
	.section	.text._ZN9rocsparseL37gebsr2csr_block_per_row_33_128_kernelILi1024ELi4ELi64ELi4ELi32EfEEv20rocsparse_direction_ii21rocsparse_index_base_PKT4_PKiS7_iiS2_PS3_PiS9_,"axG",@progbits,_ZN9rocsparseL37gebsr2csr_block_per_row_33_128_kernelILi1024ELi4ELi64ELi4ELi32EfEEv20rocsparse_direction_ii21rocsparse_index_base_PKT4_PKiS7_iiS2_PS3_PiS9_,comdat
.Lfunc_end12:
	.size	_ZN9rocsparseL37gebsr2csr_block_per_row_33_128_kernelILi1024ELi4ELi64ELi4ELi32EfEEv20rocsparse_direction_ii21rocsparse_index_base_PKT4_PKiS7_iiS2_PS3_PiS9_, .Lfunc_end12-_ZN9rocsparseL37gebsr2csr_block_per_row_33_128_kernelILi1024ELi4ELi64ELi4ELi32EfEEv20rocsparse_direction_ii21rocsparse_index_base_PKT4_PKiS7_iiS2_PS3_PiS9_
                                        ; -- End function
	.section	.AMDGPU.csdata,"",@progbits
; Kernel info:
; codeLenInByte = 736
; NumSgprs: 29
; NumVgprs: 13
; NumAgprs: 0
; TotalNumVgprs: 13
; ScratchSize: 0
; MemoryBound: 0
; FloatMode: 240
; IeeeMode: 1
; LDSByteSize: 0 bytes/workgroup (compile time only)
; SGPRBlocks: 3
; VGPRBlocks: 1
; NumSGPRsForWavesPerEU: 29
; NumVGPRsForWavesPerEU: 13
; AccumOffset: 16
; Occupancy: 8
; WaveLimiterHint : 1
; COMPUTE_PGM_RSRC2:SCRATCH_EN: 0
; COMPUTE_PGM_RSRC2:USER_SGPR: 6
; COMPUTE_PGM_RSRC2:TRAP_HANDLER: 0
; COMPUTE_PGM_RSRC2:TGID_X_EN: 1
; COMPUTE_PGM_RSRC2:TGID_Y_EN: 0
; COMPUTE_PGM_RSRC2:TGID_Z_EN: 0
; COMPUTE_PGM_RSRC2:TIDIG_COMP_CNT: 0
; COMPUTE_PGM_RSRC3_GFX90A:ACCUM_OFFSET: 3
; COMPUTE_PGM_RSRC3_GFX90A:TG_SPLIT: 0
	.section	.text._ZN9rocsparseL37gebsr2csr_block_per_row_33_128_kernelILi1024ELi4ELi128ELi4ELi32EfEEv20rocsparse_direction_ii21rocsparse_index_base_PKT4_PKiS7_iiS2_PS3_PiS9_,"axG",@progbits,_ZN9rocsparseL37gebsr2csr_block_per_row_33_128_kernelILi1024ELi4ELi128ELi4ELi32EfEEv20rocsparse_direction_ii21rocsparse_index_base_PKT4_PKiS7_iiS2_PS3_PiS9_,comdat
	.globl	_ZN9rocsparseL37gebsr2csr_block_per_row_33_128_kernelILi1024ELi4ELi128ELi4ELi32EfEEv20rocsparse_direction_ii21rocsparse_index_base_PKT4_PKiS7_iiS2_PS3_PiS9_ ; -- Begin function _ZN9rocsparseL37gebsr2csr_block_per_row_33_128_kernelILi1024ELi4ELi128ELi4ELi32EfEEv20rocsparse_direction_ii21rocsparse_index_base_PKT4_PKiS7_iiS2_PS3_PiS9_
	.p2align	8
	.type	_ZN9rocsparseL37gebsr2csr_block_per_row_33_128_kernelILi1024ELi4ELi128ELi4ELi32EfEEv20rocsparse_direction_ii21rocsparse_index_base_PKT4_PKiS7_iiS2_PS3_PiS9_,@function
_ZN9rocsparseL37gebsr2csr_block_per_row_33_128_kernelILi1024ELi4ELi128ELi4ELi32EfEEv20rocsparse_direction_ii21rocsparse_index_base_PKT4_PKiS7_iiS2_PS3_PiS9_: ; @_ZN9rocsparseL37gebsr2csr_block_per_row_33_128_kernelILi1024ELi4ELi128ELi4ELi32EfEEv20rocsparse_direction_ii21rocsparse_index_base_PKT4_PKiS7_iiS2_PS3_PiS9_
; %bb.0:
	s_load_dwordx2 s[0:1], s[4:5], 0x18
	s_load_dwordx4 s[8:11], s[4:5], 0x28
	s_load_dwordx2 s[2:3], s[4:5], 0x40
	s_ashr_i32 s7, s6, 31
	s_lshl_b64 s[12:13], s[6:7], 2
	s_waitcnt lgkmcnt(0)
	s_add_u32 s0, s0, s12
	s_addc_u32 s1, s1, s13
	s_load_dwordx2 s[14:15], s[0:1], 0x0
	v_or_b32_e32 v1, s6, v0
	v_cmp_eq_u32_e32 vcc, 0, v1
	s_and_saveexec_b64 s[0:1], vcc
	s_cbranch_execz .LBB13_2
; %bb.1:
	v_mov_b32_e32 v1, 0
	v_mov_b32_e32 v2, s10
	global_store_dword v1, v2, s[2:3]
.LBB13_2:
	s_or_b64 exec, exec, s[0:1]
	s_load_dword s11, s[4:5], 0xc
	v_lshrrev_b32_e32 v1, 5, v0
	v_cmp_gt_i32_e64 s[0:1], s8, v1
	s_mul_i32 s27, s9, s8
	s_waitcnt lgkmcnt(0)
	s_sub_i32 s12, s14, s11
	s_sub_i32 s26, s15, s11
	s_and_saveexec_b64 s[16:17], s[0:1]
	s_cbranch_execz .LBB13_4
; %bb.3:
	s_mul_i32 s7, s27, s12
	s_sub_i32 s13, s26, s12
	s_mul_i32 s13, s13, s9
	s_add_i32 s7, s7, s10
	v_mul_lo_u32 v2, s13, v1
	s_add_i32 s7, s7, s13
	s_mul_i32 s6, s6, s8
	v_add_u32_e32 v4, s7, v2
	v_add_u32_e32 v2, s6, v1
	v_ashrrev_i32_e32 v3, 31, v2
	v_lshlrev_b64 v[2:3], 2, v[2:3]
	v_mov_b32_e32 v5, s3
	v_add_co_u32_e32 v2, vcc, s2, v2
	v_addc_co_u32_e32 v3, vcc, v5, v3, vcc
	global_store_dword v[2:3], v4, off offset:4
.LBB13_4:
	s_or_b64 exec, exec, s[16:17]
	s_cmp_ge_i32 s14, s15
	s_cbranch_scc1 .LBB13_15
; %bb.5:
	s_load_dwordx2 s[22:23], s[4:5], 0x20
	s_load_dwordx2 s[6:7], s[4:5], 0x38
	;; [unrolled: 1-line block ×3, first 2 shown]
	s_load_dword s2, s[4:5], 0x0
	s_load_dwordx2 s[16:17], s[4:5], 0x48
	v_and_b32_e32 v0, 31, v0
	s_sub_i32 s3, s26, s12
	v_mul_lo_u32 v10, s3, v1
	s_waitcnt lgkmcnt(0)
	s_cmp_eq_u32 s2, 0
	v_cmp_gt_i32_e64 s[2:3], s9, v0
	v_or_b32_e32 v2, 32, v0
	s_cselect_b64 vcc, -1, 0
	s_and_b64 s[4:5], s[0:1], s[2:3]
	v_cmp_gt_i32_e64 s[2:3], s9, v2
	v_or_b32_e32 v3, 64, v0
	s_and_b64 s[18:19], s[0:1], s[2:3]
	v_cmp_gt_i32_e64 s[2:3], s9, v3
	v_or_b32_e32 v4, 0x60, v0
	s_and_b64 s[20:21], s[0:1], s[2:3]
	v_cmp_gt_i32_e64 s[2:3], s9, v4
	s_and_b64 s[2:3], s[0:1], s[2:3]
	s_mul_i32 s0, s8, s12
	s_mul_i32 s1, s9, s12
	s_ashr_i32 s13, s12, 31
	v_add_u32_e32 v5, s0, v1
	v_add_u32_e32 v9, s1, v0
	;; [unrolled: 1-line block ×3, first 2 shown]
	s_lshl_b64 s[0:1], s[12:13], 2
	v_add_u32_e32 v6, 0x60, v9
	v_add_u32_e32 v7, 64, v9
	;; [unrolled: 1-line block ×3, first 2 shown]
	s_add_u32 s22, s22, s0
	s_movk_i32 s28, 0x60
	v_mul_lo_u32 v5, s9, v5
	v_mul_lo_u32 v6, s8, v6
	;; [unrolled: 1-line block ×6, first 2 shown]
	s_addc_u32 s23, s23, s1
	s_branch .LBB13_7
.LBB13_6:                               ;   in Loop: Header=BB13_7 Depth=1
	s_or_b64 exec, exec, s[24:25]
	s_add_i32 s12, s12, 1
	s_add_u32 s22, s22, 4
	s_addc_u32 s23, s23, 0
	v_add_u32_e32 v5, s27, v5
	v_add_u32_e32 v1, s27, v1
	s_cmp_ge_i32 s12, s26
	v_add_u32_e32 v10, s9, v10
	s_cbranch_scc1 .LBB13_15
.LBB13_7:                               ; =>This Inner Loop Header: Depth=1
	s_load_dword s0, s[22:23], 0x0
	s_waitcnt lgkmcnt(0)
	s_sub_i32 s0, s0, s11
	s_mul_i32 s8, s0, s9
	s_add_i32 s8, s8, s10
	s_and_saveexec_b64 s[24:25], s[4:5]
	s_cbranch_execnz .LBB13_11
; %bb.8:                                ;   in Loop: Header=BB13_7 Depth=1
	s_or_b64 exec, exec, s[24:25]
	s_and_saveexec_b64 s[24:25], s[18:19]
	s_cbranch_execnz .LBB13_12
.LBB13_9:                               ;   in Loop: Header=BB13_7 Depth=1
	s_or_b64 exec, exec, s[24:25]
	s_and_saveexec_b64 s[24:25], s[20:21]
	s_cbranch_execnz .LBB13_13
.LBB13_10:                              ;   in Loop: Header=BB13_7 Depth=1
	s_or_b64 exec, exec, s[24:25]
	s_and_saveexec_b64 s[24:25], s[2:3]
	s_cbranch_execz .LBB13_6
	s_branch .LBB13_14
.LBB13_11:                              ;   in Loop: Header=BB13_7 Depth=1
	v_add_u32_e32 v11, v0, v5
	v_add_u32_e32 v12, v9, v1
	v_cndmask_b32_e32 v12, v12, v11, vcc
	v_ashrrev_i32_e32 v13, 31, v12
	v_lshlrev_b64 v[12:13], 2, v[12:13]
	v_mov_b32_e32 v11, s15
	v_add_co_u32_e64 v12, s[0:1], s14, v12
	v_addc_co_u32_e64 v13, s[0:1], v11, v13, s[0:1]
	global_load_dword v11, v[12:13], off
	v_add_u32_e32 v12, v0, v10
	v_ashrrev_i32_e32 v13, 31, v12
	v_lshlrev_b64 v[12:13], 2, v[12:13]
	v_mov_b32_e32 v15, s17
	v_add_co_u32_e64 v14, s[0:1], s16, v12
	v_add_u32_e32 v16, s8, v0
	v_addc_co_u32_e64 v15, s[0:1], v15, v13, s[0:1]
	global_store_dword v[14:15], v16, off
	v_mov_b32_e32 v14, s7
	v_add_co_u32_e64 v12, s[0:1], s6, v12
	v_addc_co_u32_e64 v13, s[0:1], v14, v13, s[0:1]
	s_waitcnt vmcnt(1)
	global_store_dword v[12:13], v11, off
	s_or_b64 exec, exec, s[24:25]
	s_and_saveexec_b64 s[24:25], s[18:19]
	s_cbranch_execz .LBB13_9
.LBB13_12:                              ;   in Loop: Header=BB13_7 Depth=1
	v_add3_u32 v11, v0, v5, 32
	v_add_u32_e32 v12, v8, v1
	v_cndmask_b32_e32 v12, v12, v11, vcc
	v_ashrrev_i32_e32 v13, 31, v12
	v_lshlrev_b64 v[12:13], 2, v[12:13]
	v_mov_b32_e32 v11, s15
	v_add_co_u32_e64 v12, s[0:1], s14, v12
	v_addc_co_u32_e64 v13, s[0:1], v11, v13, s[0:1]
	global_load_dword v11, v[12:13], off
	v_add3_u32 v12, v0, v10, 32
	v_ashrrev_i32_e32 v13, 31, v12
	v_lshlrev_b64 v[12:13], 2, v[12:13]
	v_mov_b32_e32 v15, s17
	v_add_co_u32_e64 v14, s[0:1], s16, v12
	v_add_u32_e32 v16, s8, v2
	v_addc_co_u32_e64 v15, s[0:1], v15, v13, s[0:1]
	global_store_dword v[14:15], v16, off
	v_mov_b32_e32 v14, s7
	v_add_co_u32_e64 v12, s[0:1], s6, v12
	v_addc_co_u32_e64 v13, s[0:1], v14, v13, s[0:1]
	s_waitcnt vmcnt(1)
	global_store_dword v[12:13], v11, off
	s_or_b64 exec, exec, s[24:25]
	s_and_saveexec_b64 s[24:25], s[20:21]
	s_cbranch_execz .LBB13_10
.LBB13_13:                              ;   in Loop: Header=BB13_7 Depth=1
	v_add3_u32 v11, v0, v5, 64
	v_add_u32_e32 v12, v7, v1
	v_cndmask_b32_e32 v12, v12, v11, vcc
	v_ashrrev_i32_e32 v13, 31, v12
	v_lshlrev_b64 v[12:13], 2, v[12:13]
	v_mov_b32_e32 v11, s15
	v_add_co_u32_e64 v12, s[0:1], s14, v12
	v_addc_co_u32_e64 v13, s[0:1], v11, v13, s[0:1]
	global_load_dword v11, v[12:13], off
	v_add3_u32 v12, v0, v10, 64
	v_ashrrev_i32_e32 v13, 31, v12
	v_lshlrev_b64 v[12:13], 2, v[12:13]
	v_mov_b32_e32 v15, s17
	v_add_co_u32_e64 v14, s[0:1], s16, v12
	v_add_u32_e32 v16, s8, v3
	v_addc_co_u32_e64 v15, s[0:1], v15, v13, s[0:1]
	global_store_dword v[14:15], v16, off
	v_mov_b32_e32 v14, s7
	v_add_co_u32_e64 v12, s[0:1], s6, v12
	v_addc_co_u32_e64 v13, s[0:1], v14, v13, s[0:1]
	s_waitcnt vmcnt(1)
	global_store_dword v[12:13], v11, off
	s_or_b64 exec, exec, s[24:25]
	s_and_saveexec_b64 s[24:25], s[2:3]
	s_cbranch_execz .LBB13_6
.LBB13_14:                              ;   in Loop: Header=BB13_7 Depth=1
	v_add3_u32 v11, v0, v5, s28
	v_add_u32_e32 v12, v6, v1
	v_cndmask_b32_e32 v12, v12, v11, vcc
	v_ashrrev_i32_e32 v13, 31, v12
	v_lshlrev_b64 v[12:13], 2, v[12:13]
	v_mov_b32_e32 v11, s15
	v_add_co_u32_e64 v12, s[0:1], s14, v12
	v_addc_co_u32_e64 v13, s[0:1], v11, v13, s[0:1]
	global_load_dword v11, v[12:13], off
	v_add3_u32 v12, v0, v10, s28
	v_ashrrev_i32_e32 v13, 31, v12
	v_lshlrev_b64 v[12:13], 2, v[12:13]
	v_mov_b32_e32 v15, s17
	v_add_co_u32_e64 v14, s[0:1], s16, v12
	v_add_u32_e32 v16, s8, v4
	v_addc_co_u32_e64 v15, s[0:1], v15, v13, s[0:1]
	global_store_dword v[14:15], v16, off
	v_mov_b32_e32 v14, s7
	v_add_co_u32_e64 v12, s[0:1], s6, v12
	v_addc_co_u32_e64 v13, s[0:1], v14, v13, s[0:1]
	s_waitcnt vmcnt(1)
	global_store_dword v[12:13], v11, off
	s_branch .LBB13_6
.LBB13_15:
	s_endpgm
	.section	.rodata,"a",@progbits
	.p2align	6, 0x0
	.amdhsa_kernel _ZN9rocsparseL37gebsr2csr_block_per_row_33_128_kernelILi1024ELi4ELi128ELi4ELi32EfEEv20rocsparse_direction_ii21rocsparse_index_base_PKT4_PKiS7_iiS2_PS3_PiS9_
		.amdhsa_group_segment_fixed_size 0
		.amdhsa_private_segment_fixed_size 0
		.amdhsa_kernarg_size 80
		.amdhsa_user_sgpr_count 6
		.amdhsa_user_sgpr_private_segment_buffer 1
		.amdhsa_user_sgpr_dispatch_ptr 0
		.amdhsa_user_sgpr_queue_ptr 0
		.amdhsa_user_sgpr_kernarg_segment_ptr 1
		.amdhsa_user_sgpr_dispatch_id 0
		.amdhsa_user_sgpr_flat_scratch_init 0
		.amdhsa_user_sgpr_kernarg_preload_length 0
		.amdhsa_user_sgpr_kernarg_preload_offset 0
		.amdhsa_user_sgpr_private_segment_size 0
		.amdhsa_uses_dynamic_stack 0
		.amdhsa_system_sgpr_private_segment_wavefront_offset 0
		.amdhsa_system_sgpr_workgroup_id_x 1
		.amdhsa_system_sgpr_workgroup_id_y 0
		.amdhsa_system_sgpr_workgroup_id_z 0
		.amdhsa_system_sgpr_workgroup_info 0
		.amdhsa_system_vgpr_workitem_id 0
		.amdhsa_next_free_vgpr 17
		.amdhsa_next_free_sgpr 29
		.amdhsa_accum_offset 20
		.amdhsa_reserve_vcc 1
		.amdhsa_reserve_flat_scratch 0
		.amdhsa_float_round_mode_32 0
		.amdhsa_float_round_mode_16_64 0
		.amdhsa_float_denorm_mode_32 3
		.amdhsa_float_denorm_mode_16_64 3
		.amdhsa_dx10_clamp 1
		.amdhsa_ieee_mode 1
		.amdhsa_fp16_overflow 0
		.amdhsa_tg_split 0
		.amdhsa_exception_fp_ieee_invalid_op 0
		.amdhsa_exception_fp_denorm_src 0
		.amdhsa_exception_fp_ieee_div_zero 0
		.amdhsa_exception_fp_ieee_overflow 0
		.amdhsa_exception_fp_ieee_underflow 0
		.amdhsa_exception_fp_ieee_inexact 0
		.amdhsa_exception_int_div_zero 0
	.end_amdhsa_kernel
	.section	.text._ZN9rocsparseL37gebsr2csr_block_per_row_33_128_kernelILi1024ELi4ELi128ELi4ELi32EfEEv20rocsparse_direction_ii21rocsparse_index_base_PKT4_PKiS7_iiS2_PS3_PiS9_,"axG",@progbits,_ZN9rocsparseL37gebsr2csr_block_per_row_33_128_kernelILi1024ELi4ELi128ELi4ELi32EfEEv20rocsparse_direction_ii21rocsparse_index_base_PKT4_PKiS7_iiS2_PS3_PiS9_,comdat
.Lfunc_end13:
	.size	_ZN9rocsparseL37gebsr2csr_block_per_row_33_128_kernelILi1024ELi4ELi128ELi4ELi32EfEEv20rocsparse_direction_ii21rocsparse_index_base_PKT4_PKiS7_iiS2_PS3_PiS9_, .Lfunc_end13-_ZN9rocsparseL37gebsr2csr_block_per_row_33_128_kernelILi1024ELi4ELi128ELi4ELi32EfEEv20rocsparse_direction_ii21rocsparse_index_base_PKT4_PKiS7_iiS2_PS3_PiS9_
                                        ; -- End function
	.section	.AMDGPU.csdata,"",@progbits
; Kernel info:
; codeLenInByte = 1160
; NumSgprs: 33
; NumVgprs: 17
; NumAgprs: 0
; TotalNumVgprs: 17
; ScratchSize: 0
; MemoryBound: 0
; FloatMode: 240
; IeeeMode: 1
; LDSByteSize: 0 bytes/workgroup (compile time only)
; SGPRBlocks: 4
; VGPRBlocks: 2
; NumSGPRsForWavesPerEU: 33
; NumVGPRsForWavesPerEU: 17
; AccumOffset: 20
; Occupancy: 8
; WaveLimiterHint : 1
; COMPUTE_PGM_RSRC2:SCRATCH_EN: 0
; COMPUTE_PGM_RSRC2:USER_SGPR: 6
; COMPUTE_PGM_RSRC2:TRAP_HANDLER: 0
; COMPUTE_PGM_RSRC2:TGID_X_EN: 1
; COMPUTE_PGM_RSRC2:TGID_Y_EN: 0
; COMPUTE_PGM_RSRC2:TGID_Z_EN: 0
; COMPUTE_PGM_RSRC2:TIDIG_COMP_CNT: 0
; COMPUTE_PGM_RSRC3_GFX90A:ACCUM_OFFSET: 4
; COMPUTE_PGM_RSRC3_GFX90A:TG_SPLIT: 0
	.section	.text._ZN9rocsparseL35gebsr2csr_block_per_row_1_32_kernelILi1024ELi8ELi2EfEEv20rocsparse_direction_ii21rocsparse_index_base_PKT2_PKiS7_iiS2_PS3_PiS9_,"axG",@progbits,_ZN9rocsparseL35gebsr2csr_block_per_row_1_32_kernelILi1024ELi8ELi2EfEEv20rocsparse_direction_ii21rocsparse_index_base_PKT2_PKiS7_iiS2_PS3_PiS9_,comdat
	.globl	_ZN9rocsparseL35gebsr2csr_block_per_row_1_32_kernelILi1024ELi8ELi2EfEEv20rocsparse_direction_ii21rocsparse_index_base_PKT2_PKiS7_iiS2_PS3_PiS9_ ; -- Begin function _ZN9rocsparseL35gebsr2csr_block_per_row_1_32_kernelILi1024ELi8ELi2EfEEv20rocsparse_direction_ii21rocsparse_index_base_PKT2_PKiS7_iiS2_PS3_PiS9_
	.p2align	8
	.type	_ZN9rocsparseL35gebsr2csr_block_per_row_1_32_kernelILi1024ELi8ELi2EfEEv20rocsparse_direction_ii21rocsparse_index_base_PKT2_PKiS7_iiS2_PS3_PiS9_,@function
_ZN9rocsparseL35gebsr2csr_block_per_row_1_32_kernelILi1024ELi8ELi2EfEEv20rocsparse_direction_ii21rocsparse_index_base_PKT2_PKiS7_iiS2_PS3_PiS9_: ; @_ZN9rocsparseL35gebsr2csr_block_per_row_1_32_kernelILi1024ELi8ELi2EfEEv20rocsparse_direction_ii21rocsparse_index_base_PKT2_PKiS7_iiS2_PS3_PiS9_
; %bb.0:
	s_load_dwordx2 s[0:1], s[4:5], 0x18
	s_load_dwordx4 s[8:11], s[4:5], 0x28
	s_load_dwordx2 s[2:3], s[4:5], 0x40
	s_ashr_i32 s7, s6, 31
	s_lshl_b64 s[12:13], s[6:7], 2
	s_waitcnt lgkmcnt(0)
	s_add_u32 s12, s0, s12
	v_or_b32_e32 v1, s6, v0
	s_addc_u32 s13, s1, s13
	v_cmp_eq_u32_e32 vcc, 0, v1
	s_and_saveexec_b64 s[0:1], vcc
	s_cbranch_execz .LBB14_2
; %bb.1:
	v_mov_b32_e32 v1, 0
	v_mov_b32_e32 v2, s10
	global_store_dword v1, v2, s[2:3]
.LBB14_2:
	s_or_b64 exec, exec, s[0:1]
	v_and_b32_e32 v4, 1, v0
	v_bfe_u32 v10, v0, 1, 3
	v_cmp_gt_i32_e32 vcc, s8, v10
	v_cmp_gt_i32_e64 s[0:1], s9, v4
	s_and_b64 s[0:1], vcc, s[0:1]
	s_and_saveexec_b64 s[14:15], s[0:1]
	s_cbranch_execz .LBB14_15
; %bb.3:
	s_load_dwordx2 s[16:17], s[12:13], 0x0
	s_load_dword s20, s[4:5], 0xc
	s_mul_i32 s21, s9, s8
	v_lshrrev_b32_e32 v5, 4, v0
	v_mov_b32_e32 v6, s3
	s_waitcnt lgkmcnt(0)
	s_sub_i32 s22, s16, s20
	s_sub_i32 s17, s17, s20
	;; [unrolled: 1-line block ×3, first 2 shown]
	s_mul_i32 s1, s25, s9
	s_mul_i32 s0, s22, s21
	v_mul_lo_u32 v0, s1, v10
	v_add_u32_e32 v1, s0, v0
	s_mul_i32 s0, s6, s8
	v_add_u32_e32 v2, s0, v10
	v_ashrrev_i32_e32 v3, 31, v2
	v_lshlrev_b64 v[2:3], 2, v[2:3]
	s_add_i32 s1, s1, s10
	v_add_co_u32_e32 v2, vcc, s2, v2
	v_add_u32_e32 v0, s1, v1
	v_addc_co_u32_e32 v3, vcc, v6, v3, vcc
	global_store_dword v[2:3], v0, off offset:4
	v_add_u32_e32 v0, s22, v5
	v_cmp_gt_i32_e32 vcc, s17, v0
	s_and_b64 exec, exec, vcc
	s_cbranch_execz .LBB14_15
; %bb.4:
	s_load_dwordx2 s[18:19], s[4:5], 0x20
	s_load_dwordx2 s[6:7], s[4:5], 0x38
	s_load_dword s0, s[4:5], 0x0
	s_load_dwordx2 s[12:13], s[4:5], 0x10
	s_load_dwordx2 s[14:15], s[4:5], 0x48
	v_add_u32_e32 v3, s16, v5
	v_subrev_u32_e32 v3, s20, v3
	s_waitcnt lgkmcnt(0)
	s_cmp_eq_u32 s0, 0
	v_mad_u64_u32 v[6:7], s[0:1], v4, s8, v[10:11]
	v_mad_u64_u32 v[8:9], s[0:1], v10, s9, v[4:5]
	s_cselect_b64 vcc, -1, 0
	v_add_u32_e32 v3, 64, v3
	s_not_b32 s0, s16
	v_max_i32_e32 v3, s17, v3
	s_add_i32 s0, s0, s20
	v_add_u32_e32 v3, s0, v3
	v_sub_u32_e32 v7, v3, v5
	s_movk_i32 s0, 0x43f
	v_add_u32_e32 v2, s10, v4
	v_cmp_lt_u32_e64 s[0:1], s0, v7
	s_mov_b64 s[2:3], 0
	v_mul_lo_u32 v3, s25, v10
                                        ; implicit-def: $sgpr24
                                        ; implicit-def: $sgpr23
	s_and_saveexec_b64 s[4:5], s[0:1]
	s_xor_b64 s[10:11], exec, s[4:5]
	s_cbranch_execz .LBB14_10
; %bb.5:
	s_lshl_b32 s23, s9, 6
	s_mul_i32 s24, s22, s8
	v_mul_lo_u32 v3, s25, v10
	s_sub_i32 s4, 0, s23
	v_add3_u32 v5, v5, s24, v3
	v_mad_u64_u32 v[10:11], s[0:1], v5, s9, v[4:5]
	s_cmp_lt_i32 s23, 0
	s_cselect_b64 s[0:1], -1, 0
	s_and_b64 s[2:3], s[0:1], exec
	v_lshrrev_b32_e32 v7, 6, v7
	s_cselect_b32 s4, s4, s23
	v_mul_hi_u32 v5, s4, v7
	v_cmp_eq_u32_e64 s[2:3], 0, v5
	v_mul_lo_u32 v5, s4, v7
	v_add_u32_e32 v9, v10, v5
	v_sub_u32_e32 v5, v10, v5
	v_cmp_gt_i32_e64 s[4:5], v5, v10
	v_cndmask_b32_e64 v5, 0, 1, s[4:5]
	v_cmp_lt_i32_e64 s[4:5], v9, v10
	v_cndmask_b32_e64 v9, 0, 1, s[4:5]
	v_cndmask_b32_e64 v5, v9, v5, s[0:1]
	v_and_b32_e32 v5, 1, v5
	v_cmp_eq_u32_e64 s[0:1], 1, v5
	s_xor_b64 s[0:1], s[0:1], -1
	s_mov_b64 s[4:5], -1
	s_and_b64 s[0:1], s[0:1], s[2:3]
	s_and_saveexec_b64 s[2:3], s[0:1]
	s_cbranch_execz .LBB14_9
; %bb.6:
	v_add_u32_e32 v5, 1, v7
	v_add_u32_e32 v10, v1, v4
	v_and_b32_e32 v7, 0x7fffffe, v5
	v_add_u32_e32 v1, 64, v0
	v_cndmask_b32_e32 v12, v6, v8, vcc
	s_mov_b32 s25, s20
	s_mov_b32 s26, s22
	;; [unrolled: 1-line block ×5, first 2 shown]
	s_mov_b64 s[4:5], 0
	v_mov_b32_e32 v9, s19
	v_mov_b32_e32 v14, v10
	;; [unrolled: 1-line block ×8, first 2 shown]
	v_pk_mov_b32 v[20:21], v[0:1], v[0:1] op_sel:[0,1]
.LBB14_7:                               ; =>This Inner Loop Header: Depth=1
	v_ashrrev_i32_e32 v25, 31, v20
	v_mov_b32_e32 v24, v20
	v_mad_u64_u32 v[26:27], s[0:1], v20, s21, v[12:13]
	v_mad_u64_u32 v[28:29], s[0:1], v21, s29, v[18:19]
	v_lshlrev_b64 v[24:25], 2, v[24:25]
	v_ashrrev_i32_e32 v23, 31, v21
	v_mov_b32_e32 v22, v21
	v_add_co_u32_e64 v24, s[0:1], s18, v24
	v_lshlrev_b64 v[22:23], 2, v[22:23]
	v_addc_co_u32_e64 v25, s[0:1], v9, v25, s[0:1]
	v_ashrrev_i32_e32 v27, 31, v26
	v_add_co_u32_e64 v22, s[0:1], s18, v22
	v_addc_co_u32_e64 v23, s[0:1], v9, v23, s[0:1]
	v_lshlrev_b64 v[26:27], 2, v[26:27]
	v_ashrrev_i32_e32 v29, 31, v28
	global_load_dword v1, v[24:25], off
	global_load_dword v19, v[22:23], off
	v_add_co_u32_e64 v22, s[0:1], s12, v26
	v_lshlrev_b64 v[28:29], 2, v[28:29]
	v_addc_co_u32_e64 v23, s[0:1], v13, v27, s[0:1]
	v_add_co_u32_e64 v24, s[0:1], s12, v28
	v_addc_co_u32_e64 v25, s[0:1], v13, v29, s[0:1]
	global_load_dword v34, v[22:23], off
	global_load_dword v35, v[24:25], off
	v_subrev_u32_e32 v22, s22, v20
	v_subrev_u32_e32 v24, s26, v21
	v_mad_u64_u32 v[22:23], s[0:1], v22, s27, v[10:11]
	v_add_u32_e32 v17, -2, v17
	v_mad_u64_u32 v[24:25], s[0:1], v24, s28, v[14:15]
	v_ashrrev_i32_e32 v23, 31, v22
	v_cmp_eq_u32_e64 s[0:1], 0, v17
	v_lshlrev_b64 v[22:23], 2, v[22:23]
	v_ashrrev_i32_e32 v25, 31, v24
	s_or_b64 s[4:5], s[0:1], s[4:5]
	v_add_co_u32_e64 v26, s[0:1], s14, v22
	v_lshlrev_b64 v[24:25], 2, v[24:25]
	v_addc_co_u32_e64 v27, s[0:1], v11, v23, s[0:1]
	v_add_co_u32_e64 v28, s[0:1], s14, v24
	v_addc_co_u32_e64 v29, s[0:1], v11, v25, s[0:1]
	v_add_co_u32_e64 v22, s[0:1], s6, v22
	v_addc_co_u32_e64 v23, s[0:1], v15, v23, s[0:1]
	v_add_u32_e32 v21, 0x80, v21
	v_add_u32_e32 v20, 0x80, v20
	v_add_co_u32_e64 v24, s[0:1], s6, v24
	v_addc_co_u32_e64 v25, s[0:1], v15, v25, s[0:1]
	s_waitcnt vmcnt(3)
	v_subrev_u32_e32 v1, s20, v1
	s_waitcnt vmcnt(2)
	v_subrev_u32_e32 v19, s25, v19
	v_mad_u64_u32 v[30:31], s[0:1], v19, s28, v[16:17]
	v_mad_u64_u32 v[32:33], s[0:1], v1, s27, v[2:3]
	s_waitcnt vmcnt(1)
	global_store_dword v[22:23], v34, off
	s_waitcnt vmcnt(1)
	global_store_dword v[24:25], v35, off
	global_store_dword v[26:27], v32, off
	;; [unrolled: 1-line block ×3, first 2 shown]
	s_andn2_b64 exec, exec, s[4:5]
	s_cbranch_execnz .LBB14_7
; %bb.8:
	s_or_b64 exec, exec, s[4:5]
	v_cmp_ne_u32_e64 s[0:1], v5, v7
	v_lshl_add_u32 v0, v7, 6, v0
	s_orn2_b64 s[4:5], s[0:1], exec
.LBB14_9:
	s_or_b64 exec, exec, s[2:3]
	s_and_b64 s[2:3], s[4:5], exec
.LBB14_10:
	s_or_saveexec_b64 s[0:1], s[10:11]
	v_mov_b32_e32 v1, s24
	v_mov_b32_e32 v10, s23
	s_xor_b64 exec, exec, s[0:1]
; %bb.11:
	s_mul_i32 s4, s8, s22
	s_lshl_b32 s5, s9, 6
	v_mov_b32_e32 v1, s4
	v_mov_b32_e32 v10, s5
	s_or_b64 s[2:3], s[2:3], exec
; %bb.12:
	s_or_b64 exec, exec, s[0:1]
	s_and_b64 exec, exec, s[2:3]
	s_cbranch_execz .LBB14_15
; %bb.13:
	v_cndmask_b32_e32 v6, v6, v8, vcc
	v_mul_lo_u32 v5, v0, s9
	v_mad_u64_u32 v[6:7], s[0:1], v5, s8, v[6:7]
	v_add_u32_e32 v5, s20, v0
	v_add3_u32 v1, v5, v1, v3
	v_subrev_u32_e32 v1, s16, v1
	v_mad_u64_u32 v[4:5], s[0:1], s9, v1, v[4:5]
	v_ashrrev_i32_e32 v1, 31, v0
	v_lshlrev_b64 v[8:9], 2, v[0:1]
	v_mov_b32_e32 v1, s19
	v_add_co_u32_e32 v8, vcc, s18, v8
	s_lshl_b32 s4, s21, 6
	v_addc_co_u32_e32 v9, vcc, v1, v9, vcc
	s_mov_b64 s[2:3], 0
	v_mov_b32_e32 v1, s15
	v_mov_b32_e32 v3, s13
	v_mov_b32_e32 v11, s7
.LBB14_14:                              ; =>This Inner Loop Header: Depth=1
	v_ashrrev_i32_e32 v7, 31, v6
	global_load_dword v16, v[8:9], off
	v_lshlrev_b64 v[12:13], 2, v[6:7]
	v_add_co_u32_e32 v12, vcc, s12, v12
	v_addc_co_u32_e32 v13, vcc, v3, v13, vcc
	global_load_dword v7, v[12:13], off
	v_ashrrev_i32_e32 v5, 31, v4
	v_lshlrev_b64 v[12:13], 2, v[4:5]
	v_add_co_u32_e32 v8, vcc, 0x100, v8
	v_add_co_u32_e64 v14, s[0:1], s14, v12
	v_add_u32_e32 v0, 64, v0
	v_addc_co_u32_e32 v9, vcc, 0, v9, vcc
	v_addc_co_u32_e64 v15, s[0:1], v1, v13, s[0:1]
	v_cmp_le_i32_e32 vcc, s17, v0
	v_add_co_u32_e64 v12, s[0:1], s6, v12
	v_add_u32_e32 v6, s4, v6
	v_add_u32_e32 v4, v4, v10
	v_addc_co_u32_e64 v13, s[0:1], v11, v13, s[0:1]
	s_or_b64 s[2:3], vcc, s[2:3]
	s_waitcnt vmcnt(1)
	v_subrev_u32_e32 v5, s20, v16
	v_mad_u64_u32 v[16:17], s[0:1], v5, s9, v[2:3]
	global_store_dword v[14:15], v16, off
	s_waitcnt vmcnt(1)
	global_store_dword v[12:13], v7, off
	s_andn2_b64 exec, exec, s[2:3]
	s_cbranch_execnz .LBB14_14
.LBB14_15:
	s_endpgm
	.section	.rodata,"a",@progbits
	.p2align	6, 0x0
	.amdhsa_kernel _ZN9rocsparseL35gebsr2csr_block_per_row_1_32_kernelILi1024ELi8ELi2EfEEv20rocsparse_direction_ii21rocsparse_index_base_PKT2_PKiS7_iiS2_PS3_PiS9_
		.amdhsa_group_segment_fixed_size 0
		.amdhsa_private_segment_fixed_size 0
		.amdhsa_kernarg_size 80
		.amdhsa_user_sgpr_count 6
		.amdhsa_user_sgpr_private_segment_buffer 1
		.amdhsa_user_sgpr_dispatch_ptr 0
		.amdhsa_user_sgpr_queue_ptr 0
		.amdhsa_user_sgpr_kernarg_segment_ptr 1
		.amdhsa_user_sgpr_dispatch_id 0
		.amdhsa_user_sgpr_flat_scratch_init 0
		.amdhsa_user_sgpr_kernarg_preload_length 0
		.amdhsa_user_sgpr_kernarg_preload_offset 0
		.amdhsa_user_sgpr_private_segment_size 0
		.amdhsa_uses_dynamic_stack 0
		.amdhsa_system_sgpr_private_segment_wavefront_offset 0
		.amdhsa_system_sgpr_workgroup_id_x 1
		.amdhsa_system_sgpr_workgroup_id_y 0
		.amdhsa_system_sgpr_workgroup_id_z 0
		.amdhsa_system_sgpr_workgroup_info 0
		.amdhsa_system_vgpr_workitem_id 0
		.amdhsa_next_free_vgpr 36
		.amdhsa_next_free_sgpr 30
		.amdhsa_accum_offset 36
		.amdhsa_reserve_vcc 1
		.amdhsa_reserve_flat_scratch 0
		.amdhsa_float_round_mode_32 0
		.amdhsa_float_round_mode_16_64 0
		.amdhsa_float_denorm_mode_32 3
		.amdhsa_float_denorm_mode_16_64 3
		.amdhsa_dx10_clamp 1
		.amdhsa_ieee_mode 1
		.amdhsa_fp16_overflow 0
		.amdhsa_tg_split 0
		.amdhsa_exception_fp_ieee_invalid_op 0
		.amdhsa_exception_fp_denorm_src 0
		.amdhsa_exception_fp_ieee_div_zero 0
		.amdhsa_exception_fp_ieee_overflow 0
		.amdhsa_exception_fp_ieee_underflow 0
		.amdhsa_exception_fp_ieee_inexact 0
		.amdhsa_exception_int_div_zero 0
	.end_amdhsa_kernel
	.section	.text._ZN9rocsparseL35gebsr2csr_block_per_row_1_32_kernelILi1024ELi8ELi2EfEEv20rocsparse_direction_ii21rocsparse_index_base_PKT2_PKiS7_iiS2_PS3_PiS9_,"axG",@progbits,_ZN9rocsparseL35gebsr2csr_block_per_row_1_32_kernelILi1024ELi8ELi2EfEEv20rocsparse_direction_ii21rocsparse_index_base_PKT2_PKiS7_iiS2_PS3_PiS9_,comdat
.Lfunc_end14:
	.size	_ZN9rocsparseL35gebsr2csr_block_per_row_1_32_kernelILi1024ELi8ELi2EfEEv20rocsparse_direction_ii21rocsparse_index_base_PKT2_PKiS7_iiS2_PS3_PiS9_, .Lfunc_end14-_ZN9rocsparseL35gebsr2csr_block_per_row_1_32_kernelILi1024ELi8ELi2EfEEv20rocsparse_direction_ii21rocsparse_index_base_PKT2_PKiS7_iiS2_PS3_PiS9_
                                        ; -- End function
	.section	.AMDGPU.csdata,"",@progbits
; Kernel info:
; codeLenInByte = 1348
; NumSgprs: 34
; NumVgprs: 36
; NumAgprs: 0
; TotalNumVgprs: 36
; ScratchSize: 0
; MemoryBound: 0
; FloatMode: 240
; IeeeMode: 1
; LDSByteSize: 0 bytes/workgroup (compile time only)
; SGPRBlocks: 4
; VGPRBlocks: 4
; NumSGPRsForWavesPerEU: 34
; NumVGPRsForWavesPerEU: 36
; AccumOffset: 36
; Occupancy: 8
; WaveLimiterHint : 0
; COMPUTE_PGM_RSRC2:SCRATCH_EN: 0
; COMPUTE_PGM_RSRC2:USER_SGPR: 6
; COMPUTE_PGM_RSRC2:TRAP_HANDLER: 0
; COMPUTE_PGM_RSRC2:TGID_X_EN: 1
; COMPUTE_PGM_RSRC2:TGID_Y_EN: 0
; COMPUTE_PGM_RSRC2:TGID_Z_EN: 0
; COMPUTE_PGM_RSRC2:TIDIG_COMP_CNT: 0
; COMPUTE_PGM_RSRC3_GFX90A:ACCUM_OFFSET: 8
; COMPUTE_PGM_RSRC3_GFX90A:TG_SPLIT: 0
	.section	.text._ZN9rocsparseL35gebsr2csr_block_per_row_1_32_kernelILi1024ELi8ELi4EfEEv20rocsparse_direction_ii21rocsparse_index_base_PKT2_PKiS7_iiS2_PS3_PiS9_,"axG",@progbits,_ZN9rocsparseL35gebsr2csr_block_per_row_1_32_kernelILi1024ELi8ELi4EfEEv20rocsparse_direction_ii21rocsparse_index_base_PKT2_PKiS7_iiS2_PS3_PiS9_,comdat
	.globl	_ZN9rocsparseL35gebsr2csr_block_per_row_1_32_kernelILi1024ELi8ELi4EfEEv20rocsparse_direction_ii21rocsparse_index_base_PKT2_PKiS7_iiS2_PS3_PiS9_ ; -- Begin function _ZN9rocsparseL35gebsr2csr_block_per_row_1_32_kernelILi1024ELi8ELi4EfEEv20rocsparse_direction_ii21rocsparse_index_base_PKT2_PKiS7_iiS2_PS3_PiS9_
	.p2align	8
	.type	_ZN9rocsparseL35gebsr2csr_block_per_row_1_32_kernelILi1024ELi8ELi4EfEEv20rocsparse_direction_ii21rocsparse_index_base_PKT2_PKiS7_iiS2_PS3_PiS9_,@function
_ZN9rocsparseL35gebsr2csr_block_per_row_1_32_kernelILi1024ELi8ELi4EfEEv20rocsparse_direction_ii21rocsparse_index_base_PKT2_PKiS7_iiS2_PS3_PiS9_: ; @_ZN9rocsparseL35gebsr2csr_block_per_row_1_32_kernelILi1024ELi8ELi4EfEEv20rocsparse_direction_ii21rocsparse_index_base_PKT2_PKiS7_iiS2_PS3_PiS9_
; %bb.0:
	s_load_dwordx2 s[0:1], s[4:5], 0x18
	s_load_dwordx4 s[8:11], s[4:5], 0x28
	s_load_dwordx2 s[2:3], s[4:5], 0x40
	s_ashr_i32 s7, s6, 31
	s_lshl_b64 s[12:13], s[6:7], 2
	s_waitcnt lgkmcnt(0)
	s_add_u32 s12, s0, s12
	v_or_b32_e32 v1, s6, v0
	s_addc_u32 s13, s1, s13
	v_cmp_eq_u32_e32 vcc, 0, v1
	s_and_saveexec_b64 s[0:1], vcc
	s_cbranch_execz .LBB15_2
; %bb.1:
	v_mov_b32_e32 v1, 0
	v_mov_b32_e32 v2, s10
	global_store_dword v1, v2, s[2:3]
.LBB15_2:
	s_or_b64 exec, exec, s[0:1]
	v_and_b32_e32 v4, 3, v0
	v_bfe_u32 v10, v0, 2, 3
	v_cmp_gt_i32_e32 vcc, s8, v10
	v_cmp_gt_i32_e64 s[0:1], s9, v4
	s_and_b64 s[0:1], vcc, s[0:1]
	s_and_saveexec_b64 s[14:15], s[0:1]
	s_cbranch_execz .LBB15_15
; %bb.3:
	s_load_dwordx2 s[16:17], s[12:13], 0x0
	s_load_dword s20, s[4:5], 0xc
	s_mul_i32 s21, s9, s8
	v_lshrrev_b32_e32 v5, 5, v0
	v_mov_b32_e32 v6, s3
	s_waitcnt lgkmcnt(0)
	s_sub_i32 s22, s16, s20
	s_sub_i32 s17, s17, s20
	;; [unrolled: 1-line block ×3, first 2 shown]
	s_mul_i32 s1, s25, s9
	s_mul_i32 s0, s22, s21
	v_mul_lo_u32 v0, s1, v10
	v_add_u32_e32 v1, s0, v0
	s_mul_i32 s0, s6, s8
	v_add_u32_e32 v2, s0, v10
	v_ashrrev_i32_e32 v3, 31, v2
	v_lshlrev_b64 v[2:3], 2, v[2:3]
	s_add_i32 s1, s1, s10
	v_add_co_u32_e32 v2, vcc, s2, v2
	v_add_u32_e32 v0, s1, v1
	v_addc_co_u32_e32 v3, vcc, v6, v3, vcc
	global_store_dword v[2:3], v0, off offset:4
	v_add_u32_e32 v0, s22, v5
	v_cmp_gt_i32_e32 vcc, s17, v0
	s_and_b64 exec, exec, vcc
	s_cbranch_execz .LBB15_15
; %bb.4:
	s_load_dwordx2 s[18:19], s[4:5], 0x20
	s_load_dwordx2 s[6:7], s[4:5], 0x38
	s_load_dword s0, s[4:5], 0x0
	s_load_dwordx2 s[12:13], s[4:5], 0x10
	s_load_dwordx2 s[14:15], s[4:5], 0x48
	v_add_u32_e32 v3, s16, v5
	v_subrev_u32_e32 v3, s20, v3
	s_waitcnt lgkmcnt(0)
	s_cmp_eq_u32 s0, 0
	v_mad_u64_u32 v[6:7], s[0:1], v4, s8, v[10:11]
	v_mad_u64_u32 v[8:9], s[0:1], v10, s9, v[4:5]
	s_cselect_b64 vcc, -1, 0
	v_add_u32_e32 v3, 32, v3
	s_not_b32 s0, s16
	v_max_i32_e32 v3, s17, v3
	s_add_i32 s0, s0, s20
	v_add_u32_e32 v3, s0, v3
	v_sub_u32_e32 v7, v3, v5
	s_movk_i32 s0, 0x21f
	v_add_u32_e32 v2, s10, v4
	v_cmp_lt_u32_e64 s[0:1], s0, v7
	s_mov_b64 s[2:3], 0
	v_mul_lo_u32 v3, s25, v10
                                        ; implicit-def: $sgpr24
                                        ; implicit-def: $sgpr23
	s_and_saveexec_b64 s[4:5], s[0:1]
	s_xor_b64 s[10:11], exec, s[4:5]
	s_cbranch_execz .LBB15_10
; %bb.5:
	s_lshl_b32 s23, s9, 5
	s_mul_i32 s24, s22, s8
	v_mul_lo_u32 v3, s25, v10
	s_sub_i32 s4, 0, s23
	v_add3_u32 v5, v5, s24, v3
	v_mad_u64_u32 v[10:11], s[0:1], v5, s9, v[4:5]
	s_cmp_lt_i32 s23, 0
	s_cselect_b64 s[0:1], -1, 0
	s_and_b64 s[2:3], s[0:1], exec
	v_lshrrev_b32_e32 v7, 5, v7
	s_cselect_b32 s4, s4, s23
	v_mul_hi_u32 v5, s4, v7
	v_cmp_eq_u32_e64 s[2:3], 0, v5
	v_mul_lo_u32 v5, s4, v7
	v_add_u32_e32 v9, v10, v5
	v_sub_u32_e32 v5, v10, v5
	v_cmp_gt_i32_e64 s[4:5], v5, v10
	v_cndmask_b32_e64 v5, 0, 1, s[4:5]
	v_cmp_lt_i32_e64 s[4:5], v9, v10
	v_cndmask_b32_e64 v9, 0, 1, s[4:5]
	v_cndmask_b32_e64 v5, v9, v5, s[0:1]
	v_and_b32_e32 v5, 1, v5
	v_cmp_eq_u32_e64 s[0:1], 1, v5
	s_xor_b64 s[0:1], s[0:1], -1
	s_mov_b64 s[4:5], -1
	s_and_b64 s[0:1], s[0:1], s[2:3]
	s_and_saveexec_b64 s[2:3], s[0:1]
	s_cbranch_execz .LBB15_9
; %bb.6:
	v_add_u32_e32 v5, 1, v7
	v_add_u32_e32 v10, v1, v4
	v_and_b32_e32 v7, 0xffffffe, v5
	v_add_u32_e32 v1, 32, v0
	v_cndmask_b32_e32 v12, v6, v8, vcc
	s_mov_b32 s25, s20
	s_mov_b32 s26, s22
	;; [unrolled: 1-line block ×5, first 2 shown]
	s_mov_b64 s[4:5], 0
	v_mov_b32_e32 v9, s19
	v_mov_b32_e32 v14, v10
	;; [unrolled: 1-line block ×8, first 2 shown]
	v_pk_mov_b32 v[20:21], v[0:1], v[0:1] op_sel:[0,1]
.LBB15_7:                               ; =>This Inner Loop Header: Depth=1
	v_ashrrev_i32_e32 v25, 31, v20
	v_mov_b32_e32 v24, v20
	v_mad_u64_u32 v[26:27], s[0:1], v20, s21, v[12:13]
	v_mad_u64_u32 v[28:29], s[0:1], v21, s29, v[18:19]
	v_lshlrev_b64 v[24:25], 2, v[24:25]
	v_ashrrev_i32_e32 v23, 31, v21
	v_mov_b32_e32 v22, v21
	v_add_co_u32_e64 v24, s[0:1], s18, v24
	v_lshlrev_b64 v[22:23], 2, v[22:23]
	v_addc_co_u32_e64 v25, s[0:1], v9, v25, s[0:1]
	v_ashrrev_i32_e32 v27, 31, v26
	v_add_co_u32_e64 v22, s[0:1], s18, v22
	v_addc_co_u32_e64 v23, s[0:1], v9, v23, s[0:1]
	v_lshlrev_b64 v[26:27], 2, v[26:27]
	v_ashrrev_i32_e32 v29, 31, v28
	global_load_dword v1, v[24:25], off
	global_load_dword v19, v[22:23], off
	v_add_co_u32_e64 v22, s[0:1], s12, v26
	v_lshlrev_b64 v[28:29], 2, v[28:29]
	v_addc_co_u32_e64 v23, s[0:1], v13, v27, s[0:1]
	v_add_co_u32_e64 v24, s[0:1], s12, v28
	v_addc_co_u32_e64 v25, s[0:1], v13, v29, s[0:1]
	global_load_dword v34, v[22:23], off
	global_load_dword v35, v[24:25], off
	v_subrev_u32_e32 v22, s22, v20
	v_subrev_u32_e32 v24, s26, v21
	v_mad_u64_u32 v[22:23], s[0:1], v22, s27, v[10:11]
	v_add_u32_e32 v17, -2, v17
	v_mad_u64_u32 v[24:25], s[0:1], v24, s28, v[14:15]
	v_ashrrev_i32_e32 v23, 31, v22
	v_cmp_eq_u32_e64 s[0:1], 0, v17
	v_lshlrev_b64 v[22:23], 2, v[22:23]
	v_ashrrev_i32_e32 v25, 31, v24
	s_or_b64 s[4:5], s[0:1], s[4:5]
	v_add_co_u32_e64 v26, s[0:1], s14, v22
	v_lshlrev_b64 v[24:25], 2, v[24:25]
	v_addc_co_u32_e64 v27, s[0:1], v11, v23, s[0:1]
	v_add_co_u32_e64 v28, s[0:1], s14, v24
	v_addc_co_u32_e64 v29, s[0:1], v11, v25, s[0:1]
	v_add_co_u32_e64 v22, s[0:1], s6, v22
	v_addc_co_u32_e64 v23, s[0:1], v15, v23, s[0:1]
	v_add_u32_e32 v21, 64, v21
	v_add_u32_e32 v20, 64, v20
	v_add_co_u32_e64 v24, s[0:1], s6, v24
	v_addc_co_u32_e64 v25, s[0:1], v15, v25, s[0:1]
	s_waitcnt vmcnt(3)
	v_subrev_u32_e32 v1, s20, v1
	s_waitcnt vmcnt(2)
	v_subrev_u32_e32 v19, s25, v19
	v_mad_u64_u32 v[30:31], s[0:1], v19, s28, v[16:17]
	v_mad_u64_u32 v[32:33], s[0:1], v1, s27, v[2:3]
	s_waitcnt vmcnt(1)
	global_store_dword v[22:23], v34, off
	s_waitcnt vmcnt(1)
	global_store_dword v[24:25], v35, off
	global_store_dword v[26:27], v32, off
	;; [unrolled: 1-line block ×3, first 2 shown]
	s_andn2_b64 exec, exec, s[4:5]
	s_cbranch_execnz .LBB15_7
; %bb.8:
	s_or_b64 exec, exec, s[4:5]
	v_cmp_ne_u32_e64 s[0:1], v5, v7
	v_lshl_add_u32 v0, v7, 5, v0
	s_orn2_b64 s[4:5], s[0:1], exec
.LBB15_9:
	s_or_b64 exec, exec, s[2:3]
	s_and_b64 s[2:3], s[4:5], exec
.LBB15_10:
	s_or_saveexec_b64 s[0:1], s[10:11]
	v_mov_b32_e32 v1, s24
	v_mov_b32_e32 v10, s23
	s_xor_b64 exec, exec, s[0:1]
; %bb.11:
	s_mul_i32 s4, s8, s22
	s_lshl_b32 s5, s9, 5
	v_mov_b32_e32 v1, s4
	v_mov_b32_e32 v10, s5
	s_or_b64 s[2:3], s[2:3], exec
; %bb.12:
	s_or_b64 exec, exec, s[0:1]
	s_and_b64 exec, exec, s[2:3]
	s_cbranch_execz .LBB15_15
; %bb.13:
	v_cndmask_b32_e32 v6, v6, v8, vcc
	v_mul_lo_u32 v5, v0, s9
	v_mad_u64_u32 v[6:7], s[0:1], v5, s8, v[6:7]
	v_add_u32_e32 v5, s20, v0
	v_add3_u32 v1, v5, v1, v3
	v_subrev_u32_e32 v1, s16, v1
	v_mad_u64_u32 v[4:5], s[0:1], s9, v1, v[4:5]
	v_ashrrev_i32_e32 v1, 31, v0
	v_lshlrev_b64 v[8:9], 2, v[0:1]
	v_mov_b32_e32 v1, s19
	v_add_co_u32_e32 v8, vcc, s18, v8
	s_lshl_b32 s4, s21, 5
	v_addc_co_u32_e32 v9, vcc, v1, v9, vcc
	s_mov_b64 s[2:3], 0
	v_mov_b32_e32 v1, s15
	v_mov_b32_e32 v3, s13
	;; [unrolled: 1-line block ×3, first 2 shown]
.LBB15_14:                              ; =>This Inner Loop Header: Depth=1
	v_ashrrev_i32_e32 v7, 31, v6
	global_load_dword v16, v[8:9], off
	v_lshlrev_b64 v[12:13], 2, v[6:7]
	v_add_co_u32_e32 v12, vcc, s12, v12
	v_addc_co_u32_e32 v13, vcc, v3, v13, vcc
	global_load_dword v7, v[12:13], off
	v_ashrrev_i32_e32 v5, 31, v4
	v_lshlrev_b64 v[12:13], 2, v[4:5]
	v_add_co_u32_e32 v8, vcc, 0x80, v8
	v_add_co_u32_e64 v14, s[0:1], s14, v12
	v_add_u32_e32 v0, 32, v0
	v_addc_co_u32_e32 v9, vcc, 0, v9, vcc
	v_addc_co_u32_e64 v15, s[0:1], v1, v13, s[0:1]
	v_cmp_le_i32_e32 vcc, s17, v0
	v_add_co_u32_e64 v12, s[0:1], s6, v12
	v_add_u32_e32 v6, s4, v6
	v_add_u32_e32 v4, v4, v10
	v_addc_co_u32_e64 v13, s[0:1], v11, v13, s[0:1]
	s_or_b64 s[2:3], vcc, s[2:3]
	s_waitcnt vmcnt(1)
	v_subrev_u32_e32 v5, s20, v16
	v_mad_u64_u32 v[16:17], s[0:1], v5, s9, v[2:3]
	global_store_dword v[14:15], v16, off
	s_waitcnt vmcnt(1)
	global_store_dword v[12:13], v7, off
	s_andn2_b64 exec, exec, s[2:3]
	s_cbranch_execnz .LBB15_14
.LBB15_15:
	s_endpgm
	.section	.rodata,"a",@progbits
	.p2align	6, 0x0
	.amdhsa_kernel _ZN9rocsparseL35gebsr2csr_block_per_row_1_32_kernelILi1024ELi8ELi4EfEEv20rocsparse_direction_ii21rocsparse_index_base_PKT2_PKiS7_iiS2_PS3_PiS9_
		.amdhsa_group_segment_fixed_size 0
		.amdhsa_private_segment_fixed_size 0
		.amdhsa_kernarg_size 80
		.amdhsa_user_sgpr_count 6
		.amdhsa_user_sgpr_private_segment_buffer 1
		.amdhsa_user_sgpr_dispatch_ptr 0
		.amdhsa_user_sgpr_queue_ptr 0
		.amdhsa_user_sgpr_kernarg_segment_ptr 1
		.amdhsa_user_sgpr_dispatch_id 0
		.amdhsa_user_sgpr_flat_scratch_init 0
		.amdhsa_user_sgpr_kernarg_preload_length 0
		.amdhsa_user_sgpr_kernarg_preload_offset 0
		.amdhsa_user_sgpr_private_segment_size 0
		.amdhsa_uses_dynamic_stack 0
		.amdhsa_system_sgpr_private_segment_wavefront_offset 0
		.amdhsa_system_sgpr_workgroup_id_x 1
		.amdhsa_system_sgpr_workgroup_id_y 0
		.amdhsa_system_sgpr_workgroup_id_z 0
		.amdhsa_system_sgpr_workgroup_info 0
		.amdhsa_system_vgpr_workitem_id 0
		.amdhsa_next_free_vgpr 36
		.amdhsa_next_free_sgpr 30
		.amdhsa_accum_offset 36
		.amdhsa_reserve_vcc 1
		.amdhsa_reserve_flat_scratch 0
		.amdhsa_float_round_mode_32 0
		.amdhsa_float_round_mode_16_64 0
		.amdhsa_float_denorm_mode_32 3
		.amdhsa_float_denorm_mode_16_64 3
		.amdhsa_dx10_clamp 1
		.amdhsa_ieee_mode 1
		.amdhsa_fp16_overflow 0
		.amdhsa_tg_split 0
		.amdhsa_exception_fp_ieee_invalid_op 0
		.amdhsa_exception_fp_denorm_src 0
		.amdhsa_exception_fp_ieee_div_zero 0
		.amdhsa_exception_fp_ieee_overflow 0
		.amdhsa_exception_fp_ieee_underflow 0
		.amdhsa_exception_fp_ieee_inexact 0
		.amdhsa_exception_int_div_zero 0
	.end_amdhsa_kernel
	.section	.text._ZN9rocsparseL35gebsr2csr_block_per_row_1_32_kernelILi1024ELi8ELi4EfEEv20rocsparse_direction_ii21rocsparse_index_base_PKT2_PKiS7_iiS2_PS3_PiS9_,"axG",@progbits,_ZN9rocsparseL35gebsr2csr_block_per_row_1_32_kernelILi1024ELi8ELi4EfEEv20rocsparse_direction_ii21rocsparse_index_base_PKT2_PKiS7_iiS2_PS3_PiS9_,comdat
.Lfunc_end15:
	.size	_ZN9rocsparseL35gebsr2csr_block_per_row_1_32_kernelILi1024ELi8ELi4EfEEv20rocsparse_direction_ii21rocsparse_index_base_PKT2_PKiS7_iiS2_PS3_PiS9_, .Lfunc_end15-_ZN9rocsparseL35gebsr2csr_block_per_row_1_32_kernelILi1024ELi8ELi4EfEEv20rocsparse_direction_ii21rocsparse_index_base_PKT2_PKiS7_iiS2_PS3_PiS9_
                                        ; -- End function
	.section	.AMDGPU.csdata,"",@progbits
; Kernel info:
; codeLenInByte = 1340
; NumSgprs: 34
; NumVgprs: 36
; NumAgprs: 0
; TotalNumVgprs: 36
; ScratchSize: 0
; MemoryBound: 0
; FloatMode: 240
; IeeeMode: 1
; LDSByteSize: 0 bytes/workgroup (compile time only)
; SGPRBlocks: 4
; VGPRBlocks: 4
; NumSGPRsForWavesPerEU: 34
; NumVGPRsForWavesPerEU: 36
; AccumOffset: 36
; Occupancy: 8
; WaveLimiterHint : 0
; COMPUTE_PGM_RSRC2:SCRATCH_EN: 0
; COMPUTE_PGM_RSRC2:USER_SGPR: 6
; COMPUTE_PGM_RSRC2:TRAP_HANDLER: 0
; COMPUTE_PGM_RSRC2:TGID_X_EN: 1
; COMPUTE_PGM_RSRC2:TGID_Y_EN: 0
; COMPUTE_PGM_RSRC2:TGID_Z_EN: 0
; COMPUTE_PGM_RSRC2:TIDIG_COMP_CNT: 0
; COMPUTE_PGM_RSRC3_GFX90A:ACCUM_OFFSET: 8
; COMPUTE_PGM_RSRC3_GFX90A:TG_SPLIT: 0
	.section	.text._ZN9rocsparseL35gebsr2csr_block_per_row_1_32_kernelILi1024ELi8ELi8EfEEv20rocsparse_direction_ii21rocsparse_index_base_PKT2_PKiS7_iiS2_PS3_PiS9_,"axG",@progbits,_ZN9rocsparseL35gebsr2csr_block_per_row_1_32_kernelILi1024ELi8ELi8EfEEv20rocsparse_direction_ii21rocsparse_index_base_PKT2_PKiS7_iiS2_PS3_PiS9_,comdat
	.globl	_ZN9rocsparseL35gebsr2csr_block_per_row_1_32_kernelILi1024ELi8ELi8EfEEv20rocsparse_direction_ii21rocsparse_index_base_PKT2_PKiS7_iiS2_PS3_PiS9_ ; -- Begin function _ZN9rocsparseL35gebsr2csr_block_per_row_1_32_kernelILi1024ELi8ELi8EfEEv20rocsparse_direction_ii21rocsparse_index_base_PKT2_PKiS7_iiS2_PS3_PiS9_
	.p2align	8
	.type	_ZN9rocsparseL35gebsr2csr_block_per_row_1_32_kernelILi1024ELi8ELi8EfEEv20rocsparse_direction_ii21rocsparse_index_base_PKT2_PKiS7_iiS2_PS3_PiS9_,@function
_ZN9rocsparseL35gebsr2csr_block_per_row_1_32_kernelILi1024ELi8ELi8EfEEv20rocsparse_direction_ii21rocsparse_index_base_PKT2_PKiS7_iiS2_PS3_PiS9_: ; @_ZN9rocsparseL35gebsr2csr_block_per_row_1_32_kernelILi1024ELi8ELi8EfEEv20rocsparse_direction_ii21rocsparse_index_base_PKT2_PKiS7_iiS2_PS3_PiS9_
; %bb.0:
	s_load_dwordx2 s[0:1], s[4:5], 0x18
	s_load_dwordx4 s[8:11], s[4:5], 0x28
	s_load_dwordx2 s[2:3], s[4:5], 0x40
	s_ashr_i32 s7, s6, 31
	s_lshl_b64 s[12:13], s[6:7], 2
	s_waitcnt lgkmcnt(0)
	s_add_u32 s12, s0, s12
	v_or_b32_e32 v1, s6, v0
	s_addc_u32 s13, s1, s13
	v_cmp_eq_u32_e32 vcc, 0, v1
	s_and_saveexec_b64 s[0:1], vcc
	s_cbranch_execz .LBB16_2
; %bb.1:
	v_mov_b32_e32 v1, 0
	v_mov_b32_e32 v2, s10
	global_store_dword v1, v2, s[2:3]
.LBB16_2:
	s_or_b64 exec, exec, s[0:1]
	v_and_b32_e32 v4, 7, v0
	v_bfe_u32 v10, v0, 3, 3
	v_cmp_gt_i32_e32 vcc, s8, v10
	v_cmp_gt_i32_e64 s[0:1], s9, v4
	s_and_b64 s[0:1], vcc, s[0:1]
	s_and_saveexec_b64 s[14:15], s[0:1]
	s_cbranch_execz .LBB16_15
; %bb.3:
	s_load_dwordx2 s[16:17], s[12:13], 0x0
	s_load_dword s20, s[4:5], 0xc
	s_mul_i32 s21, s9, s8
	v_lshrrev_b32_e32 v5, 6, v0
	v_mov_b32_e32 v6, s3
	s_waitcnt lgkmcnt(0)
	s_sub_i32 s22, s16, s20
	s_sub_i32 s17, s17, s20
	;; [unrolled: 1-line block ×3, first 2 shown]
	s_mul_i32 s1, s25, s9
	s_mul_i32 s0, s22, s21
	v_mul_lo_u32 v0, s1, v10
	v_add_u32_e32 v1, s0, v0
	s_mul_i32 s0, s6, s8
	v_add_u32_e32 v2, s0, v10
	v_ashrrev_i32_e32 v3, 31, v2
	v_lshlrev_b64 v[2:3], 2, v[2:3]
	s_add_i32 s1, s1, s10
	v_add_co_u32_e32 v2, vcc, s2, v2
	v_add_u32_e32 v0, s1, v1
	v_addc_co_u32_e32 v3, vcc, v6, v3, vcc
	global_store_dword v[2:3], v0, off offset:4
	v_add_u32_e32 v0, s22, v5
	v_cmp_gt_i32_e32 vcc, s17, v0
	s_and_b64 exec, exec, vcc
	s_cbranch_execz .LBB16_15
; %bb.4:
	s_load_dwordx2 s[18:19], s[4:5], 0x20
	s_load_dwordx2 s[6:7], s[4:5], 0x38
	s_load_dword s0, s[4:5], 0x0
	s_load_dwordx2 s[12:13], s[4:5], 0x10
	s_load_dwordx2 s[14:15], s[4:5], 0x48
	v_add_u32_e32 v3, s16, v5
	v_subrev_u32_e32 v3, s20, v3
	s_waitcnt lgkmcnt(0)
	s_cmp_eq_u32 s0, 0
	v_mad_u64_u32 v[6:7], s[0:1], v4, s8, v[10:11]
	v_mad_u64_u32 v[8:9], s[0:1], v10, s9, v[4:5]
	s_cselect_b64 vcc, -1, 0
	v_add_u32_e32 v3, 16, v3
	s_not_b32 s0, s16
	v_max_i32_e32 v3, s17, v3
	s_add_i32 s0, s0, s20
	v_add_u32_e32 v3, s0, v3
	v_sub_u32_e32 v7, v3, v5
	s_movk_i32 s0, 0x10f
	v_add_u32_e32 v2, s10, v4
	v_cmp_lt_u32_e64 s[0:1], s0, v7
	s_mov_b64 s[2:3], 0
	v_mul_lo_u32 v3, s25, v10
                                        ; implicit-def: $sgpr24
                                        ; implicit-def: $sgpr23
	s_and_saveexec_b64 s[4:5], s[0:1]
	s_xor_b64 s[10:11], exec, s[4:5]
	s_cbranch_execz .LBB16_10
; %bb.5:
	s_lshl_b32 s23, s9, 4
	s_mul_i32 s24, s22, s8
	v_mul_lo_u32 v3, s25, v10
	s_sub_i32 s4, 0, s23
	v_add3_u32 v5, v5, s24, v3
	v_mad_u64_u32 v[10:11], s[0:1], v5, s9, v[4:5]
	s_cmp_lt_i32 s23, 0
	s_cselect_b64 s[0:1], -1, 0
	s_and_b64 s[2:3], s[0:1], exec
	v_lshrrev_b32_e32 v7, 4, v7
	s_cselect_b32 s4, s4, s23
	v_mul_hi_u32 v5, s4, v7
	v_cmp_eq_u32_e64 s[2:3], 0, v5
	v_mul_lo_u32 v5, s4, v7
	v_add_u32_e32 v9, v10, v5
	v_sub_u32_e32 v5, v10, v5
	v_cmp_gt_i32_e64 s[4:5], v5, v10
	v_cndmask_b32_e64 v5, 0, 1, s[4:5]
	v_cmp_lt_i32_e64 s[4:5], v9, v10
	v_cndmask_b32_e64 v9, 0, 1, s[4:5]
	v_cndmask_b32_e64 v5, v9, v5, s[0:1]
	v_and_b32_e32 v5, 1, v5
	v_cmp_eq_u32_e64 s[0:1], 1, v5
	s_xor_b64 s[0:1], s[0:1], -1
	s_mov_b64 s[4:5], -1
	s_and_b64 s[0:1], s[0:1], s[2:3]
	s_and_saveexec_b64 s[2:3], s[0:1]
	s_cbranch_execz .LBB16_9
; %bb.6:
	v_add_u32_e32 v5, 1, v7
	v_add_u32_e32 v10, v1, v4
	v_and_b32_e32 v7, 0x1ffffffe, v5
	v_add_u32_e32 v1, 16, v0
	v_cndmask_b32_e32 v12, v6, v8, vcc
	s_mov_b32 s25, s20
	s_mov_b32 s26, s22
	;; [unrolled: 1-line block ×5, first 2 shown]
	s_mov_b64 s[4:5], 0
	v_mov_b32_e32 v9, s19
	v_mov_b32_e32 v14, v10
	;; [unrolled: 1-line block ×8, first 2 shown]
	v_pk_mov_b32 v[20:21], v[0:1], v[0:1] op_sel:[0,1]
.LBB16_7:                               ; =>This Inner Loop Header: Depth=1
	v_ashrrev_i32_e32 v25, 31, v20
	v_mov_b32_e32 v24, v20
	v_mad_u64_u32 v[26:27], s[0:1], v20, s21, v[12:13]
	v_mad_u64_u32 v[28:29], s[0:1], v21, s29, v[18:19]
	v_lshlrev_b64 v[24:25], 2, v[24:25]
	v_ashrrev_i32_e32 v23, 31, v21
	v_mov_b32_e32 v22, v21
	v_add_co_u32_e64 v24, s[0:1], s18, v24
	v_lshlrev_b64 v[22:23], 2, v[22:23]
	v_addc_co_u32_e64 v25, s[0:1], v9, v25, s[0:1]
	v_ashrrev_i32_e32 v27, 31, v26
	v_add_co_u32_e64 v22, s[0:1], s18, v22
	v_addc_co_u32_e64 v23, s[0:1], v9, v23, s[0:1]
	v_lshlrev_b64 v[26:27], 2, v[26:27]
	v_ashrrev_i32_e32 v29, 31, v28
	global_load_dword v1, v[24:25], off
	global_load_dword v19, v[22:23], off
	v_add_co_u32_e64 v22, s[0:1], s12, v26
	v_lshlrev_b64 v[28:29], 2, v[28:29]
	v_addc_co_u32_e64 v23, s[0:1], v13, v27, s[0:1]
	v_add_co_u32_e64 v24, s[0:1], s12, v28
	v_addc_co_u32_e64 v25, s[0:1], v13, v29, s[0:1]
	global_load_dword v34, v[22:23], off
	global_load_dword v35, v[24:25], off
	v_subrev_u32_e32 v22, s22, v20
	v_subrev_u32_e32 v24, s26, v21
	v_mad_u64_u32 v[22:23], s[0:1], v22, s27, v[10:11]
	v_add_u32_e32 v17, -2, v17
	v_mad_u64_u32 v[24:25], s[0:1], v24, s28, v[14:15]
	v_ashrrev_i32_e32 v23, 31, v22
	v_cmp_eq_u32_e64 s[0:1], 0, v17
	v_lshlrev_b64 v[22:23], 2, v[22:23]
	v_ashrrev_i32_e32 v25, 31, v24
	s_or_b64 s[4:5], s[0:1], s[4:5]
	v_add_co_u32_e64 v26, s[0:1], s14, v22
	v_lshlrev_b64 v[24:25], 2, v[24:25]
	v_addc_co_u32_e64 v27, s[0:1], v11, v23, s[0:1]
	v_add_co_u32_e64 v28, s[0:1], s14, v24
	v_addc_co_u32_e64 v29, s[0:1], v11, v25, s[0:1]
	v_add_co_u32_e64 v22, s[0:1], s6, v22
	v_addc_co_u32_e64 v23, s[0:1], v15, v23, s[0:1]
	v_add_u32_e32 v21, 32, v21
	v_add_u32_e32 v20, 32, v20
	v_add_co_u32_e64 v24, s[0:1], s6, v24
	v_addc_co_u32_e64 v25, s[0:1], v15, v25, s[0:1]
	s_waitcnt vmcnt(3)
	v_subrev_u32_e32 v1, s20, v1
	s_waitcnt vmcnt(2)
	v_subrev_u32_e32 v19, s25, v19
	v_mad_u64_u32 v[30:31], s[0:1], v19, s28, v[16:17]
	v_mad_u64_u32 v[32:33], s[0:1], v1, s27, v[2:3]
	s_waitcnt vmcnt(1)
	global_store_dword v[22:23], v34, off
	s_waitcnt vmcnt(1)
	global_store_dword v[24:25], v35, off
	global_store_dword v[26:27], v32, off
	global_store_dword v[28:29], v30, off
	s_andn2_b64 exec, exec, s[4:5]
	s_cbranch_execnz .LBB16_7
; %bb.8:
	s_or_b64 exec, exec, s[4:5]
	v_cmp_ne_u32_e64 s[0:1], v5, v7
	v_lshl_add_u32 v0, v7, 4, v0
	s_orn2_b64 s[4:5], s[0:1], exec
.LBB16_9:
	s_or_b64 exec, exec, s[2:3]
	s_and_b64 s[2:3], s[4:5], exec
.LBB16_10:
	s_or_saveexec_b64 s[0:1], s[10:11]
	v_mov_b32_e32 v1, s24
	v_mov_b32_e32 v10, s23
	s_xor_b64 exec, exec, s[0:1]
; %bb.11:
	s_mul_i32 s4, s8, s22
	s_lshl_b32 s5, s9, 4
	v_mov_b32_e32 v1, s4
	v_mov_b32_e32 v10, s5
	s_or_b64 s[2:3], s[2:3], exec
; %bb.12:
	s_or_b64 exec, exec, s[0:1]
	s_and_b64 exec, exec, s[2:3]
	s_cbranch_execz .LBB16_15
; %bb.13:
	v_cndmask_b32_e32 v6, v6, v8, vcc
	v_mul_lo_u32 v5, v0, s9
	v_mad_u64_u32 v[6:7], s[0:1], v5, s8, v[6:7]
	v_add_u32_e32 v5, s20, v0
	v_add3_u32 v1, v5, v1, v3
	v_subrev_u32_e32 v1, s16, v1
	v_mad_u64_u32 v[4:5], s[0:1], s9, v1, v[4:5]
	v_ashrrev_i32_e32 v1, 31, v0
	v_lshlrev_b64 v[8:9], 2, v[0:1]
	v_mov_b32_e32 v1, s19
	v_add_co_u32_e32 v8, vcc, s18, v8
	s_lshl_b32 s4, s21, 4
	v_addc_co_u32_e32 v9, vcc, v1, v9, vcc
	s_mov_b64 s[2:3], 0
	v_mov_b32_e32 v1, s15
	v_mov_b32_e32 v3, s13
	;; [unrolled: 1-line block ×3, first 2 shown]
.LBB16_14:                              ; =>This Inner Loop Header: Depth=1
	v_ashrrev_i32_e32 v7, 31, v6
	global_load_dword v16, v[8:9], off
	v_lshlrev_b64 v[12:13], 2, v[6:7]
	v_add_co_u32_e32 v12, vcc, s12, v12
	v_addc_co_u32_e32 v13, vcc, v3, v13, vcc
	global_load_dword v7, v[12:13], off
	v_ashrrev_i32_e32 v5, 31, v4
	v_lshlrev_b64 v[12:13], 2, v[4:5]
	v_add_co_u32_e32 v8, vcc, 64, v8
	v_add_co_u32_e64 v14, s[0:1], s14, v12
	v_add_u32_e32 v0, 16, v0
	v_addc_co_u32_e32 v9, vcc, 0, v9, vcc
	v_addc_co_u32_e64 v15, s[0:1], v1, v13, s[0:1]
	v_cmp_le_i32_e32 vcc, s17, v0
	v_add_co_u32_e64 v12, s[0:1], s6, v12
	v_add_u32_e32 v6, s4, v6
	v_add_u32_e32 v4, v4, v10
	v_addc_co_u32_e64 v13, s[0:1], v11, v13, s[0:1]
	s_or_b64 s[2:3], vcc, s[2:3]
	s_waitcnt vmcnt(1)
	v_subrev_u32_e32 v5, s20, v16
	v_mad_u64_u32 v[16:17], s[0:1], v5, s9, v[2:3]
	global_store_dword v[14:15], v16, off
	s_waitcnt vmcnt(1)
	global_store_dword v[12:13], v7, off
	s_andn2_b64 exec, exec, s[2:3]
	s_cbranch_execnz .LBB16_14
.LBB16_15:
	s_endpgm
	.section	.rodata,"a",@progbits
	.p2align	6, 0x0
	.amdhsa_kernel _ZN9rocsparseL35gebsr2csr_block_per_row_1_32_kernelILi1024ELi8ELi8EfEEv20rocsparse_direction_ii21rocsparse_index_base_PKT2_PKiS7_iiS2_PS3_PiS9_
		.amdhsa_group_segment_fixed_size 0
		.amdhsa_private_segment_fixed_size 0
		.amdhsa_kernarg_size 80
		.amdhsa_user_sgpr_count 6
		.amdhsa_user_sgpr_private_segment_buffer 1
		.amdhsa_user_sgpr_dispatch_ptr 0
		.amdhsa_user_sgpr_queue_ptr 0
		.amdhsa_user_sgpr_kernarg_segment_ptr 1
		.amdhsa_user_sgpr_dispatch_id 0
		.amdhsa_user_sgpr_flat_scratch_init 0
		.amdhsa_user_sgpr_kernarg_preload_length 0
		.amdhsa_user_sgpr_kernarg_preload_offset 0
		.amdhsa_user_sgpr_private_segment_size 0
		.amdhsa_uses_dynamic_stack 0
		.amdhsa_system_sgpr_private_segment_wavefront_offset 0
		.amdhsa_system_sgpr_workgroup_id_x 1
		.amdhsa_system_sgpr_workgroup_id_y 0
		.amdhsa_system_sgpr_workgroup_id_z 0
		.amdhsa_system_sgpr_workgroup_info 0
		.amdhsa_system_vgpr_workitem_id 0
		.amdhsa_next_free_vgpr 36
		.amdhsa_next_free_sgpr 30
		.amdhsa_accum_offset 36
		.amdhsa_reserve_vcc 1
		.amdhsa_reserve_flat_scratch 0
		.amdhsa_float_round_mode_32 0
		.amdhsa_float_round_mode_16_64 0
		.amdhsa_float_denorm_mode_32 3
		.amdhsa_float_denorm_mode_16_64 3
		.amdhsa_dx10_clamp 1
		.amdhsa_ieee_mode 1
		.amdhsa_fp16_overflow 0
		.amdhsa_tg_split 0
		.amdhsa_exception_fp_ieee_invalid_op 0
		.amdhsa_exception_fp_denorm_src 0
		.amdhsa_exception_fp_ieee_div_zero 0
		.amdhsa_exception_fp_ieee_overflow 0
		.amdhsa_exception_fp_ieee_underflow 0
		.amdhsa_exception_fp_ieee_inexact 0
		.amdhsa_exception_int_div_zero 0
	.end_amdhsa_kernel
	.section	.text._ZN9rocsparseL35gebsr2csr_block_per_row_1_32_kernelILi1024ELi8ELi8EfEEv20rocsparse_direction_ii21rocsparse_index_base_PKT2_PKiS7_iiS2_PS3_PiS9_,"axG",@progbits,_ZN9rocsparseL35gebsr2csr_block_per_row_1_32_kernelILi1024ELi8ELi8EfEEv20rocsparse_direction_ii21rocsparse_index_base_PKT2_PKiS7_iiS2_PS3_PiS9_,comdat
.Lfunc_end16:
	.size	_ZN9rocsparseL35gebsr2csr_block_per_row_1_32_kernelILi1024ELi8ELi8EfEEv20rocsparse_direction_ii21rocsparse_index_base_PKT2_PKiS7_iiS2_PS3_PiS9_, .Lfunc_end16-_ZN9rocsparseL35gebsr2csr_block_per_row_1_32_kernelILi1024ELi8ELi8EfEEv20rocsparse_direction_ii21rocsparse_index_base_PKT2_PKiS7_iiS2_PS3_PiS9_
                                        ; -- End function
	.section	.AMDGPU.csdata,"",@progbits
; Kernel info:
; codeLenInByte = 1336
; NumSgprs: 34
; NumVgprs: 36
; NumAgprs: 0
; TotalNumVgprs: 36
; ScratchSize: 0
; MemoryBound: 0
; FloatMode: 240
; IeeeMode: 1
; LDSByteSize: 0 bytes/workgroup (compile time only)
; SGPRBlocks: 4
; VGPRBlocks: 4
; NumSGPRsForWavesPerEU: 34
; NumVGPRsForWavesPerEU: 36
; AccumOffset: 36
; Occupancy: 8
; WaveLimiterHint : 0
; COMPUTE_PGM_RSRC2:SCRATCH_EN: 0
; COMPUTE_PGM_RSRC2:USER_SGPR: 6
; COMPUTE_PGM_RSRC2:TRAP_HANDLER: 0
; COMPUTE_PGM_RSRC2:TGID_X_EN: 1
; COMPUTE_PGM_RSRC2:TGID_Y_EN: 0
; COMPUTE_PGM_RSRC2:TGID_Z_EN: 0
; COMPUTE_PGM_RSRC2:TIDIG_COMP_CNT: 0
; COMPUTE_PGM_RSRC3_GFX90A:ACCUM_OFFSET: 8
; COMPUTE_PGM_RSRC3_GFX90A:TG_SPLIT: 0
	.section	.text._ZN9rocsparseL35gebsr2csr_block_per_row_1_32_kernelILi1024ELi8ELi16EfEEv20rocsparse_direction_ii21rocsparse_index_base_PKT2_PKiS7_iiS2_PS3_PiS9_,"axG",@progbits,_ZN9rocsparseL35gebsr2csr_block_per_row_1_32_kernelILi1024ELi8ELi16EfEEv20rocsparse_direction_ii21rocsparse_index_base_PKT2_PKiS7_iiS2_PS3_PiS9_,comdat
	.globl	_ZN9rocsparseL35gebsr2csr_block_per_row_1_32_kernelILi1024ELi8ELi16EfEEv20rocsparse_direction_ii21rocsparse_index_base_PKT2_PKiS7_iiS2_PS3_PiS9_ ; -- Begin function _ZN9rocsparseL35gebsr2csr_block_per_row_1_32_kernelILi1024ELi8ELi16EfEEv20rocsparse_direction_ii21rocsparse_index_base_PKT2_PKiS7_iiS2_PS3_PiS9_
	.p2align	8
	.type	_ZN9rocsparseL35gebsr2csr_block_per_row_1_32_kernelILi1024ELi8ELi16EfEEv20rocsparse_direction_ii21rocsparse_index_base_PKT2_PKiS7_iiS2_PS3_PiS9_,@function
_ZN9rocsparseL35gebsr2csr_block_per_row_1_32_kernelILi1024ELi8ELi16EfEEv20rocsparse_direction_ii21rocsparse_index_base_PKT2_PKiS7_iiS2_PS3_PiS9_: ; @_ZN9rocsparseL35gebsr2csr_block_per_row_1_32_kernelILi1024ELi8ELi16EfEEv20rocsparse_direction_ii21rocsparse_index_base_PKT2_PKiS7_iiS2_PS3_PiS9_
; %bb.0:
	s_load_dwordx2 s[0:1], s[4:5], 0x18
	s_load_dwordx4 s[8:11], s[4:5], 0x28
	s_load_dwordx2 s[2:3], s[4:5], 0x40
	s_ashr_i32 s7, s6, 31
	s_lshl_b64 s[12:13], s[6:7], 2
	s_waitcnt lgkmcnt(0)
	s_add_u32 s12, s0, s12
	v_or_b32_e32 v1, s6, v0
	s_addc_u32 s13, s1, s13
	v_cmp_eq_u32_e32 vcc, 0, v1
	s_and_saveexec_b64 s[0:1], vcc
	s_cbranch_execz .LBB17_2
; %bb.1:
	v_mov_b32_e32 v1, 0
	v_mov_b32_e32 v2, s10
	global_store_dword v1, v2, s[2:3]
.LBB17_2:
	s_or_b64 exec, exec, s[0:1]
	v_and_b32_e32 v4, 15, v0
	v_bfe_u32 v10, v0, 4, 3
	v_cmp_gt_i32_e32 vcc, s8, v10
	v_cmp_gt_i32_e64 s[0:1], s9, v4
	s_and_b64 s[0:1], vcc, s[0:1]
	s_and_saveexec_b64 s[14:15], s[0:1]
	s_cbranch_execz .LBB17_15
; %bb.3:
	s_load_dwordx2 s[16:17], s[12:13], 0x0
	s_load_dword s20, s[4:5], 0xc
	s_mul_i32 s21, s9, s8
	v_lshrrev_b32_e32 v5, 7, v0
	v_mov_b32_e32 v6, s3
	s_waitcnt lgkmcnt(0)
	s_sub_i32 s22, s16, s20
	s_sub_i32 s17, s17, s20
	;; [unrolled: 1-line block ×3, first 2 shown]
	s_mul_i32 s1, s25, s9
	s_mul_i32 s0, s22, s21
	v_mul_lo_u32 v0, s1, v10
	v_add_u32_e32 v1, s0, v0
	s_mul_i32 s0, s6, s8
	v_add_u32_e32 v2, s0, v10
	v_ashrrev_i32_e32 v3, 31, v2
	v_lshlrev_b64 v[2:3], 2, v[2:3]
	s_add_i32 s1, s1, s10
	v_add_co_u32_e32 v2, vcc, s2, v2
	v_add_u32_e32 v0, s1, v1
	v_addc_co_u32_e32 v3, vcc, v6, v3, vcc
	global_store_dword v[2:3], v0, off offset:4
	v_add_u32_e32 v0, s22, v5
	v_cmp_gt_i32_e32 vcc, s17, v0
	s_and_b64 exec, exec, vcc
	s_cbranch_execz .LBB17_15
; %bb.4:
	s_load_dwordx2 s[18:19], s[4:5], 0x20
	s_load_dwordx2 s[6:7], s[4:5], 0x38
	s_load_dword s0, s[4:5], 0x0
	s_load_dwordx2 s[12:13], s[4:5], 0x10
	s_load_dwordx2 s[14:15], s[4:5], 0x48
	v_add_u32_e32 v3, s16, v5
	v_subrev_u32_e32 v3, s20, v3
	s_waitcnt lgkmcnt(0)
	s_cmp_eq_u32 s0, 0
	v_mad_u64_u32 v[6:7], s[0:1], v4, s8, v[10:11]
	v_mad_u64_u32 v[8:9], s[0:1], v10, s9, v[4:5]
	s_cselect_b64 vcc, -1, 0
	v_add_u32_e32 v3, 8, v3
	s_not_b32 s0, s16
	v_max_i32_e32 v3, s17, v3
	s_add_i32 s0, s0, s20
	v_add_u32_e32 v3, s0, v3
	v_sub_u32_e32 v7, v3, v5
	s_movk_i32 s0, 0x87
	v_add_u32_e32 v2, s10, v4
	v_cmp_lt_u32_e64 s[0:1], s0, v7
	s_mov_b64 s[2:3], 0
	v_mul_lo_u32 v3, s25, v10
                                        ; implicit-def: $sgpr24
                                        ; implicit-def: $sgpr23
	s_and_saveexec_b64 s[4:5], s[0:1]
	s_xor_b64 s[10:11], exec, s[4:5]
	s_cbranch_execz .LBB17_10
; %bb.5:
	s_lshl_b32 s23, s9, 3
	s_mul_i32 s24, s22, s8
	v_mul_lo_u32 v3, s25, v10
	s_sub_i32 s4, 0, s23
	v_add3_u32 v5, v5, s24, v3
	v_mad_u64_u32 v[10:11], s[0:1], v5, s9, v[4:5]
	s_cmp_lt_i32 s23, 0
	s_cselect_b64 s[0:1], -1, 0
	s_and_b64 s[2:3], s[0:1], exec
	v_lshrrev_b32_e32 v7, 3, v7
	s_cselect_b32 s4, s4, s23
	v_mul_hi_u32 v5, s4, v7
	v_cmp_eq_u32_e64 s[2:3], 0, v5
	v_mul_lo_u32 v5, s4, v7
	v_add_u32_e32 v9, v10, v5
	v_sub_u32_e32 v5, v10, v5
	v_cmp_gt_i32_e64 s[4:5], v5, v10
	v_cndmask_b32_e64 v5, 0, 1, s[4:5]
	v_cmp_lt_i32_e64 s[4:5], v9, v10
	v_cndmask_b32_e64 v9, 0, 1, s[4:5]
	v_cndmask_b32_e64 v5, v9, v5, s[0:1]
	v_and_b32_e32 v5, 1, v5
	v_cmp_eq_u32_e64 s[0:1], 1, v5
	s_xor_b64 s[0:1], s[0:1], -1
	s_mov_b64 s[4:5], -1
	s_and_b64 s[0:1], s[0:1], s[2:3]
	s_and_saveexec_b64 s[2:3], s[0:1]
	s_cbranch_execz .LBB17_9
; %bb.6:
	v_add_u32_e32 v5, 1, v7
	v_add_u32_e32 v10, v1, v4
	v_and_b32_e32 v7, 0x3ffffffe, v5
	v_add_u32_e32 v1, 8, v0
	v_cndmask_b32_e32 v12, v6, v8, vcc
	s_mov_b32 s25, s20
	s_mov_b32 s26, s22
	;; [unrolled: 1-line block ×5, first 2 shown]
	s_mov_b64 s[4:5], 0
	v_mov_b32_e32 v9, s19
	v_mov_b32_e32 v14, v10
	;; [unrolled: 1-line block ×8, first 2 shown]
	v_pk_mov_b32 v[20:21], v[0:1], v[0:1] op_sel:[0,1]
.LBB17_7:                               ; =>This Inner Loop Header: Depth=1
	v_ashrrev_i32_e32 v25, 31, v20
	v_mov_b32_e32 v24, v20
	v_mad_u64_u32 v[26:27], s[0:1], v20, s21, v[12:13]
	v_mad_u64_u32 v[28:29], s[0:1], v21, s29, v[18:19]
	v_lshlrev_b64 v[24:25], 2, v[24:25]
	v_ashrrev_i32_e32 v23, 31, v21
	v_mov_b32_e32 v22, v21
	v_add_co_u32_e64 v24, s[0:1], s18, v24
	v_lshlrev_b64 v[22:23], 2, v[22:23]
	v_addc_co_u32_e64 v25, s[0:1], v9, v25, s[0:1]
	v_ashrrev_i32_e32 v27, 31, v26
	v_add_co_u32_e64 v22, s[0:1], s18, v22
	v_addc_co_u32_e64 v23, s[0:1], v9, v23, s[0:1]
	v_lshlrev_b64 v[26:27], 2, v[26:27]
	v_ashrrev_i32_e32 v29, 31, v28
	global_load_dword v1, v[24:25], off
	global_load_dword v19, v[22:23], off
	v_add_co_u32_e64 v22, s[0:1], s12, v26
	v_lshlrev_b64 v[28:29], 2, v[28:29]
	v_addc_co_u32_e64 v23, s[0:1], v13, v27, s[0:1]
	v_add_co_u32_e64 v24, s[0:1], s12, v28
	v_addc_co_u32_e64 v25, s[0:1], v13, v29, s[0:1]
	global_load_dword v34, v[22:23], off
	global_load_dword v35, v[24:25], off
	v_subrev_u32_e32 v22, s22, v20
	v_subrev_u32_e32 v24, s26, v21
	v_mad_u64_u32 v[22:23], s[0:1], v22, s27, v[10:11]
	v_add_u32_e32 v17, -2, v17
	v_mad_u64_u32 v[24:25], s[0:1], v24, s28, v[14:15]
	v_ashrrev_i32_e32 v23, 31, v22
	v_cmp_eq_u32_e64 s[0:1], 0, v17
	v_lshlrev_b64 v[22:23], 2, v[22:23]
	v_ashrrev_i32_e32 v25, 31, v24
	s_or_b64 s[4:5], s[0:1], s[4:5]
	v_add_co_u32_e64 v26, s[0:1], s14, v22
	v_lshlrev_b64 v[24:25], 2, v[24:25]
	v_addc_co_u32_e64 v27, s[0:1], v11, v23, s[0:1]
	v_add_co_u32_e64 v28, s[0:1], s14, v24
	v_addc_co_u32_e64 v29, s[0:1], v11, v25, s[0:1]
	v_add_co_u32_e64 v22, s[0:1], s6, v22
	v_addc_co_u32_e64 v23, s[0:1], v15, v23, s[0:1]
	v_add_u32_e32 v21, 16, v21
	v_add_u32_e32 v20, 16, v20
	v_add_co_u32_e64 v24, s[0:1], s6, v24
	v_addc_co_u32_e64 v25, s[0:1], v15, v25, s[0:1]
	s_waitcnt vmcnt(3)
	v_subrev_u32_e32 v1, s20, v1
	s_waitcnt vmcnt(2)
	v_subrev_u32_e32 v19, s25, v19
	v_mad_u64_u32 v[30:31], s[0:1], v19, s28, v[16:17]
	v_mad_u64_u32 v[32:33], s[0:1], v1, s27, v[2:3]
	s_waitcnt vmcnt(1)
	global_store_dword v[22:23], v34, off
	s_waitcnt vmcnt(1)
	global_store_dword v[24:25], v35, off
	global_store_dword v[26:27], v32, off
	;; [unrolled: 1-line block ×3, first 2 shown]
	s_andn2_b64 exec, exec, s[4:5]
	s_cbranch_execnz .LBB17_7
; %bb.8:
	s_or_b64 exec, exec, s[4:5]
	v_cmp_ne_u32_e64 s[0:1], v5, v7
	v_lshl_add_u32 v0, v7, 3, v0
	s_orn2_b64 s[4:5], s[0:1], exec
.LBB17_9:
	s_or_b64 exec, exec, s[2:3]
	s_and_b64 s[2:3], s[4:5], exec
.LBB17_10:
	s_or_saveexec_b64 s[0:1], s[10:11]
	v_mov_b32_e32 v1, s24
	v_mov_b32_e32 v10, s23
	s_xor_b64 exec, exec, s[0:1]
; %bb.11:
	s_mul_i32 s4, s8, s22
	s_lshl_b32 s5, s9, 3
	v_mov_b32_e32 v1, s4
	v_mov_b32_e32 v10, s5
	s_or_b64 s[2:3], s[2:3], exec
; %bb.12:
	s_or_b64 exec, exec, s[0:1]
	s_and_b64 exec, exec, s[2:3]
	s_cbranch_execz .LBB17_15
; %bb.13:
	v_cndmask_b32_e32 v6, v6, v8, vcc
	v_mul_lo_u32 v5, v0, s9
	v_mad_u64_u32 v[6:7], s[0:1], v5, s8, v[6:7]
	v_add_u32_e32 v5, s20, v0
	v_add3_u32 v1, v5, v1, v3
	v_subrev_u32_e32 v1, s16, v1
	v_mad_u64_u32 v[4:5], s[0:1], s9, v1, v[4:5]
	v_ashrrev_i32_e32 v1, 31, v0
	v_lshlrev_b64 v[8:9], 2, v[0:1]
	v_mov_b32_e32 v1, s19
	v_add_co_u32_e32 v8, vcc, s18, v8
	s_lshl_b32 s4, s21, 3
	v_addc_co_u32_e32 v9, vcc, v1, v9, vcc
	s_mov_b64 s[2:3], 0
	v_mov_b32_e32 v1, s15
	v_mov_b32_e32 v3, s13
	;; [unrolled: 1-line block ×3, first 2 shown]
.LBB17_14:                              ; =>This Inner Loop Header: Depth=1
	v_ashrrev_i32_e32 v7, 31, v6
	global_load_dword v16, v[8:9], off
	v_lshlrev_b64 v[12:13], 2, v[6:7]
	v_add_co_u32_e32 v12, vcc, s12, v12
	v_addc_co_u32_e32 v13, vcc, v3, v13, vcc
	global_load_dword v7, v[12:13], off
	v_ashrrev_i32_e32 v5, 31, v4
	v_lshlrev_b64 v[12:13], 2, v[4:5]
	v_add_co_u32_e32 v8, vcc, 32, v8
	v_add_co_u32_e64 v14, s[0:1], s14, v12
	v_add_u32_e32 v0, 8, v0
	v_addc_co_u32_e32 v9, vcc, 0, v9, vcc
	v_addc_co_u32_e64 v15, s[0:1], v1, v13, s[0:1]
	v_cmp_le_i32_e32 vcc, s17, v0
	v_add_co_u32_e64 v12, s[0:1], s6, v12
	v_add_u32_e32 v6, s4, v6
	v_add_u32_e32 v4, v4, v10
	v_addc_co_u32_e64 v13, s[0:1], v11, v13, s[0:1]
	s_or_b64 s[2:3], vcc, s[2:3]
	s_waitcnt vmcnt(1)
	v_subrev_u32_e32 v5, s20, v16
	v_mad_u64_u32 v[16:17], s[0:1], v5, s9, v[2:3]
	global_store_dword v[14:15], v16, off
	s_waitcnt vmcnt(1)
	global_store_dword v[12:13], v7, off
	s_andn2_b64 exec, exec, s[2:3]
	s_cbranch_execnz .LBB17_14
.LBB17_15:
	s_endpgm
	.section	.rodata,"a",@progbits
	.p2align	6, 0x0
	.amdhsa_kernel _ZN9rocsparseL35gebsr2csr_block_per_row_1_32_kernelILi1024ELi8ELi16EfEEv20rocsparse_direction_ii21rocsparse_index_base_PKT2_PKiS7_iiS2_PS3_PiS9_
		.amdhsa_group_segment_fixed_size 0
		.amdhsa_private_segment_fixed_size 0
		.amdhsa_kernarg_size 80
		.amdhsa_user_sgpr_count 6
		.amdhsa_user_sgpr_private_segment_buffer 1
		.amdhsa_user_sgpr_dispatch_ptr 0
		.amdhsa_user_sgpr_queue_ptr 0
		.amdhsa_user_sgpr_kernarg_segment_ptr 1
		.amdhsa_user_sgpr_dispatch_id 0
		.amdhsa_user_sgpr_flat_scratch_init 0
		.amdhsa_user_sgpr_kernarg_preload_length 0
		.amdhsa_user_sgpr_kernarg_preload_offset 0
		.amdhsa_user_sgpr_private_segment_size 0
		.amdhsa_uses_dynamic_stack 0
		.amdhsa_system_sgpr_private_segment_wavefront_offset 0
		.amdhsa_system_sgpr_workgroup_id_x 1
		.amdhsa_system_sgpr_workgroup_id_y 0
		.amdhsa_system_sgpr_workgroup_id_z 0
		.amdhsa_system_sgpr_workgroup_info 0
		.amdhsa_system_vgpr_workitem_id 0
		.amdhsa_next_free_vgpr 36
		.amdhsa_next_free_sgpr 30
		.amdhsa_accum_offset 36
		.amdhsa_reserve_vcc 1
		.amdhsa_reserve_flat_scratch 0
		.amdhsa_float_round_mode_32 0
		.amdhsa_float_round_mode_16_64 0
		.amdhsa_float_denorm_mode_32 3
		.amdhsa_float_denorm_mode_16_64 3
		.amdhsa_dx10_clamp 1
		.amdhsa_ieee_mode 1
		.amdhsa_fp16_overflow 0
		.amdhsa_tg_split 0
		.amdhsa_exception_fp_ieee_invalid_op 0
		.amdhsa_exception_fp_denorm_src 0
		.amdhsa_exception_fp_ieee_div_zero 0
		.amdhsa_exception_fp_ieee_overflow 0
		.amdhsa_exception_fp_ieee_underflow 0
		.amdhsa_exception_fp_ieee_inexact 0
		.amdhsa_exception_int_div_zero 0
	.end_amdhsa_kernel
	.section	.text._ZN9rocsparseL35gebsr2csr_block_per_row_1_32_kernelILi1024ELi8ELi16EfEEv20rocsparse_direction_ii21rocsparse_index_base_PKT2_PKiS7_iiS2_PS3_PiS9_,"axG",@progbits,_ZN9rocsparseL35gebsr2csr_block_per_row_1_32_kernelILi1024ELi8ELi16EfEEv20rocsparse_direction_ii21rocsparse_index_base_PKT2_PKiS7_iiS2_PS3_PiS9_,comdat
.Lfunc_end17:
	.size	_ZN9rocsparseL35gebsr2csr_block_per_row_1_32_kernelILi1024ELi8ELi16EfEEv20rocsparse_direction_ii21rocsparse_index_base_PKT2_PKiS7_iiS2_PS3_PiS9_, .Lfunc_end17-_ZN9rocsparseL35gebsr2csr_block_per_row_1_32_kernelILi1024ELi8ELi16EfEEv20rocsparse_direction_ii21rocsparse_index_base_PKT2_PKiS7_iiS2_PS3_PiS9_
                                        ; -- End function
	.section	.AMDGPU.csdata,"",@progbits
; Kernel info:
; codeLenInByte = 1336
; NumSgprs: 34
; NumVgprs: 36
; NumAgprs: 0
; TotalNumVgprs: 36
; ScratchSize: 0
; MemoryBound: 0
; FloatMode: 240
; IeeeMode: 1
; LDSByteSize: 0 bytes/workgroup (compile time only)
; SGPRBlocks: 4
; VGPRBlocks: 4
; NumSGPRsForWavesPerEU: 34
; NumVGPRsForWavesPerEU: 36
; AccumOffset: 36
; Occupancy: 8
; WaveLimiterHint : 0
; COMPUTE_PGM_RSRC2:SCRATCH_EN: 0
; COMPUTE_PGM_RSRC2:USER_SGPR: 6
; COMPUTE_PGM_RSRC2:TRAP_HANDLER: 0
; COMPUTE_PGM_RSRC2:TGID_X_EN: 1
; COMPUTE_PGM_RSRC2:TGID_Y_EN: 0
; COMPUTE_PGM_RSRC2:TGID_Z_EN: 0
; COMPUTE_PGM_RSRC2:TIDIG_COMP_CNT: 0
; COMPUTE_PGM_RSRC3_GFX90A:ACCUM_OFFSET: 8
; COMPUTE_PGM_RSRC3_GFX90A:TG_SPLIT: 0
	.section	.text._ZN9rocsparseL35gebsr2csr_block_per_row_1_32_kernelILi1024ELi8ELi32EfEEv20rocsparse_direction_ii21rocsparse_index_base_PKT2_PKiS7_iiS2_PS3_PiS9_,"axG",@progbits,_ZN9rocsparseL35gebsr2csr_block_per_row_1_32_kernelILi1024ELi8ELi32EfEEv20rocsparse_direction_ii21rocsparse_index_base_PKT2_PKiS7_iiS2_PS3_PiS9_,comdat
	.globl	_ZN9rocsparseL35gebsr2csr_block_per_row_1_32_kernelILi1024ELi8ELi32EfEEv20rocsparse_direction_ii21rocsparse_index_base_PKT2_PKiS7_iiS2_PS3_PiS9_ ; -- Begin function _ZN9rocsparseL35gebsr2csr_block_per_row_1_32_kernelILi1024ELi8ELi32EfEEv20rocsparse_direction_ii21rocsparse_index_base_PKT2_PKiS7_iiS2_PS3_PiS9_
	.p2align	8
	.type	_ZN9rocsparseL35gebsr2csr_block_per_row_1_32_kernelILi1024ELi8ELi32EfEEv20rocsparse_direction_ii21rocsparse_index_base_PKT2_PKiS7_iiS2_PS3_PiS9_,@function
_ZN9rocsparseL35gebsr2csr_block_per_row_1_32_kernelILi1024ELi8ELi32EfEEv20rocsparse_direction_ii21rocsparse_index_base_PKT2_PKiS7_iiS2_PS3_PiS9_: ; @_ZN9rocsparseL35gebsr2csr_block_per_row_1_32_kernelILi1024ELi8ELi32EfEEv20rocsparse_direction_ii21rocsparse_index_base_PKT2_PKiS7_iiS2_PS3_PiS9_
; %bb.0:
	s_load_dwordx2 s[0:1], s[4:5], 0x18
	s_load_dwordx4 s[8:11], s[4:5], 0x28
	s_load_dwordx2 s[2:3], s[4:5], 0x40
	s_ashr_i32 s7, s6, 31
	s_lshl_b64 s[12:13], s[6:7], 2
	s_waitcnt lgkmcnt(0)
	s_add_u32 s12, s0, s12
	v_or_b32_e32 v1, s6, v0
	s_addc_u32 s13, s1, s13
	v_cmp_eq_u32_e32 vcc, 0, v1
	s_and_saveexec_b64 s[0:1], vcc
	s_cbranch_execz .LBB18_2
; %bb.1:
	v_mov_b32_e32 v1, 0
	v_mov_b32_e32 v2, s10
	global_store_dword v1, v2, s[2:3]
.LBB18_2:
	s_or_b64 exec, exec, s[0:1]
	v_and_b32_e32 v4, 31, v0
	v_bfe_u32 v10, v0, 5, 3
	v_cmp_gt_i32_e32 vcc, s8, v10
	v_cmp_gt_i32_e64 s[0:1], s9, v4
	s_and_b64 s[0:1], vcc, s[0:1]
	s_and_saveexec_b64 s[14:15], s[0:1]
	s_cbranch_execz .LBB18_15
; %bb.3:
	s_load_dwordx2 s[16:17], s[12:13], 0x0
	s_load_dword s20, s[4:5], 0xc
	s_mul_i32 s21, s9, s8
	v_lshrrev_b32_e32 v5, 8, v0
	v_mov_b32_e32 v6, s3
	s_waitcnt lgkmcnt(0)
	s_sub_i32 s22, s16, s20
	s_sub_i32 s17, s17, s20
	;; [unrolled: 1-line block ×3, first 2 shown]
	s_mul_i32 s1, s25, s9
	s_mul_i32 s0, s22, s21
	v_mul_lo_u32 v0, s1, v10
	v_add_u32_e32 v1, s0, v0
	s_mul_i32 s0, s6, s8
	v_add_u32_e32 v2, s0, v10
	v_ashrrev_i32_e32 v3, 31, v2
	v_lshlrev_b64 v[2:3], 2, v[2:3]
	s_add_i32 s1, s1, s10
	v_add_co_u32_e32 v2, vcc, s2, v2
	v_add_u32_e32 v0, s1, v1
	v_addc_co_u32_e32 v3, vcc, v6, v3, vcc
	global_store_dword v[2:3], v0, off offset:4
	v_add_u32_e32 v0, s22, v5
	v_cmp_gt_i32_e32 vcc, s17, v0
	s_and_b64 exec, exec, vcc
	s_cbranch_execz .LBB18_15
; %bb.4:
	s_load_dwordx2 s[18:19], s[4:5], 0x20
	s_load_dwordx2 s[6:7], s[4:5], 0x38
	s_load_dword s0, s[4:5], 0x0
	s_load_dwordx2 s[12:13], s[4:5], 0x10
	s_load_dwordx2 s[14:15], s[4:5], 0x48
	v_add_u32_e32 v3, s16, v5
	v_subrev_u32_e32 v3, s20, v3
	s_waitcnt lgkmcnt(0)
	s_cmp_eq_u32 s0, 0
	v_mad_u64_u32 v[6:7], s[0:1], v4, s8, v[10:11]
	v_mad_u64_u32 v[8:9], s[0:1], v10, s9, v[4:5]
	s_cselect_b64 vcc, -1, 0
	v_add_u32_e32 v3, 4, v3
	s_not_b32 s0, s16
	v_max_i32_e32 v3, s17, v3
	s_add_i32 s0, s0, s20
	v_add_u32_e32 v3, s0, v3
	v_sub_u32_e32 v7, v3, v5
	s_movk_i32 s0, 0x43
	v_add_u32_e32 v2, s10, v4
	v_cmp_lt_u32_e64 s[0:1], s0, v7
	s_mov_b64 s[2:3], 0
	v_mul_lo_u32 v3, s25, v10
                                        ; implicit-def: $sgpr24
                                        ; implicit-def: $sgpr23
	s_and_saveexec_b64 s[4:5], s[0:1]
	s_xor_b64 s[10:11], exec, s[4:5]
	s_cbranch_execz .LBB18_10
; %bb.5:
	s_lshl_b32 s23, s9, 2
	s_mul_i32 s24, s22, s8
	v_mul_lo_u32 v3, s25, v10
	s_sub_i32 s4, 0, s23
	v_add3_u32 v5, v5, s24, v3
	v_mad_u64_u32 v[10:11], s[0:1], v5, s9, v[4:5]
	s_cmp_lt_i32 s23, 0
	s_cselect_b64 s[0:1], -1, 0
	s_and_b64 s[2:3], s[0:1], exec
	v_lshrrev_b32_e32 v7, 2, v7
	s_cselect_b32 s4, s4, s23
	v_mul_hi_u32 v5, s4, v7
	v_cmp_eq_u32_e64 s[2:3], 0, v5
	v_mul_lo_u32 v5, s4, v7
	v_add_u32_e32 v9, v10, v5
	v_sub_u32_e32 v5, v10, v5
	v_cmp_gt_i32_e64 s[4:5], v5, v10
	v_cndmask_b32_e64 v5, 0, 1, s[4:5]
	v_cmp_lt_i32_e64 s[4:5], v9, v10
	v_cndmask_b32_e64 v9, 0, 1, s[4:5]
	v_cndmask_b32_e64 v5, v9, v5, s[0:1]
	v_and_b32_e32 v5, 1, v5
	v_cmp_eq_u32_e64 s[0:1], 1, v5
	s_xor_b64 s[0:1], s[0:1], -1
	s_mov_b64 s[4:5], -1
	s_and_b64 s[0:1], s[0:1], s[2:3]
	s_and_saveexec_b64 s[2:3], s[0:1]
	s_cbranch_execz .LBB18_9
; %bb.6:
	v_add_u32_e32 v5, 1, v7
	v_add_u32_e32 v10, v1, v4
	v_and_b32_e32 v7, 0x7ffffffe, v5
	v_add_u32_e32 v1, 4, v0
	v_cndmask_b32_e32 v12, v6, v8, vcc
	s_mov_b32 s25, s20
	s_mov_b32 s26, s22
	;; [unrolled: 1-line block ×5, first 2 shown]
	s_mov_b64 s[4:5], 0
	v_mov_b32_e32 v9, s19
	v_mov_b32_e32 v14, v10
	v_mov_b32_e32 v16, v2
	v_mov_b32_e32 v11, s15
	v_mov_b32_e32 v18, v12
	v_mov_b32_e32 v13, s13
	v_mov_b32_e32 v15, s7
	v_mov_b32_e32 v17, v7
	v_pk_mov_b32 v[20:21], v[0:1], v[0:1] op_sel:[0,1]
.LBB18_7:                               ; =>This Inner Loop Header: Depth=1
	v_ashrrev_i32_e32 v25, 31, v20
	v_mov_b32_e32 v24, v20
	v_mad_u64_u32 v[26:27], s[0:1], v20, s21, v[12:13]
	v_mad_u64_u32 v[28:29], s[0:1], v21, s29, v[18:19]
	v_lshlrev_b64 v[24:25], 2, v[24:25]
	v_ashrrev_i32_e32 v23, 31, v21
	v_mov_b32_e32 v22, v21
	v_add_co_u32_e64 v24, s[0:1], s18, v24
	v_lshlrev_b64 v[22:23], 2, v[22:23]
	v_addc_co_u32_e64 v25, s[0:1], v9, v25, s[0:1]
	v_ashrrev_i32_e32 v27, 31, v26
	v_add_co_u32_e64 v22, s[0:1], s18, v22
	v_addc_co_u32_e64 v23, s[0:1], v9, v23, s[0:1]
	v_lshlrev_b64 v[26:27], 2, v[26:27]
	v_ashrrev_i32_e32 v29, 31, v28
	global_load_dword v1, v[24:25], off
	global_load_dword v19, v[22:23], off
	v_add_co_u32_e64 v22, s[0:1], s12, v26
	v_lshlrev_b64 v[28:29], 2, v[28:29]
	v_addc_co_u32_e64 v23, s[0:1], v13, v27, s[0:1]
	v_add_co_u32_e64 v24, s[0:1], s12, v28
	v_addc_co_u32_e64 v25, s[0:1], v13, v29, s[0:1]
	global_load_dword v34, v[22:23], off
	global_load_dword v35, v[24:25], off
	v_subrev_u32_e32 v22, s22, v20
	v_subrev_u32_e32 v24, s26, v21
	v_mad_u64_u32 v[22:23], s[0:1], v22, s27, v[10:11]
	v_add_u32_e32 v17, -2, v17
	v_mad_u64_u32 v[24:25], s[0:1], v24, s28, v[14:15]
	v_ashrrev_i32_e32 v23, 31, v22
	v_cmp_eq_u32_e64 s[0:1], 0, v17
	v_lshlrev_b64 v[22:23], 2, v[22:23]
	v_ashrrev_i32_e32 v25, 31, v24
	s_or_b64 s[4:5], s[0:1], s[4:5]
	v_add_co_u32_e64 v26, s[0:1], s14, v22
	v_lshlrev_b64 v[24:25], 2, v[24:25]
	v_addc_co_u32_e64 v27, s[0:1], v11, v23, s[0:1]
	v_add_co_u32_e64 v28, s[0:1], s14, v24
	v_addc_co_u32_e64 v29, s[0:1], v11, v25, s[0:1]
	v_add_co_u32_e64 v22, s[0:1], s6, v22
	v_addc_co_u32_e64 v23, s[0:1], v15, v23, s[0:1]
	v_add_u32_e32 v21, 8, v21
	v_add_u32_e32 v20, 8, v20
	v_add_co_u32_e64 v24, s[0:1], s6, v24
	v_addc_co_u32_e64 v25, s[0:1], v15, v25, s[0:1]
	s_waitcnt vmcnt(3)
	v_subrev_u32_e32 v1, s20, v1
	s_waitcnt vmcnt(2)
	v_subrev_u32_e32 v19, s25, v19
	v_mad_u64_u32 v[30:31], s[0:1], v19, s28, v[16:17]
	v_mad_u64_u32 v[32:33], s[0:1], v1, s27, v[2:3]
	s_waitcnt vmcnt(1)
	global_store_dword v[22:23], v34, off
	s_waitcnt vmcnt(1)
	global_store_dword v[24:25], v35, off
	global_store_dword v[26:27], v32, off
	;; [unrolled: 1-line block ×3, first 2 shown]
	s_andn2_b64 exec, exec, s[4:5]
	s_cbranch_execnz .LBB18_7
; %bb.8:
	s_or_b64 exec, exec, s[4:5]
	v_cmp_ne_u32_e64 s[0:1], v5, v7
	v_lshl_add_u32 v0, v7, 2, v0
	s_orn2_b64 s[4:5], s[0:1], exec
.LBB18_9:
	s_or_b64 exec, exec, s[2:3]
	s_and_b64 s[2:3], s[4:5], exec
.LBB18_10:
	s_or_saveexec_b64 s[0:1], s[10:11]
	v_mov_b32_e32 v1, s24
	v_mov_b32_e32 v10, s23
	s_xor_b64 exec, exec, s[0:1]
; %bb.11:
	s_mul_i32 s4, s8, s22
	s_lshl_b32 s5, s9, 2
	v_mov_b32_e32 v1, s4
	v_mov_b32_e32 v10, s5
	s_or_b64 s[2:3], s[2:3], exec
; %bb.12:
	s_or_b64 exec, exec, s[0:1]
	s_and_b64 exec, exec, s[2:3]
	s_cbranch_execz .LBB18_15
; %bb.13:
	v_cndmask_b32_e32 v6, v6, v8, vcc
	v_mul_lo_u32 v5, v0, s9
	v_mad_u64_u32 v[6:7], s[0:1], v5, s8, v[6:7]
	v_add_u32_e32 v5, s20, v0
	v_add3_u32 v1, v5, v1, v3
	v_subrev_u32_e32 v1, s16, v1
	v_mad_u64_u32 v[4:5], s[0:1], s9, v1, v[4:5]
	v_ashrrev_i32_e32 v1, 31, v0
	v_lshlrev_b64 v[8:9], 2, v[0:1]
	v_mov_b32_e32 v1, s19
	v_add_co_u32_e32 v8, vcc, s18, v8
	s_lshl_b32 s4, s21, 2
	v_addc_co_u32_e32 v9, vcc, v1, v9, vcc
	s_mov_b64 s[2:3], 0
	v_mov_b32_e32 v1, s15
	v_mov_b32_e32 v3, s13
	v_mov_b32_e32 v11, s7
.LBB18_14:                              ; =>This Inner Loop Header: Depth=1
	v_ashrrev_i32_e32 v7, 31, v6
	global_load_dword v16, v[8:9], off
	v_lshlrev_b64 v[12:13], 2, v[6:7]
	v_add_co_u32_e32 v12, vcc, s12, v12
	v_addc_co_u32_e32 v13, vcc, v3, v13, vcc
	global_load_dword v7, v[12:13], off
	v_ashrrev_i32_e32 v5, 31, v4
	v_lshlrev_b64 v[12:13], 2, v[4:5]
	v_add_co_u32_e32 v8, vcc, 16, v8
	v_add_co_u32_e64 v14, s[0:1], s14, v12
	v_add_u32_e32 v0, 4, v0
	v_addc_co_u32_e32 v9, vcc, 0, v9, vcc
	v_addc_co_u32_e64 v15, s[0:1], v1, v13, s[0:1]
	v_cmp_le_i32_e32 vcc, s17, v0
	v_add_co_u32_e64 v12, s[0:1], s6, v12
	v_add_u32_e32 v6, s4, v6
	v_add_u32_e32 v4, v4, v10
	v_addc_co_u32_e64 v13, s[0:1], v11, v13, s[0:1]
	s_or_b64 s[2:3], vcc, s[2:3]
	s_waitcnt vmcnt(1)
	v_subrev_u32_e32 v5, s20, v16
	v_mad_u64_u32 v[16:17], s[0:1], v5, s9, v[2:3]
	global_store_dword v[14:15], v16, off
	s_waitcnt vmcnt(1)
	global_store_dword v[12:13], v7, off
	s_andn2_b64 exec, exec, s[2:3]
	s_cbranch_execnz .LBB18_14
.LBB18_15:
	s_endpgm
	.section	.rodata,"a",@progbits
	.p2align	6, 0x0
	.amdhsa_kernel _ZN9rocsparseL35gebsr2csr_block_per_row_1_32_kernelILi1024ELi8ELi32EfEEv20rocsparse_direction_ii21rocsparse_index_base_PKT2_PKiS7_iiS2_PS3_PiS9_
		.amdhsa_group_segment_fixed_size 0
		.amdhsa_private_segment_fixed_size 0
		.amdhsa_kernarg_size 80
		.amdhsa_user_sgpr_count 6
		.amdhsa_user_sgpr_private_segment_buffer 1
		.amdhsa_user_sgpr_dispatch_ptr 0
		.amdhsa_user_sgpr_queue_ptr 0
		.amdhsa_user_sgpr_kernarg_segment_ptr 1
		.amdhsa_user_sgpr_dispatch_id 0
		.amdhsa_user_sgpr_flat_scratch_init 0
		.amdhsa_user_sgpr_kernarg_preload_length 0
		.amdhsa_user_sgpr_kernarg_preload_offset 0
		.amdhsa_user_sgpr_private_segment_size 0
		.amdhsa_uses_dynamic_stack 0
		.amdhsa_system_sgpr_private_segment_wavefront_offset 0
		.amdhsa_system_sgpr_workgroup_id_x 1
		.amdhsa_system_sgpr_workgroup_id_y 0
		.amdhsa_system_sgpr_workgroup_id_z 0
		.amdhsa_system_sgpr_workgroup_info 0
		.amdhsa_system_vgpr_workitem_id 0
		.amdhsa_next_free_vgpr 36
		.amdhsa_next_free_sgpr 30
		.amdhsa_accum_offset 36
		.amdhsa_reserve_vcc 1
		.amdhsa_reserve_flat_scratch 0
		.amdhsa_float_round_mode_32 0
		.amdhsa_float_round_mode_16_64 0
		.amdhsa_float_denorm_mode_32 3
		.amdhsa_float_denorm_mode_16_64 3
		.amdhsa_dx10_clamp 1
		.amdhsa_ieee_mode 1
		.amdhsa_fp16_overflow 0
		.amdhsa_tg_split 0
		.amdhsa_exception_fp_ieee_invalid_op 0
		.amdhsa_exception_fp_denorm_src 0
		.amdhsa_exception_fp_ieee_div_zero 0
		.amdhsa_exception_fp_ieee_overflow 0
		.amdhsa_exception_fp_ieee_underflow 0
		.amdhsa_exception_fp_ieee_inexact 0
		.amdhsa_exception_int_div_zero 0
	.end_amdhsa_kernel
	.section	.text._ZN9rocsparseL35gebsr2csr_block_per_row_1_32_kernelILi1024ELi8ELi32EfEEv20rocsparse_direction_ii21rocsparse_index_base_PKT2_PKiS7_iiS2_PS3_PiS9_,"axG",@progbits,_ZN9rocsparseL35gebsr2csr_block_per_row_1_32_kernelILi1024ELi8ELi32EfEEv20rocsparse_direction_ii21rocsparse_index_base_PKT2_PKiS7_iiS2_PS3_PiS9_,comdat
.Lfunc_end18:
	.size	_ZN9rocsparseL35gebsr2csr_block_per_row_1_32_kernelILi1024ELi8ELi32EfEEv20rocsparse_direction_ii21rocsparse_index_base_PKT2_PKiS7_iiS2_PS3_PiS9_, .Lfunc_end18-_ZN9rocsparseL35gebsr2csr_block_per_row_1_32_kernelILi1024ELi8ELi32EfEEv20rocsparse_direction_ii21rocsparse_index_base_PKT2_PKiS7_iiS2_PS3_PiS9_
                                        ; -- End function
	.section	.AMDGPU.csdata,"",@progbits
; Kernel info:
; codeLenInByte = 1336
; NumSgprs: 34
; NumVgprs: 36
; NumAgprs: 0
; TotalNumVgprs: 36
; ScratchSize: 0
; MemoryBound: 0
; FloatMode: 240
; IeeeMode: 1
; LDSByteSize: 0 bytes/workgroup (compile time only)
; SGPRBlocks: 4
; VGPRBlocks: 4
; NumSGPRsForWavesPerEU: 34
; NumVGPRsForWavesPerEU: 36
; AccumOffset: 36
; Occupancy: 8
; WaveLimiterHint : 0
; COMPUTE_PGM_RSRC2:SCRATCH_EN: 0
; COMPUTE_PGM_RSRC2:USER_SGPR: 6
; COMPUTE_PGM_RSRC2:TRAP_HANDLER: 0
; COMPUTE_PGM_RSRC2:TGID_X_EN: 1
; COMPUTE_PGM_RSRC2:TGID_Y_EN: 0
; COMPUTE_PGM_RSRC2:TGID_Z_EN: 0
; COMPUTE_PGM_RSRC2:TIDIG_COMP_CNT: 0
; COMPUTE_PGM_RSRC3_GFX90A:ACCUM_OFFSET: 8
; COMPUTE_PGM_RSRC3_GFX90A:TG_SPLIT: 0
	.section	.text._ZN9rocsparseL37gebsr2csr_block_per_row_33_128_kernelILi1024ELi8ELi64ELi8ELi32EfEEv20rocsparse_direction_ii21rocsparse_index_base_PKT4_PKiS7_iiS2_PS3_PiS9_,"axG",@progbits,_ZN9rocsparseL37gebsr2csr_block_per_row_33_128_kernelILi1024ELi8ELi64ELi8ELi32EfEEv20rocsparse_direction_ii21rocsparse_index_base_PKT4_PKiS7_iiS2_PS3_PiS9_,comdat
	.globl	_ZN9rocsparseL37gebsr2csr_block_per_row_33_128_kernelILi1024ELi8ELi64ELi8ELi32EfEEv20rocsparse_direction_ii21rocsparse_index_base_PKT4_PKiS7_iiS2_PS3_PiS9_ ; -- Begin function _ZN9rocsparseL37gebsr2csr_block_per_row_33_128_kernelILi1024ELi8ELi64ELi8ELi32EfEEv20rocsparse_direction_ii21rocsparse_index_base_PKT4_PKiS7_iiS2_PS3_PiS9_
	.p2align	8
	.type	_ZN9rocsparseL37gebsr2csr_block_per_row_33_128_kernelILi1024ELi8ELi64ELi8ELi32EfEEv20rocsparse_direction_ii21rocsparse_index_base_PKT4_PKiS7_iiS2_PS3_PiS9_,@function
_ZN9rocsparseL37gebsr2csr_block_per_row_33_128_kernelILi1024ELi8ELi64ELi8ELi32EfEEv20rocsparse_direction_ii21rocsparse_index_base_PKT4_PKiS7_iiS2_PS3_PiS9_: ; @_ZN9rocsparseL37gebsr2csr_block_per_row_33_128_kernelILi1024ELi8ELi64ELi8ELi32EfEEv20rocsparse_direction_ii21rocsparse_index_base_PKT4_PKiS7_iiS2_PS3_PiS9_
; %bb.0:
	s_load_dwordx2 s[0:1], s[4:5], 0x18
	s_load_dwordx4 s[8:11], s[4:5], 0x28
	s_load_dwordx2 s[2:3], s[4:5], 0x40
	s_ashr_i32 s7, s6, 31
	s_lshl_b64 s[12:13], s[6:7], 2
	s_waitcnt lgkmcnt(0)
	s_add_u32 s0, s0, s12
	s_addc_u32 s1, s1, s13
	s_load_dwordx2 s[14:15], s[0:1], 0x0
	v_or_b32_e32 v1, s6, v0
	v_cmp_eq_u32_e32 vcc, 0, v1
	s_and_saveexec_b64 s[0:1], vcc
	s_cbranch_execz .LBB19_2
; %bb.1:
	v_mov_b32_e32 v1, 0
	v_mov_b32_e32 v2, s10
	global_store_dword v1, v2, s[2:3]
.LBB19_2:
	s_or_b64 exec, exec, s[0:1]
	s_load_dword s11, s[4:5], 0xc
	v_lshrrev_b32_e32 v4, 5, v0
	v_cmp_gt_i32_e64 s[0:1], s8, v4
	s_mul_i32 s23, s9, s8
	s_waitcnt lgkmcnt(0)
	s_sub_i32 s12, s14, s11
	s_sub_i32 s22, s15, s11
	s_and_saveexec_b64 s[16:17], s[0:1]
	s_cbranch_execz .LBB19_4
; %bb.3:
	s_mul_i32 s6, s6, s8
	v_add_u32_e32 v2, s6, v4
	s_mul_i32 s7, s23, s12
	s_sub_i32 s13, s22, s12
	v_ashrrev_i32_e32 v3, 31, v2
	s_mul_i32 s13, s13, s9
	s_add_i32 s7, s7, s10
	v_lshlrev_b64 v[2:3], 2, v[2:3]
	v_mul_lo_u32 v1, s13, v4
	s_add_i32 s7, s7, s13
	v_mov_b32_e32 v5, s3
	v_add_co_u32_e32 v2, vcc, s2, v2
	v_add_u32_e32 v1, s7, v1
	v_addc_co_u32_e32 v3, vcc, v5, v3, vcc
	global_store_dword v[2:3], v1, off offset:4
.LBB19_4:
	s_or_b64 exec, exec, s[16:17]
	s_cmp_ge_i32 s14, s15
	s_cbranch_scc1 .LBB19_11
; %bb.5:
	s_load_dwordx2 s[18:19], s[4:5], 0x20
	s_load_dwordx2 s[6:7], s[4:5], 0x38
	;; [unrolled: 1-line block ×4, first 2 shown]
	s_load_dword s2, s[4:5], 0x0
	s_mul_i32 s13, s8, s12
	v_and_b32_e32 v0, 31, v0
	v_add_u32_e32 v1, s13, v4
	v_mad_u64_u32 v[2:3], s[4:5], s9, v1, v[0:1]
	s_mul_i32 s4, s9, s12
	s_sub_i32 s3, s22, s12
	v_add_u32_e32 v3, s4, v0
	v_mul_lo_u32 v6, s3, v4
	s_waitcnt lgkmcnt(0)
	s_cmp_eq_u32 s2, 0
	v_cmp_gt_i32_e64 s[2:3], s9, v0
	v_mad_u64_u32 v[8:9], s[4:5], s8, v3, v[4:5]
	v_or_b32_e32 v1, 32, v0
	s_cselect_b64 vcc, -1, 0
	s_and_b64 s[4:5], s[0:1], s[2:3]
	v_cmp_gt_i32_e64 s[2:3], s9, v1
	v_add_u32_e32 v3, 32, v3
	s_and_b64 s[2:3], s[0:1], s[2:3]
	v_mad_u64_u32 v[4:5], s[0:1], s8, v3, v[4:5]
	v_add_u32_e32 v3, s13, v6
	v_mad_u64_u32 v[6:7], s[0:1], s9, v3, v[0:1]
	s_ashr_i32 s13, s12, 31
	s_lshl_b64 s[0:1], s[12:13], 2
	s_add_u32 s18, s18, s0
	s_mov_b32 s24, 0
	s_addc_u32 s19, s19, s1
	v_cndmask_b32_e32 v3, v8, v2, vcc
	s_branch .LBB19_7
.LBB19_6:                               ;   in Loop: Header=BB19_7 Depth=1
	s_or_b64 exec, exec, s[20:21]
	s_add_i32 s12, s12, 1
	s_add_i32 s24, s24, s23
	s_add_u32 s18, s18, 4
	s_addc_u32 s19, s19, 0
	s_cmp_ge_i32 s12, s22
	v_add_u32_e32 v6, s9, v6
	s_cbranch_scc1 .LBB19_11
.LBB19_7:                               ; =>This Inner Loop Header: Depth=1
	s_load_dword s0, s[18:19], 0x0
	s_waitcnt lgkmcnt(0)
	s_sub_i32 s0, s0, s11
	s_mul_i32 s8, s0, s9
	s_add_i32 s8, s8, s10
	s_and_saveexec_b64 s[20:21], s[4:5]
	s_cbranch_execz .LBB19_9
; %bb.8:                                ;   in Loop: Header=BB19_7 Depth=1
	v_add_u32_e32 v8, s24, v3
	v_ashrrev_i32_e32 v9, 31, v8
	v_lshlrev_b64 v[8:9], 2, v[8:9]
	v_mov_b32_e32 v5, s17
	v_add_co_u32_e64 v8, s[0:1], s16, v8
	v_addc_co_u32_e64 v9, s[0:1], v5, v9, s[0:1]
	global_load_dword v5, v[8:9], off
	v_ashrrev_i32_e32 v7, 31, v6
	v_lshlrev_b64 v[8:9], 2, v[6:7]
	v_mov_b32_e32 v7, s15
	v_add_co_u32_e64 v10, s[0:1], s14, v8
	v_addc_co_u32_e64 v11, s[0:1], v7, v9, s[0:1]
	v_mov_b32_e32 v7, s7
	v_add_co_u32_e64 v8, s[0:1], s6, v8
	v_add_u32_e32 v12, s8, v0
	v_addc_co_u32_e64 v9, s[0:1], v7, v9, s[0:1]
	global_store_dword v[10:11], v12, off
	s_waitcnt vmcnt(1)
	global_store_dword v[8:9], v5, off
.LBB19_9:                               ;   in Loop: Header=BB19_7 Depth=1
	s_or_b64 exec, exec, s[20:21]
	s_and_saveexec_b64 s[20:21], s[2:3]
	s_cbranch_execz .LBB19_6
; %bb.10:                               ;   in Loop: Header=BB19_7 Depth=1
	v_add3_u32 v5, v2, s24, 32
	v_add_u32_e32 v7, s24, v4
	v_cndmask_b32_e32 v8, v7, v5, vcc
	v_ashrrev_i32_e32 v9, 31, v8
	v_lshlrev_b64 v[8:9], 2, v[8:9]
	v_mov_b32_e32 v5, s17
	v_add_co_u32_e64 v8, s[0:1], s16, v8
	v_addc_co_u32_e64 v9, s[0:1], v5, v9, s[0:1]
	global_load_dword v5, v[8:9], off
	v_add_u32_e32 v8, 32, v6
	v_ashrrev_i32_e32 v9, 31, v8
	v_lshlrev_b64 v[8:9], 2, v[8:9]
	v_mov_b32_e32 v11, s15
	v_add_co_u32_e64 v10, s[0:1], s14, v8
	v_add_u32_e32 v7, s8, v1
	v_addc_co_u32_e64 v11, s[0:1], v11, v9, s[0:1]
	global_store_dword v[10:11], v7, off
	v_mov_b32_e32 v7, s7
	v_add_co_u32_e64 v8, s[0:1], s6, v8
	v_addc_co_u32_e64 v9, s[0:1], v7, v9, s[0:1]
	s_waitcnt vmcnt(1)
	global_store_dword v[8:9], v5, off
	s_branch .LBB19_6
.LBB19_11:
	s_endpgm
	.section	.rodata,"a",@progbits
	.p2align	6, 0x0
	.amdhsa_kernel _ZN9rocsparseL37gebsr2csr_block_per_row_33_128_kernelILi1024ELi8ELi64ELi8ELi32EfEEv20rocsparse_direction_ii21rocsparse_index_base_PKT4_PKiS7_iiS2_PS3_PiS9_
		.amdhsa_group_segment_fixed_size 0
		.amdhsa_private_segment_fixed_size 0
		.amdhsa_kernarg_size 80
		.amdhsa_user_sgpr_count 6
		.amdhsa_user_sgpr_private_segment_buffer 1
		.amdhsa_user_sgpr_dispatch_ptr 0
		.amdhsa_user_sgpr_queue_ptr 0
		.amdhsa_user_sgpr_kernarg_segment_ptr 1
		.amdhsa_user_sgpr_dispatch_id 0
		.amdhsa_user_sgpr_flat_scratch_init 0
		.amdhsa_user_sgpr_kernarg_preload_length 0
		.amdhsa_user_sgpr_kernarg_preload_offset 0
		.amdhsa_user_sgpr_private_segment_size 0
		.amdhsa_uses_dynamic_stack 0
		.amdhsa_system_sgpr_private_segment_wavefront_offset 0
		.amdhsa_system_sgpr_workgroup_id_x 1
		.amdhsa_system_sgpr_workgroup_id_y 0
		.amdhsa_system_sgpr_workgroup_id_z 0
		.amdhsa_system_sgpr_workgroup_info 0
		.amdhsa_system_vgpr_workitem_id 0
		.amdhsa_next_free_vgpr 13
		.amdhsa_next_free_sgpr 25
		.amdhsa_accum_offset 16
		.amdhsa_reserve_vcc 1
		.amdhsa_reserve_flat_scratch 0
		.amdhsa_float_round_mode_32 0
		.amdhsa_float_round_mode_16_64 0
		.amdhsa_float_denorm_mode_32 3
		.amdhsa_float_denorm_mode_16_64 3
		.amdhsa_dx10_clamp 1
		.amdhsa_ieee_mode 1
		.amdhsa_fp16_overflow 0
		.amdhsa_tg_split 0
		.amdhsa_exception_fp_ieee_invalid_op 0
		.amdhsa_exception_fp_denorm_src 0
		.amdhsa_exception_fp_ieee_div_zero 0
		.amdhsa_exception_fp_ieee_overflow 0
		.amdhsa_exception_fp_ieee_underflow 0
		.amdhsa_exception_fp_ieee_inexact 0
		.amdhsa_exception_int_div_zero 0
	.end_amdhsa_kernel
	.section	.text._ZN9rocsparseL37gebsr2csr_block_per_row_33_128_kernelILi1024ELi8ELi64ELi8ELi32EfEEv20rocsparse_direction_ii21rocsparse_index_base_PKT4_PKiS7_iiS2_PS3_PiS9_,"axG",@progbits,_ZN9rocsparseL37gebsr2csr_block_per_row_33_128_kernelILi1024ELi8ELi64ELi8ELi32EfEEv20rocsparse_direction_ii21rocsparse_index_base_PKT4_PKiS7_iiS2_PS3_PiS9_,comdat
.Lfunc_end19:
	.size	_ZN9rocsparseL37gebsr2csr_block_per_row_33_128_kernelILi1024ELi8ELi64ELi8ELi32EfEEv20rocsparse_direction_ii21rocsparse_index_base_PKT4_PKiS7_iiS2_PS3_PiS9_, .Lfunc_end19-_ZN9rocsparseL37gebsr2csr_block_per_row_33_128_kernelILi1024ELi8ELi64ELi8ELi32EfEEv20rocsparse_direction_ii21rocsparse_index_base_PKT4_PKiS7_iiS2_PS3_PiS9_
                                        ; -- End function
	.section	.AMDGPU.csdata,"",@progbits
; Kernel info:
; codeLenInByte = 736
; NumSgprs: 29
; NumVgprs: 13
; NumAgprs: 0
; TotalNumVgprs: 13
; ScratchSize: 0
; MemoryBound: 0
; FloatMode: 240
; IeeeMode: 1
; LDSByteSize: 0 bytes/workgroup (compile time only)
; SGPRBlocks: 3
; VGPRBlocks: 1
; NumSGPRsForWavesPerEU: 29
; NumVGPRsForWavesPerEU: 13
; AccumOffset: 16
; Occupancy: 8
; WaveLimiterHint : 1
; COMPUTE_PGM_RSRC2:SCRATCH_EN: 0
; COMPUTE_PGM_RSRC2:USER_SGPR: 6
; COMPUTE_PGM_RSRC2:TRAP_HANDLER: 0
; COMPUTE_PGM_RSRC2:TGID_X_EN: 1
; COMPUTE_PGM_RSRC2:TGID_Y_EN: 0
; COMPUTE_PGM_RSRC2:TGID_Z_EN: 0
; COMPUTE_PGM_RSRC2:TIDIG_COMP_CNT: 0
; COMPUTE_PGM_RSRC3_GFX90A:ACCUM_OFFSET: 3
; COMPUTE_PGM_RSRC3_GFX90A:TG_SPLIT: 0
	.section	.text._ZN9rocsparseL37gebsr2csr_block_per_row_33_128_kernelILi1024ELi8ELi128ELi8ELi32EfEEv20rocsparse_direction_ii21rocsparse_index_base_PKT4_PKiS7_iiS2_PS3_PiS9_,"axG",@progbits,_ZN9rocsparseL37gebsr2csr_block_per_row_33_128_kernelILi1024ELi8ELi128ELi8ELi32EfEEv20rocsparse_direction_ii21rocsparse_index_base_PKT4_PKiS7_iiS2_PS3_PiS9_,comdat
	.globl	_ZN9rocsparseL37gebsr2csr_block_per_row_33_128_kernelILi1024ELi8ELi128ELi8ELi32EfEEv20rocsparse_direction_ii21rocsparse_index_base_PKT4_PKiS7_iiS2_PS3_PiS9_ ; -- Begin function _ZN9rocsparseL37gebsr2csr_block_per_row_33_128_kernelILi1024ELi8ELi128ELi8ELi32EfEEv20rocsparse_direction_ii21rocsparse_index_base_PKT4_PKiS7_iiS2_PS3_PiS9_
	.p2align	8
	.type	_ZN9rocsparseL37gebsr2csr_block_per_row_33_128_kernelILi1024ELi8ELi128ELi8ELi32EfEEv20rocsparse_direction_ii21rocsparse_index_base_PKT4_PKiS7_iiS2_PS3_PiS9_,@function
_ZN9rocsparseL37gebsr2csr_block_per_row_33_128_kernelILi1024ELi8ELi128ELi8ELi32EfEEv20rocsparse_direction_ii21rocsparse_index_base_PKT4_PKiS7_iiS2_PS3_PiS9_: ; @_ZN9rocsparseL37gebsr2csr_block_per_row_33_128_kernelILi1024ELi8ELi128ELi8ELi32EfEEv20rocsparse_direction_ii21rocsparse_index_base_PKT4_PKiS7_iiS2_PS3_PiS9_
; %bb.0:
	s_load_dwordx2 s[0:1], s[4:5], 0x18
	s_load_dwordx4 s[8:11], s[4:5], 0x28
	s_load_dwordx2 s[2:3], s[4:5], 0x40
	s_ashr_i32 s7, s6, 31
	s_lshl_b64 s[12:13], s[6:7], 2
	s_waitcnt lgkmcnt(0)
	s_add_u32 s0, s0, s12
	s_addc_u32 s1, s1, s13
	s_load_dwordx2 s[14:15], s[0:1], 0x0
	v_or_b32_e32 v1, s6, v0
	v_cmp_eq_u32_e32 vcc, 0, v1
	s_and_saveexec_b64 s[0:1], vcc
	s_cbranch_execz .LBB20_2
; %bb.1:
	v_mov_b32_e32 v1, 0
	v_mov_b32_e32 v2, s10
	global_store_dword v1, v2, s[2:3]
.LBB20_2:
	s_or_b64 exec, exec, s[0:1]
	s_load_dword s11, s[4:5], 0xc
	v_lshrrev_b32_e32 v1, 5, v0
	v_cmp_gt_i32_e64 s[0:1], s8, v1
	s_mul_i32 s27, s9, s8
	s_waitcnt lgkmcnt(0)
	s_sub_i32 s12, s14, s11
	s_sub_i32 s26, s15, s11
	s_and_saveexec_b64 s[16:17], s[0:1]
	s_cbranch_execz .LBB20_4
; %bb.3:
	s_mul_i32 s7, s27, s12
	s_sub_i32 s13, s26, s12
	s_mul_i32 s13, s13, s9
	s_add_i32 s7, s7, s10
	v_mul_lo_u32 v2, s13, v1
	s_add_i32 s7, s7, s13
	s_mul_i32 s6, s6, s8
	v_add_u32_e32 v4, s7, v2
	v_add_u32_e32 v2, s6, v1
	v_ashrrev_i32_e32 v3, 31, v2
	v_lshlrev_b64 v[2:3], 2, v[2:3]
	v_mov_b32_e32 v5, s3
	v_add_co_u32_e32 v2, vcc, s2, v2
	v_addc_co_u32_e32 v3, vcc, v5, v3, vcc
	global_store_dword v[2:3], v4, off offset:4
.LBB20_4:
	s_or_b64 exec, exec, s[16:17]
	s_cmp_ge_i32 s14, s15
	s_cbranch_scc1 .LBB20_15
; %bb.5:
	s_load_dwordx2 s[22:23], s[4:5], 0x20
	s_load_dwordx2 s[6:7], s[4:5], 0x38
	;; [unrolled: 1-line block ×3, first 2 shown]
	s_load_dword s2, s[4:5], 0x0
	s_load_dwordx2 s[16:17], s[4:5], 0x48
	v_and_b32_e32 v0, 31, v0
	s_sub_i32 s3, s26, s12
	v_mul_lo_u32 v10, s3, v1
	s_waitcnt lgkmcnt(0)
	s_cmp_eq_u32 s2, 0
	v_cmp_gt_i32_e64 s[2:3], s9, v0
	v_or_b32_e32 v2, 32, v0
	s_cselect_b64 vcc, -1, 0
	s_and_b64 s[4:5], s[0:1], s[2:3]
	v_cmp_gt_i32_e64 s[2:3], s9, v2
	v_or_b32_e32 v3, 64, v0
	s_and_b64 s[18:19], s[0:1], s[2:3]
	v_cmp_gt_i32_e64 s[2:3], s9, v3
	v_or_b32_e32 v4, 0x60, v0
	s_and_b64 s[20:21], s[0:1], s[2:3]
	v_cmp_gt_i32_e64 s[2:3], s9, v4
	s_and_b64 s[2:3], s[0:1], s[2:3]
	s_mul_i32 s0, s8, s12
	s_mul_i32 s1, s9, s12
	s_ashr_i32 s13, s12, 31
	v_add_u32_e32 v5, s0, v1
	v_add_u32_e32 v9, s1, v0
	;; [unrolled: 1-line block ×3, first 2 shown]
	s_lshl_b64 s[0:1], s[12:13], 2
	v_add_u32_e32 v6, 0x60, v9
	v_add_u32_e32 v7, 64, v9
	;; [unrolled: 1-line block ×3, first 2 shown]
	s_add_u32 s22, s22, s0
	s_movk_i32 s28, 0x60
	v_mul_lo_u32 v5, s9, v5
	v_mul_lo_u32 v6, s8, v6
	;; [unrolled: 1-line block ×6, first 2 shown]
	s_addc_u32 s23, s23, s1
	s_branch .LBB20_7
.LBB20_6:                               ;   in Loop: Header=BB20_7 Depth=1
	s_or_b64 exec, exec, s[24:25]
	s_add_i32 s12, s12, 1
	s_add_u32 s22, s22, 4
	s_addc_u32 s23, s23, 0
	v_add_u32_e32 v5, s27, v5
	v_add_u32_e32 v1, s27, v1
	s_cmp_ge_i32 s12, s26
	v_add_u32_e32 v10, s9, v10
	s_cbranch_scc1 .LBB20_15
.LBB20_7:                               ; =>This Inner Loop Header: Depth=1
	s_load_dword s0, s[22:23], 0x0
	s_waitcnt lgkmcnt(0)
	s_sub_i32 s0, s0, s11
	s_mul_i32 s8, s0, s9
	s_add_i32 s8, s8, s10
	s_and_saveexec_b64 s[24:25], s[4:5]
	s_cbranch_execnz .LBB20_11
; %bb.8:                                ;   in Loop: Header=BB20_7 Depth=1
	s_or_b64 exec, exec, s[24:25]
	s_and_saveexec_b64 s[24:25], s[18:19]
	s_cbranch_execnz .LBB20_12
.LBB20_9:                               ;   in Loop: Header=BB20_7 Depth=1
	s_or_b64 exec, exec, s[24:25]
	s_and_saveexec_b64 s[24:25], s[20:21]
	s_cbranch_execnz .LBB20_13
.LBB20_10:                              ;   in Loop: Header=BB20_7 Depth=1
	s_or_b64 exec, exec, s[24:25]
	s_and_saveexec_b64 s[24:25], s[2:3]
	s_cbranch_execz .LBB20_6
	s_branch .LBB20_14
.LBB20_11:                              ;   in Loop: Header=BB20_7 Depth=1
	v_add_u32_e32 v11, v0, v5
	v_add_u32_e32 v12, v9, v1
	v_cndmask_b32_e32 v12, v12, v11, vcc
	v_ashrrev_i32_e32 v13, 31, v12
	v_lshlrev_b64 v[12:13], 2, v[12:13]
	v_mov_b32_e32 v11, s15
	v_add_co_u32_e64 v12, s[0:1], s14, v12
	v_addc_co_u32_e64 v13, s[0:1], v11, v13, s[0:1]
	global_load_dword v11, v[12:13], off
	v_add_u32_e32 v12, v0, v10
	v_ashrrev_i32_e32 v13, 31, v12
	v_lshlrev_b64 v[12:13], 2, v[12:13]
	v_mov_b32_e32 v15, s17
	v_add_co_u32_e64 v14, s[0:1], s16, v12
	v_add_u32_e32 v16, s8, v0
	v_addc_co_u32_e64 v15, s[0:1], v15, v13, s[0:1]
	global_store_dword v[14:15], v16, off
	v_mov_b32_e32 v14, s7
	v_add_co_u32_e64 v12, s[0:1], s6, v12
	v_addc_co_u32_e64 v13, s[0:1], v14, v13, s[0:1]
	s_waitcnt vmcnt(1)
	global_store_dword v[12:13], v11, off
	s_or_b64 exec, exec, s[24:25]
	s_and_saveexec_b64 s[24:25], s[18:19]
	s_cbranch_execz .LBB20_9
.LBB20_12:                              ;   in Loop: Header=BB20_7 Depth=1
	v_add3_u32 v11, v0, v5, 32
	v_add_u32_e32 v12, v8, v1
	v_cndmask_b32_e32 v12, v12, v11, vcc
	v_ashrrev_i32_e32 v13, 31, v12
	v_lshlrev_b64 v[12:13], 2, v[12:13]
	v_mov_b32_e32 v11, s15
	v_add_co_u32_e64 v12, s[0:1], s14, v12
	v_addc_co_u32_e64 v13, s[0:1], v11, v13, s[0:1]
	global_load_dword v11, v[12:13], off
	v_add3_u32 v12, v0, v10, 32
	v_ashrrev_i32_e32 v13, 31, v12
	v_lshlrev_b64 v[12:13], 2, v[12:13]
	v_mov_b32_e32 v15, s17
	v_add_co_u32_e64 v14, s[0:1], s16, v12
	v_add_u32_e32 v16, s8, v2
	v_addc_co_u32_e64 v15, s[0:1], v15, v13, s[0:1]
	global_store_dword v[14:15], v16, off
	v_mov_b32_e32 v14, s7
	v_add_co_u32_e64 v12, s[0:1], s6, v12
	v_addc_co_u32_e64 v13, s[0:1], v14, v13, s[0:1]
	s_waitcnt vmcnt(1)
	global_store_dword v[12:13], v11, off
	s_or_b64 exec, exec, s[24:25]
	s_and_saveexec_b64 s[24:25], s[20:21]
	s_cbranch_execz .LBB20_10
.LBB20_13:                              ;   in Loop: Header=BB20_7 Depth=1
	v_add3_u32 v11, v0, v5, 64
	v_add_u32_e32 v12, v7, v1
	v_cndmask_b32_e32 v12, v12, v11, vcc
	v_ashrrev_i32_e32 v13, 31, v12
	v_lshlrev_b64 v[12:13], 2, v[12:13]
	v_mov_b32_e32 v11, s15
	v_add_co_u32_e64 v12, s[0:1], s14, v12
	v_addc_co_u32_e64 v13, s[0:1], v11, v13, s[0:1]
	global_load_dword v11, v[12:13], off
	v_add3_u32 v12, v0, v10, 64
	v_ashrrev_i32_e32 v13, 31, v12
	v_lshlrev_b64 v[12:13], 2, v[12:13]
	v_mov_b32_e32 v15, s17
	v_add_co_u32_e64 v14, s[0:1], s16, v12
	v_add_u32_e32 v16, s8, v3
	v_addc_co_u32_e64 v15, s[0:1], v15, v13, s[0:1]
	global_store_dword v[14:15], v16, off
	v_mov_b32_e32 v14, s7
	v_add_co_u32_e64 v12, s[0:1], s6, v12
	v_addc_co_u32_e64 v13, s[0:1], v14, v13, s[0:1]
	s_waitcnt vmcnt(1)
	global_store_dword v[12:13], v11, off
	s_or_b64 exec, exec, s[24:25]
	s_and_saveexec_b64 s[24:25], s[2:3]
	s_cbranch_execz .LBB20_6
.LBB20_14:                              ;   in Loop: Header=BB20_7 Depth=1
	v_add3_u32 v11, v0, v5, s28
	v_add_u32_e32 v12, v6, v1
	v_cndmask_b32_e32 v12, v12, v11, vcc
	v_ashrrev_i32_e32 v13, 31, v12
	v_lshlrev_b64 v[12:13], 2, v[12:13]
	v_mov_b32_e32 v11, s15
	v_add_co_u32_e64 v12, s[0:1], s14, v12
	v_addc_co_u32_e64 v13, s[0:1], v11, v13, s[0:1]
	global_load_dword v11, v[12:13], off
	v_add3_u32 v12, v0, v10, s28
	v_ashrrev_i32_e32 v13, 31, v12
	v_lshlrev_b64 v[12:13], 2, v[12:13]
	v_mov_b32_e32 v15, s17
	v_add_co_u32_e64 v14, s[0:1], s16, v12
	v_add_u32_e32 v16, s8, v4
	v_addc_co_u32_e64 v15, s[0:1], v15, v13, s[0:1]
	global_store_dword v[14:15], v16, off
	v_mov_b32_e32 v14, s7
	v_add_co_u32_e64 v12, s[0:1], s6, v12
	v_addc_co_u32_e64 v13, s[0:1], v14, v13, s[0:1]
	s_waitcnt vmcnt(1)
	global_store_dword v[12:13], v11, off
	s_branch .LBB20_6
.LBB20_15:
	s_endpgm
	.section	.rodata,"a",@progbits
	.p2align	6, 0x0
	.amdhsa_kernel _ZN9rocsparseL37gebsr2csr_block_per_row_33_128_kernelILi1024ELi8ELi128ELi8ELi32EfEEv20rocsparse_direction_ii21rocsparse_index_base_PKT4_PKiS7_iiS2_PS3_PiS9_
		.amdhsa_group_segment_fixed_size 0
		.amdhsa_private_segment_fixed_size 0
		.amdhsa_kernarg_size 80
		.amdhsa_user_sgpr_count 6
		.amdhsa_user_sgpr_private_segment_buffer 1
		.amdhsa_user_sgpr_dispatch_ptr 0
		.amdhsa_user_sgpr_queue_ptr 0
		.amdhsa_user_sgpr_kernarg_segment_ptr 1
		.amdhsa_user_sgpr_dispatch_id 0
		.amdhsa_user_sgpr_flat_scratch_init 0
		.amdhsa_user_sgpr_kernarg_preload_length 0
		.amdhsa_user_sgpr_kernarg_preload_offset 0
		.amdhsa_user_sgpr_private_segment_size 0
		.amdhsa_uses_dynamic_stack 0
		.amdhsa_system_sgpr_private_segment_wavefront_offset 0
		.amdhsa_system_sgpr_workgroup_id_x 1
		.amdhsa_system_sgpr_workgroup_id_y 0
		.amdhsa_system_sgpr_workgroup_id_z 0
		.amdhsa_system_sgpr_workgroup_info 0
		.amdhsa_system_vgpr_workitem_id 0
		.amdhsa_next_free_vgpr 17
		.amdhsa_next_free_sgpr 29
		.amdhsa_accum_offset 20
		.amdhsa_reserve_vcc 1
		.amdhsa_reserve_flat_scratch 0
		.amdhsa_float_round_mode_32 0
		.amdhsa_float_round_mode_16_64 0
		.amdhsa_float_denorm_mode_32 3
		.amdhsa_float_denorm_mode_16_64 3
		.amdhsa_dx10_clamp 1
		.amdhsa_ieee_mode 1
		.amdhsa_fp16_overflow 0
		.amdhsa_tg_split 0
		.amdhsa_exception_fp_ieee_invalid_op 0
		.amdhsa_exception_fp_denorm_src 0
		.amdhsa_exception_fp_ieee_div_zero 0
		.amdhsa_exception_fp_ieee_overflow 0
		.amdhsa_exception_fp_ieee_underflow 0
		.amdhsa_exception_fp_ieee_inexact 0
		.amdhsa_exception_int_div_zero 0
	.end_amdhsa_kernel
	.section	.text._ZN9rocsparseL37gebsr2csr_block_per_row_33_128_kernelILi1024ELi8ELi128ELi8ELi32EfEEv20rocsparse_direction_ii21rocsparse_index_base_PKT4_PKiS7_iiS2_PS3_PiS9_,"axG",@progbits,_ZN9rocsparseL37gebsr2csr_block_per_row_33_128_kernelILi1024ELi8ELi128ELi8ELi32EfEEv20rocsparse_direction_ii21rocsparse_index_base_PKT4_PKiS7_iiS2_PS3_PiS9_,comdat
.Lfunc_end20:
	.size	_ZN9rocsparseL37gebsr2csr_block_per_row_33_128_kernelILi1024ELi8ELi128ELi8ELi32EfEEv20rocsparse_direction_ii21rocsparse_index_base_PKT4_PKiS7_iiS2_PS3_PiS9_, .Lfunc_end20-_ZN9rocsparseL37gebsr2csr_block_per_row_33_128_kernelILi1024ELi8ELi128ELi8ELi32EfEEv20rocsparse_direction_ii21rocsparse_index_base_PKT4_PKiS7_iiS2_PS3_PiS9_
                                        ; -- End function
	.section	.AMDGPU.csdata,"",@progbits
; Kernel info:
; codeLenInByte = 1160
; NumSgprs: 33
; NumVgprs: 17
; NumAgprs: 0
; TotalNumVgprs: 17
; ScratchSize: 0
; MemoryBound: 0
; FloatMode: 240
; IeeeMode: 1
; LDSByteSize: 0 bytes/workgroup (compile time only)
; SGPRBlocks: 4
; VGPRBlocks: 2
; NumSGPRsForWavesPerEU: 33
; NumVGPRsForWavesPerEU: 17
; AccumOffset: 20
; Occupancy: 8
; WaveLimiterHint : 1
; COMPUTE_PGM_RSRC2:SCRATCH_EN: 0
; COMPUTE_PGM_RSRC2:USER_SGPR: 6
; COMPUTE_PGM_RSRC2:TRAP_HANDLER: 0
; COMPUTE_PGM_RSRC2:TGID_X_EN: 1
; COMPUTE_PGM_RSRC2:TGID_Y_EN: 0
; COMPUTE_PGM_RSRC2:TGID_Z_EN: 0
; COMPUTE_PGM_RSRC2:TIDIG_COMP_CNT: 0
; COMPUTE_PGM_RSRC3_GFX90A:ACCUM_OFFSET: 4
; COMPUTE_PGM_RSRC3_GFX90A:TG_SPLIT: 0
	.section	.text._ZN9rocsparseL35gebsr2csr_block_per_row_1_32_kernelILi1024ELi16ELi2EfEEv20rocsparse_direction_ii21rocsparse_index_base_PKT2_PKiS7_iiS2_PS3_PiS9_,"axG",@progbits,_ZN9rocsparseL35gebsr2csr_block_per_row_1_32_kernelILi1024ELi16ELi2EfEEv20rocsparse_direction_ii21rocsparse_index_base_PKT2_PKiS7_iiS2_PS3_PiS9_,comdat
	.globl	_ZN9rocsparseL35gebsr2csr_block_per_row_1_32_kernelILi1024ELi16ELi2EfEEv20rocsparse_direction_ii21rocsparse_index_base_PKT2_PKiS7_iiS2_PS3_PiS9_ ; -- Begin function _ZN9rocsparseL35gebsr2csr_block_per_row_1_32_kernelILi1024ELi16ELi2EfEEv20rocsparse_direction_ii21rocsparse_index_base_PKT2_PKiS7_iiS2_PS3_PiS9_
	.p2align	8
	.type	_ZN9rocsparseL35gebsr2csr_block_per_row_1_32_kernelILi1024ELi16ELi2EfEEv20rocsparse_direction_ii21rocsparse_index_base_PKT2_PKiS7_iiS2_PS3_PiS9_,@function
_ZN9rocsparseL35gebsr2csr_block_per_row_1_32_kernelILi1024ELi16ELi2EfEEv20rocsparse_direction_ii21rocsparse_index_base_PKT2_PKiS7_iiS2_PS3_PiS9_: ; @_ZN9rocsparseL35gebsr2csr_block_per_row_1_32_kernelILi1024ELi16ELi2EfEEv20rocsparse_direction_ii21rocsparse_index_base_PKT2_PKiS7_iiS2_PS3_PiS9_
; %bb.0:
	s_load_dwordx2 s[0:1], s[4:5], 0x18
	s_load_dwordx4 s[8:11], s[4:5], 0x28
	s_load_dwordx2 s[2:3], s[4:5], 0x40
	s_ashr_i32 s7, s6, 31
	s_lshl_b64 s[12:13], s[6:7], 2
	s_waitcnt lgkmcnt(0)
	s_add_u32 s12, s0, s12
	v_or_b32_e32 v1, s6, v0
	s_addc_u32 s13, s1, s13
	v_cmp_eq_u32_e32 vcc, 0, v1
	s_and_saveexec_b64 s[0:1], vcc
	s_cbranch_execz .LBB21_2
; %bb.1:
	v_mov_b32_e32 v1, 0
	v_mov_b32_e32 v2, s10
	global_store_dword v1, v2, s[2:3]
.LBB21_2:
	s_or_b64 exec, exec, s[0:1]
	v_and_b32_e32 v4, 1, v0
	v_bfe_u32 v10, v0, 1, 4
	v_cmp_gt_i32_e32 vcc, s8, v10
	v_cmp_gt_i32_e64 s[0:1], s9, v4
	s_and_b64 s[0:1], vcc, s[0:1]
	s_and_saveexec_b64 s[14:15], s[0:1]
	s_cbranch_execz .LBB21_15
; %bb.3:
	s_load_dwordx2 s[16:17], s[12:13], 0x0
	s_load_dword s20, s[4:5], 0xc
	s_mul_i32 s21, s9, s8
	v_lshrrev_b32_e32 v5, 5, v0
	v_mov_b32_e32 v6, s3
	s_waitcnt lgkmcnt(0)
	s_sub_i32 s22, s16, s20
	s_sub_i32 s17, s17, s20
	;; [unrolled: 1-line block ×3, first 2 shown]
	s_mul_i32 s1, s25, s9
	s_mul_i32 s0, s22, s21
	v_mul_lo_u32 v0, s1, v10
	v_add_u32_e32 v1, s0, v0
	s_mul_i32 s0, s6, s8
	v_add_u32_e32 v2, s0, v10
	v_ashrrev_i32_e32 v3, 31, v2
	v_lshlrev_b64 v[2:3], 2, v[2:3]
	s_add_i32 s1, s1, s10
	v_add_co_u32_e32 v2, vcc, s2, v2
	v_add_u32_e32 v0, s1, v1
	v_addc_co_u32_e32 v3, vcc, v6, v3, vcc
	global_store_dword v[2:3], v0, off offset:4
	v_add_u32_e32 v0, s22, v5
	v_cmp_gt_i32_e32 vcc, s17, v0
	s_and_b64 exec, exec, vcc
	s_cbranch_execz .LBB21_15
; %bb.4:
	s_load_dwordx2 s[18:19], s[4:5], 0x20
	s_load_dwordx2 s[6:7], s[4:5], 0x38
	s_load_dword s0, s[4:5], 0x0
	s_load_dwordx2 s[12:13], s[4:5], 0x10
	s_load_dwordx2 s[14:15], s[4:5], 0x48
	v_add_u32_e32 v3, s16, v5
	v_subrev_u32_e32 v3, s20, v3
	s_waitcnt lgkmcnt(0)
	s_cmp_eq_u32 s0, 0
	v_mad_u64_u32 v[6:7], s[0:1], v4, s8, v[10:11]
	v_mad_u64_u32 v[8:9], s[0:1], v10, s9, v[4:5]
	s_cselect_b64 vcc, -1, 0
	v_add_u32_e32 v3, 32, v3
	s_not_b32 s0, s16
	v_max_i32_e32 v3, s17, v3
	s_add_i32 s0, s0, s20
	v_add_u32_e32 v3, s0, v3
	v_sub_u32_e32 v7, v3, v5
	s_movk_i32 s0, 0x21f
	v_add_u32_e32 v2, s10, v4
	v_cmp_lt_u32_e64 s[0:1], s0, v7
	s_mov_b64 s[2:3], 0
	v_mul_lo_u32 v3, s25, v10
                                        ; implicit-def: $sgpr24
                                        ; implicit-def: $sgpr23
	s_and_saveexec_b64 s[4:5], s[0:1]
	s_xor_b64 s[10:11], exec, s[4:5]
	s_cbranch_execz .LBB21_10
; %bb.5:
	s_lshl_b32 s23, s9, 5
	s_mul_i32 s24, s22, s8
	v_mul_lo_u32 v3, s25, v10
	s_sub_i32 s4, 0, s23
	v_add3_u32 v5, v5, s24, v3
	v_mad_u64_u32 v[10:11], s[0:1], v5, s9, v[4:5]
	s_cmp_lt_i32 s23, 0
	s_cselect_b64 s[0:1], -1, 0
	s_and_b64 s[2:3], s[0:1], exec
	v_lshrrev_b32_e32 v7, 5, v7
	s_cselect_b32 s4, s4, s23
	v_mul_hi_u32 v5, s4, v7
	v_cmp_eq_u32_e64 s[2:3], 0, v5
	v_mul_lo_u32 v5, s4, v7
	v_add_u32_e32 v9, v10, v5
	v_sub_u32_e32 v5, v10, v5
	v_cmp_gt_i32_e64 s[4:5], v5, v10
	v_cndmask_b32_e64 v5, 0, 1, s[4:5]
	v_cmp_lt_i32_e64 s[4:5], v9, v10
	v_cndmask_b32_e64 v9, 0, 1, s[4:5]
	v_cndmask_b32_e64 v5, v9, v5, s[0:1]
	v_and_b32_e32 v5, 1, v5
	v_cmp_eq_u32_e64 s[0:1], 1, v5
	s_xor_b64 s[0:1], s[0:1], -1
	s_mov_b64 s[4:5], -1
	s_and_b64 s[0:1], s[0:1], s[2:3]
	s_and_saveexec_b64 s[2:3], s[0:1]
	s_cbranch_execz .LBB21_9
; %bb.6:
	v_add_u32_e32 v5, 1, v7
	v_add_u32_e32 v10, v1, v4
	v_and_b32_e32 v7, 0xffffffe, v5
	v_add_u32_e32 v1, 32, v0
	v_cndmask_b32_e32 v12, v6, v8, vcc
	s_mov_b32 s25, s20
	s_mov_b32 s26, s22
	;; [unrolled: 1-line block ×5, first 2 shown]
	s_mov_b64 s[4:5], 0
	v_mov_b32_e32 v9, s19
	v_mov_b32_e32 v14, v10
	;; [unrolled: 1-line block ×8, first 2 shown]
	v_pk_mov_b32 v[20:21], v[0:1], v[0:1] op_sel:[0,1]
.LBB21_7:                               ; =>This Inner Loop Header: Depth=1
	v_ashrrev_i32_e32 v25, 31, v20
	v_mov_b32_e32 v24, v20
	v_mad_u64_u32 v[26:27], s[0:1], v20, s21, v[12:13]
	v_mad_u64_u32 v[28:29], s[0:1], v21, s29, v[18:19]
	v_lshlrev_b64 v[24:25], 2, v[24:25]
	v_ashrrev_i32_e32 v23, 31, v21
	v_mov_b32_e32 v22, v21
	v_add_co_u32_e64 v24, s[0:1], s18, v24
	v_lshlrev_b64 v[22:23], 2, v[22:23]
	v_addc_co_u32_e64 v25, s[0:1], v9, v25, s[0:1]
	v_ashrrev_i32_e32 v27, 31, v26
	v_add_co_u32_e64 v22, s[0:1], s18, v22
	v_addc_co_u32_e64 v23, s[0:1], v9, v23, s[0:1]
	v_lshlrev_b64 v[26:27], 2, v[26:27]
	v_ashrrev_i32_e32 v29, 31, v28
	global_load_dword v1, v[24:25], off
	global_load_dword v19, v[22:23], off
	v_add_co_u32_e64 v22, s[0:1], s12, v26
	v_lshlrev_b64 v[28:29], 2, v[28:29]
	v_addc_co_u32_e64 v23, s[0:1], v13, v27, s[0:1]
	v_add_co_u32_e64 v24, s[0:1], s12, v28
	v_addc_co_u32_e64 v25, s[0:1], v13, v29, s[0:1]
	global_load_dword v34, v[22:23], off
	global_load_dword v35, v[24:25], off
	v_subrev_u32_e32 v22, s22, v20
	v_subrev_u32_e32 v24, s26, v21
	v_mad_u64_u32 v[22:23], s[0:1], v22, s27, v[10:11]
	v_add_u32_e32 v17, -2, v17
	v_mad_u64_u32 v[24:25], s[0:1], v24, s28, v[14:15]
	v_ashrrev_i32_e32 v23, 31, v22
	v_cmp_eq_u32_e64 s[0:1], 0, v17
	v_lshlrev_b64 v[22:23], 2, v[22:23]
	v_ashrrev_i32_e32 v25, 31, v24
	s_or_b64 s[4:5], s[0:1], s[4:5]
	v_add_co_u32_e64 v26, s[0:1], s14, v22
	v_lshlrev_b64 v[24:25], 2, v[24:25]
	v_addc_co_u32_e64 v27, s[0:1], v11, v23, s[0:1]
	v_add_co_u32_e64 v28, s[0:1], s14, v24
	v_addc_co_u32_e64 v29, s[0:1], v11, v25, s[0:1]
	v_add_co_u32_e64 v22, s[0:1], s6, v22
	v_addc_co_u32_e64 v23, s[0:1], v15, v23, s[0:1]
	v_add_u32_e32 v21, 64, v21
	v_add_u32_e32 v20, 64, v20
	v_add_co_u32_e64 v24, s[0:1], s6, v24
	v_addc_co_u32_e64 v25, s[0:1], v15, v25, s[0:1]
	s_waitcnt vmcnt(3)
	v_subrev_u32_e32 v1, s20, v1
	s_waitcnt vmcnt(2)
	v_subrev_u32_e32 v19, s25, v19
	v_mad_u64_u32 v[30:31], s[0:1], v19, s28, v[16:17]
	v_mad_u64_u32 v[32:33], s[0:1], v1, s27, v[2:3]
	s_waitcnt vmcnt(1)
	global_store_dword v[22:23], v34, off
	s_waitcnt vmcnt(1)
	global_store_dword v[24:25], v35, off
	global_store_dword v[26:27], v32, off
	global_store_dword v[28:29], v30, off
	s_andn2_b64 exec, exec, s[4:5]
	s_cbranch_execnz .LBB21_7
; %bb.8:
	s_or_b64 exec, exec, s[4:5]
	v_cmp_ne_u32_e64 s[0:1], v5, v7
	v_lshl_add_u32 v0, v7, 5, v0
	s_orn2_b64 s[4:5], s[0:1], exec
.LBB21_9:
	s_or_b64 exec, exec, s[2:3]
	s_and_b64 s[2:3], s[4:5], exec
.LBB21_10:
	s_or_saveexec_b64 s[0:1], s[10:11]
	v_mov_b32_e32 v1, s24
	v_mov_b32_e32 v10, s23
	s_xor_b64 exec, exec, s[0:1]
; %bb.11:
	s_mul_i32 s4, s8, s22
	s_lshl_b32 s5, s9, 5
	v_mov_b32_e32 v1, s4
	v_mov_b32_e32 v10, s5
	s_or_b64 s[2:3], s[2:3], exec
; %bb.12:
	s_or_b64 exec, exec, s[0:1]
	s_and_b64 exec, exec, s[2:3]
	s_cbranch_execz .LBB21_15
; %bb.13:
	v_cndmask_b32_e32 v6, v6, v8, vcc
	v_mul_lo_u32 v5, v0, s9
	v_mad_u64_u32 v[6:7], s[0:1], v5, s8, v[6:7]
	v_add_u32_e32 v5, s20, v0
	v_add3_u32 v1, v5, v1, v3
	v_subrev_u32_e32 v1, s16, v1
	v_mad_u64_u32 v[4:5], s[0:1], s9, v1, v[4:5]
	v_ashrrev_i32_e32 v1, 31, v0
	v_lshlrev_b64 v[8:9], 2, v[0:1]
	v_mov_b32_e32 v1, s19
	v_add_co_u32_e32 v8, vcc, s18, v8
	s_lshl_b32 s4, s21, 5
	v_addc_co_u32_e32 v9, vcc, v1, v9, vcc
	s_mov_b64 s[2:3], 0
	v_mov_b32_e32 v1, s15
	v_mov_b32_e32 v3, s13
	;; [unrolled: 1-line block ×3, first 2 shown]
.LBB21_14:                              ; =>This Inner Loop Header: Depth=1
	v_ashrrev_i32_e32 v7, 31, v6
	global_load_dword v16, v[8:9], off
	v_lshlrev_b64 v[12:13], 2, v[6:7]
	v_add_co_u32_e32 v12, vcc, s12, v12
	v_addc_co_u32_e32 v13, vcc, v3, v13, vcc
	global_load_dword v7, v[12:13], off
	v_ashrrev_i32_e32 v5, 31, v4
	v_lshlrev_b64 v[12:13], 2, v[4:5]
	v_add_co_u32_e32 v8, vcc, 0x80, v8
	v_add_co_u32_e64 v14, s[0:1], s14, v12
	v_add_u32_e32 v0, 32, v0
	v_addc_co_u32_e32 v9, vcc, 0, v9, vcc
	v_addc_co_u32_e64 v15, s[0:1], v1, v13, s[0:1]
	v_cmp_le_i32_e32 vcc, s17, v0
	v_add_co_u32_e64 v12, s[0:1], s6, v12
	v_add_u32_e32 v6, s4, v6
	v_add_u32_e32 v4, v4, v10
	v_addc_co_u32_e64 v13, s[0:1], v11, v13, s[0:1]
	s_or_b64 s[2:3], vcc, s[2:3]
	s_waitcnt vmcnt(1)
	v_subrev_u32_e32 v5, s20, v16
	v_mad_u64_u32 v[16:17], s[0:1], v5, s9, v[2:3]
	global_store_dword v[14:15], v16, off
	s_waitcnt vmcnt(1)
	global_store_dword v[12:13], v7, off
	s_andn2_b64 exec, exec, s[2:3]
	s_cbranch_execnz .LBB21_14
.LBB21_15:
	s_endpgm
	.section	.rodata,"a",@progbits
	.p2align	6, 0x0
	.amdhsa_kernel _ZN9rocsparseL35gebsr2csr_block_per_row_1_32_kernelILi1024ELi16ELi2EfEEv20rocsparse_direction_ii21rocsparse_index_base_PKT2_PKiS7_iiS2_PS3_PiS9_
		.amdhsa_group_segment_fixed_size 0
		.amdhsa_private_segment_fixed_size 0
		.amdhsa_kernarg_size 80
		.amdhsa_user_sgpr_count 6
		.amdhsa_user_sgpr_private_segment_buffer 1
		.amdhsa_user_sgpr_dispatch_ptr 0
		.amdhsa_user_sgpr_queue_ptr 0
		.amdhsa_user_sgpr_kernarg_segment_ptr 1
		.amdhsa_user_sgpr_dispatch_id 0
		.amdhsa_user_sgpr_flat_scratch_init 0
		.amdhsa_user_sgpr_kernarg_preload_length 0
		.amdhsa_user_sgpr_kernarg_preload_offset 0
		.amdhsa_user_sgpr_private_segment_size 0
		.amdhsa_uses_dynamic_stack 0
		.amdhsa_system_sgpr_private_segment_wavefront_offset 0
		.amdhsa_system_sgpr_workgroup_id_x 1
		.amdhsa_system_sgpr_workgroup_id_y 0
		.amdhsa_system_sgpr_workgroup_id_z 0
		.amdhsa_system_sgpr_workgroup_info 0
		.amdhsa_system_vgpr_workitem_id 0
		.amdhsa_next_free_vgpr 36
		.amdhsa_next_free_sgpr 30
		.amdhsa_accum_offset 36
		.amdhsa_reserve_vcc 1
		.amdhsa_reserve_flat_scratch 0
		.amdhsa_float_round_mode_32 0
		.amdhsa_float_round_mode_16_64 0
		.amdhsa_float_denorm_mode_32 3
		.amdhsa_float_denorm_mode_16_64 3
		.amdhsa_dx10_clamp 1
		.amdhsa_ieee_mode 1
		.amdhsa_fp16_overflow 0
		.amdhsa_tg_split 0
		.amdhsa_exception_fp_ieee_invalid_op 0
		.amdhsa_exception_fp_denorm_src 0
		.amdhsa_exception_fp_ieee_div_zero 0
		.amdhsa_exception_fp_ieee_overflow 0
		.amdhsa_exception_fp_ieee_underflow 0
		.amdhsa_exception_fp_ieee_inexact 0
		.amdhsa_exception_int_div_zero 0
	.end_amdhsa_kernel
	.section	.text._ZN9rocsparseL35gebsr2csr_block_per_row_1_32_kernelILi1024ELi16ELi2EfEEv20rocsparse_direction_ii21rocsparse_index_base_PKT2_PKiS7_iiS2_PS3_PiS9_,"axG",@progbits,_ZN9rocsparseL35gebsr2csr_block_per_row_1_32_kernelILi1024ELi16ELi2EfEEv20rocsparse_direction_ii21rocsparse_index_base_PKT2_PKiS7_iiS2_PS3_PiS9_,comdat
.Lfunc_end21:
	.size	_ZN9rocsparseL35gebsr2csr_block_per_row_1_32_kernelILi1024ELi16ELi2EfEEv20rocsparse_direction_ii21rocsparse_index_base_PKT2_PKiS7_iiS2_PS3_PiS9_, .Lfunc_end21-_ZN9rocsparseL35gebsr2csr_block_per_row_1_32_kernelILi1024ELi16ELi2EfEEv20rocsparse_direction_ii21rocsparse_index_base_PKT2_PKiS7_iiS2_PS3_PiS9_
                                        ; -- End function
	.section	.AMDGPU.csdata,"",@progbits
; Kernel info:
; codeLenInByte = 1340
; NumSgprs: 34
; NumVgprs: 36
; NumAgprs: 0
; TotalNumVgprs: 36
; ScratchSize: 0
; MemoryBound: 0
; FloatMode: 240
; IeeeMode: 1
; LDSByteSize: 0 bytes/workgroup (compile time only)
; SGPRBlocks: 4
; VGPRBlocks: 4
; NumSGPRsForWavesPerEU: 34
; NumVGPRsForWavesPerEU: 36
; AccumOffset: 36
; Occupancy: 8
; WaveLimiterHint : 0
; COMPUTE_PGM_RSRC2:SCRATCH_EN: 0
; COMPUTE_PGM_RSRC2:USER_SGPR: 6
; COMPUTE_PGM_RSRC2:TRAP_HANDLER: 0
; COMPUTE_PGM_RSRC2:TGID_X_EN: 1
; COMPUTE_PGM_RSRC2:TGID_Y_EN: 0
; COMPUTE_PGM_RSRC2:TGID_Z_EN: 0
; COMPUTE_PGM_RSRC2:TIDIG_COMP_CNT: 0
; COMPUTE_PGM_RSRC3_GFX90A:ACCUM_OFFSET: 8
; COMPUTE_PGM_RSRC3_GFX90A:TG_SPLIT: 0
	.section	.text._ZN9rocsparseL35gebsr2csr_block_per_row_1_32_kernelILi1024ELi16ELi4EfEEv20rocsparse_direction_ii21rocsparse_index_base_PKT2_PKiS7_iiS2_PS3_PiS9_,"axG",@progbits,_ZN9rocsparseL35gebsr2csr_block_per_row_1_32_kernelILi1024ELi16ELi4EfEEv20rocsparse_direction_ii21rocsparse_index_base_PKT2_PKiS7_iiS2_PS3_PiS9_,comdat
	.globl	_ZN9rocsparseL35gebsr2csr_block_per_row_1_32_kernelILi1024ELi16ELi4EfEEv20rocsparse_direction_ii21rocsparse_index_base_PKT2_PKiS7_iiS2_PS3_PiS9_ ; -- Begin function _ZN9rocsparseL35gebsr2csr_block_per_row_1_32_kernelILi1024ELi16ELi4EfEEv20rocsparse_direction_ii21rocsparse_index_base_PKT2_PKiS7_iiS2_PS3_PiS9_
	.p2align	8
	.type	_ZN9rocsparseL35gebsr2csr_block_per_row_1_32_kernelILi1024ELi16ELi4EfEEv20rocsparse_direction_ii21rocsparse_index_base_PKT2_PKiS7_iiS2_PS3_PiS9_,@function
_ZN9rocsparseL35gebsr2csr_block_per_row_1_32_kernelILi1024ELi16ELi4EfEEv20rocsparse_direction_ii21rocsparse_index_base_PKT2_PKiS7_iiS2_PS3_PiS9_: ; @_ZN9rocsparseL35gebsr2csr_block_per_row_1_32_kernelILi1024ELi16ELi4EfEEv20rocsparse_direction_ii21rocsparse_index_base_PKT2_PKiS7_iiS2_PS3_PiS9_
; %bb.0:
	s_load_dwordx2 s[0:1], s[4:5], 0x18
	s_load_dwordx4 s[8:11], s[4:5], 0x28
	s_load_dwordx2 s[2:3], s[4:5], 0x40
	s_ashr_i32 s7, s6, 31
	s_lshl_b64 s[12:13], s[6:7], 2
	s_waitcnt lgkmcnt(0)
	s_add_u32 s12, s0, s12
	v_or_b32_e32 v1, s6, v0
	s_addc_u32 s13, s1, s13
	v_cmp_eq_u32_e32 vcc, 0, v1
	s_and_saveexec_b64 s[0:1], vcc
	s_cbranch_execz .LBB22_2
; %bb.1:
	v_mov_b32_e32 v1, 0
	v_mov_b32_e32 v2, s10
	global_store_dword v1, v2, s[2:3]
.LBB22_2:
	s_or_b64 exec, exec, s[0:1]
	v_and_b32_e32 v4, 3, v0
	v_bfe_u32 v10, v0, 2, 4
	v_cmp_gt_i32_e32 vcc, s8, v10
	v_cmp_gt_i32_e64 s[0:1], s9, v4
	s_and_b64 s[0:1], vcc, s[0:1]
	s_and_saveexec_b64 s[14:15], s[0:1]
	s_cbranch_execz .LBB22_15
; %bb.3:
	s_load_dwordx2 s[16:17], s[12:13], 0x0
	s_load_dword s20, s[4:5], 0xc
	s_mul_i32 s21, s9, s8
	v_lshrrev_b32_e32 v5, 6, v0
	v_mov_b32_e32 v6, s3
	s_waitcnt lgkmcnt(0)
	s_sub_i32 s22, s16, s20
	s_sub_i32 s17, s17, s20
	;; [unrolled: 1-line block ×3, first 2 shown]
	s_mul_i32 s1, s25, s9
	s_mul_i32 s0, s22, s21
	v_mul_lo_u32 v0, s1, v10
	v_add_u32_e32 v1, s0, v0
	s_mul_i32 s0, s6, s8
	v_add_u32_e32 v2, s0, v10
	v_ashrrev_i32_e32 v3, 31, v2
	v_lshlrev_b64 v[2:3], 2, v[2:3]
	s_add_i32 s1, s1, s10
	v_add_co_u32_e32 v2, vcc, s2, v2
	v_add_u32_e32 v0, s1, v1
	v_addc_co_u32_e32 v3, vcc, v6, v3, vcc
	global_store_dword v[2:3], v0, off offset:4
	v_add_u32_e32 v0, s22, v5
	v_cmp_gt_i32_e32 vcc, s17, v0
	s_and_b64 exec, exec, vcc
	s_cbranch_execz .LBB22_15
; %bb.4:
	s_load_dwordx2 s[18:19], s[4:5], 0x20
	s_load_dwordx2 s[6:7], s[4:5], 0x38
	s_load_dword s0, s[4:5], 0x0
	s_load_dwordx2 s[12:13], s[4:5], 0x10
	s_load_dwordx2 s[14:15], s[4:5], 0x48
	v_add_u32_e32 v3, s16, v5
	v_subrev_u32_e32 v3, s20, v3
	s_waitcnt lgkmcnt(0)
	s_cmp_eq_u32 s0, 0
	v_mad_u64_u32 v[6:7], s[0:1], v4, s8, v[10:11]
	v_mad_u64_u32 v[8:9], s[0:1], v10, s9, v[4:5]
	s_cselect_b64 vcc, -1, 0
	v_add_u32_e32 v3, 16, v3
	s_not_b32 s0, s16
	v_max_i32_e32 v3, s17, v3
	s_add_i32 s0, s0, s20
	v_add_u32_e32 v3, s0, v3
	v_sub_u32_e32 v7, v3, v5
	s_movk_i32 s0, 0x10f
	v_add_u32_e32 v2, s10, v4
	v_cmp_lt_u32_e64 s[0:1], s0, v7
	s_mov_b64 s[2:3], 0
	v_mul_lo_u32 v3, s25, v10
                                        ; implicit-def: $sgpr24
                                        ; implicit-def: $sgpr23
	s_and_saveexec_b64 s[4:5], s[0:1]
	s_xor_b64 s[10:11], exec, s[4:5]
	s_cbranch_execz .LBB22_10
; %bb.5:
	s_lshl_b32 s23, s9, 4
	s_mul_i32 s24, s22, s8
	v_mul_lo_u32 v3, s25, v10
	s_sub_i32 s4, 0, s23
	v_add3_u32 v5, v5, s24, v3
	v_mad_u64_u32 v[10:11], s[0:1], v5, s9, v[4:5]
	s_cmp_lt_i32 s23, 0
	s_cselect_b64 s[0:1], -1, 0
	s_and_b64 s[2:3], s[0:1], exec
	v_lshrrev_b32_e32 v7, 4, v7
	s_cselect_b32 s4, s4, s23
	v_mul_hi_u32 v5, s4, v7
	v_cmp_eq_u32_e64 s[2:3], 0, v5
	v_mul_lo_u32 v5, s4, v7
	v_add_u32_e32 v9, v10, v5
	v_sub_u32_e32 v5, v10, v5
	v_cmp_gt_i32_e64 s[4:5], v5, v10
	v_cndmask_b32_e64 v5, 0, 1, s[4:5]
	v_cmp_lt_i32_e64 s[4:5], v9, v10
	v_cndmask_b32_e64 v9, 0, 1, s[4:5]
	v_cndmask_b32_e64 v5, v9, v5, s[0:1]
	v_and_b32_e32 v5, 1, v5
	v_cmp_eq_u32_e64 s[0:1], 1, v5
	s_xor_b64 s[0:1], s[0:1], -1
	s_mov_b64 s[4:5], -1
	s_and_b64 s[0:1], s[0:1], s[2:3]
	s_and_saveexec_b64 s[2:3], s[0:1]
	s_cbranch_execz .LBB22_9
; %bb.6:
	v_add_u32_e32 v5, 1, v7
	v_add_u32_e32 v10, v1, v4
	v_and_b32_e32 v7, 0x1ffffffe, v5
	v_add_u32_e32 v1, 16, v0
	v_cndmask_b32_e32 v12, v6, v8, vcc
	s_mov_b32 s25, s20
	s_mov_b32 s26, s22
	;; [unrolled: 1-line block ×5, first 2 shown]
	s_mov_b64 s[4:5], 0
	v_mov_b32_e32 v9, s19
	v_mov_b32_e32 v14, v10
	v_mov_b32_e32 v16, v2
	v_mov_b32_e32 v11, s15
	v_mov_b32_e32 v18, v12
	v_mov_b32_e32 v13, s13
	v_mov_b32_e32 v15, s7
	v_mov_b32_e32 v17, v7
	v_pk_mov_b32 v[20:21], v[0:1], v[0:1] op_sel:[0,1]
.LBB22_7:                               ; =>This Inner Loop Header: Depth=1
	v_ashrrev_i32_e32 v25, 31, v20
	v_mov_b32_e32 v24, v20
	v_mad_u64_u32 v[26:27], s[0:1], v20, s21, v[12:13]
	v_mad_u64_u32 v[28:29], s[0:1], v21, s29, v[18:19]
	v_lshlrev_b64 v[24:25], 2, v[24:25]
	v_ashrrev_i32_e32 v23, 31, v21
	v_mov_b32_e32 v22, v21
	v_add_co_u32_e64 v24, s[0:1], s18, v24
	v_lshlrev_b64 v[22:23], 2, v[22:23]
	v_addc_co_u32_e64 v25, s[0:1], v9, v25, s[0:1]
	v_ashrrev_i32_e32 v27, 31, v26
	v_add_co_u32_e64 v22, s[0:1], s18, v22
	v_addc_co_u32_e64 v23, s[0:1], v9, v23, s[0:1]
	v_lshlrev_b64 v[26:27], 2, v[26:27]
	v_ashrrev_i32_e32 v29, 31, v28
	global_load_dword v1, v[24:25], off
	global_load_dword v19, v[22:23], off
	v_add_co_u32_e64 v22, s[0:1], s12, v26
	v_lshlrev_b64 v[28:29], 2, v[28:29]
	v_addc_co_u32_e64 v23, s[0:1], v13, v27, s[0:1]
	v_add_co_u32_e64 v24, s[0:1], s12, v28
	v_addc_co_u32_e64 v25, s[0:1], v13, v29, s[0:1]
	global_load_dword v34, v[22:23], off
	global_load_dword v35, v[24:25], off
	v_subrev_u32_e32 v22, s22, v20
	v_subrev_u32_e32 v24, s26, v21
	v_mad_u64_u32 v[22:23], s[0:1], v22, s27, v[10:11]
	v_add_u32_e32 v17, -2, v17
	v_mad_u64_u32 v[24:25], s[0:1], v24, s28, v[14:15]
	v_ashrrev_i32_e32 v23, 31, v22
	v_cmp_eq_u32_e64 s[0:1], 0, v17
	v_lshlrev_b64 v[22:23], 2, v[22:23]
	v_ashrrev_i32_e32 v25, 31, v24
	s_or_b64 s[4:5], s[0:1], s[4:5]
	v_add_co_u32_e64 v26, s[0:1], s14, v22
	v_lshlrev_b64 v[24:25], 2, v[24:25]
	v_addc_co_u32_e64 v27, s[0:1], v11, v23, s[0:1]
	v_add_co_u32_e64 v28, s[0:1], s14, v24
	v_addc_co_u32_e64 v29, s[0:1], v11, v25, s[0:1]
	v_add_co_u32_e64 v22, s[0:1], s6, v22
	v_addc_co_u32_e64 v23, s[0:1], v15, v23, s[0:1]
	v_add_u32_e32 v21, 32, v21
	v_add_u32_e32 v20, 32, v20
	v_add_co_u32_e64 v24, s[0:1], s6, v24
	v_addc_co_u32_e64 v25, s[0:1], v15, v25, s[0:1]
	s_waitcnt vmcnt(3)
	v_subrev_u32_e32 v1, s20, v1
	s_waitcnt vmcnt(2)
	v_subrev_u32_e32 v19, s25, v19
	v_mad_u64_u32 v[30:31], s[0:1], v19, s28, v[16:17]
	v_mad_u64_u32 v[32:33], s[0:1], v1, s27, v[2:3]
	s_waitcnt vmcnt(1)
	global_store_dword v[22:23], v34, off
	s_waitcnt vmcnt(1)
	global_store_dword v[24:25], v35, off
	global_store_dword v[26:27], v32, off
	;; [unrolled: 1-line block ×3, first 2 shown]
	s_andn2_b64 exec, exec, s[4:5]
	s_cbranch_execnz .LBB22_7
; %bb.8:
	s_or_b64 exec, exec, s[4:5]
	v_cmp_ne_u32_e64 s[0:1], v5, v7
	v_lshl_add_u32 v0, v7, 4, v0
	s_orn2_b64 s[4:5], s[0:1], exec
.LBB22_9:
	s_or_b64 exec, exec, s[2:3]
	s_and_b64 s[2:3], s[4:5], exec
.LBB22_10:
	s_or_saveexec_b64 s[0:1], s[10:11]
	v_mov_b32_e32 v1, s24
	v_mov_b32_e32 v10, s23
	s_xor_b64 exec, exec, s[0:1]
; %bb.11:
	s_mul_i32 s4, s8, s22
	s_lshl_b32 s5, s9, 4
	v_mov_b32_e32 v1, s4
	v_mov_b32_e32 v10, s5
	s_or_b64 s[2:3], s[2:3], exec
; %bb.12:
	s_or_b64 exec, exec, s[0:1]
	s_and_b64 exec, exec, s[2:3]
	s_cbranch_execz .LBB22_15
; %bb.13:
	v_cndmask_b32_e32 v6, v6, v8, vcc
	v_mul_lo_u32 v5, v0, s9
	v_mad_u64_u32 v[6:7], s[0:1], v5, s8, v[6:7]
	v_add_u32_e32 v5, s20, v0
	v_add3_u32 v1, v5, v1, v3
	v_subrev_u32_e32 v1, s16, v1
	v_mad_u64_u32 v[4:5], s[0:1], s9, v1, v[4:5]
	v_ashrrev_i32_e32 v1, 31, v0
	v_lshlrev_b64 v[8:9], 2, v[0:1]
	v_mov_b32_e32 v1, s19
	v_add_co_u32_e32 v8, vcc, s18, v8
	s_lshl_b32 s4, s21, 4
	v_addc_co_u32_e32 v9, vcc, v1, v9, vcc
	s_mov_b64 s[2:3], 0
	v_mov_b32_e32 v1, s15
	v_mov_b32_e32 v3, s13
	;; [unrolled: 1-line block ×3, first 2 shown]
.LBB22_14:                              ; =>This Inner Loop Header: Depth=1
	v_ashrrev_i32_e32 v7, 31, v6
	global_load_dword v16, v[8:9], off
	v_lshlrev_b64 v[12:13], 2, v[6:7]
	v_add_co_u32_e32 v12, vcc, s12, v12
	v_addc_co_u32_e32 v13, vcc, v3, v13, vcc
	global_load_dword v7, v[12:13], off
	v_ashrrev_i32_e32 v5, 31, v4
	v_lshlrev_b64 v[12:13], 2, v[4:5]
	v_add_co_u32_e32 v8, vcc, 64, v8
	v_add_co_u32_e64 v14, s[0:1], s14, v12
	v_add_u32_e32 v0, 16, v0
	v_addc_co_u32_e32 v9, vcc, 0, v9, vcc
	v_addc_co_u32_e64 v15, s[0:1], v1, v13, s[0:1]
	v_cmp_le_i32_e32 vcc, s17, v0
	v_add_co_u32_e64 v12, s[0:1], s6, v12
	v_add_u32_e32 v6, s4, v6
	v_add_u32_e32 v4, v4, v10
	v_addc_co_u32_e64 v13, s[0:1], v11, v13, s[0:1]
	s_or_b64 s[2:3], vcc, s[2:3]
	s_waitcnt vmcnt(1)
	v_subrev_u32_e32 v5, s20, v16
	v_mad_u64_u32 v[16:17], s[0:1], v5, s9, v[2:3]
	global_store_dword v[14:15], v16, off
	s_waitcnt vmcnt(1)
	global_store_dword v[12:13], v7, off
	s_andn2_b64 exec, exec, s[2:3]
	s_cbranch_execnz .LBB22_14
.LBB22_15:
	s_endpgm
	.section	.rodata,"a",@progbits
	.p2align	6, 0x0
	.amdhsa_kernel _ZN9rocsparseL35gebsr2csr_block_per_row_1_32_kernelILi1024ELi16ELi4EfEEv20rocsparse_direction_ii21rocsparse_index_base_PKT2_PKiS7_iiS2_PS3_PiS9_
		.amdhsa_group_segment_fixed_size 0
		.amdhsa_private_segment_fixed_size 0
		.amdhsa_kernarg_size 80
		.amdhsa_user_sgpr_count 6
		.amdhsa_user_sgpr_private_segment_buffer 1
		.amdhsa_user_sgpr_dispatch_ptr 0
		.amdhsa_user_sgpr_queue_ptr 0
		.amdhsa_user_sgpr_kernarg_segment_ptr 1
		.amdhsa_user_sgpr_dispatch_id 0
		.amdhsa_user_sgpr_flat_scratch_init 0
		.amdhsa_user_sgpr_kernarg_preload_length 0
		.amdhsa_user_sgpr_kernarg_preload_offset 0
		.amdhsa_user_sgpr_private_segment_size 0
		.amdhsa_uses_dynamic_stack 0
		.amdhsa_system_sgpr_private_segment_wavefront_offset 0
		.amdhsa_system_sgpr_workgroup_id_x 1
		.amdhsa_system_sgpr_workgroup_id_y 0
		.amdhsa_system_sgpr_workgroup_id_z 0
		.amdhsa_system_sgpr_workgroup_info 0
		.amdhsa_system_vgpr_workitem_id 0
		.amdhsa_next_free_vgpr 36
		.amdhsa_next_free_sgpr 30
		.amdhsa_accum_offset 36
		.amdhsa_reserve_vcc 1
		.amdhsa_reserve_flat_scratch 0
		.amdhsa_float_round_mode_32 0
		.amdhsa_float_round_mode_16_64 0
		.amdhsa_float_denorm_mode_32 3
		.amdhsa_float_denorm_mode_16_64 3
		.amdhsa_dx10_clamp 1
		.amdhsa_ieee_mode 1
		.amdhsa_fp16_overflow 0
		.amdhsa_tg_split 0
		.amdhsa_exception_fp_ieee_invalid_op 0
		.amdhsa_exception_fp_denorm_src 0
		.amdhsa_exception_fp_ieee_div_zero 0
		.amdhsa_exception_fp_ieee_overflow 0
		.amdhsa_exception_fp_ieee_underflow 0
		.amdhsa_exception_fp_ieee_inexact 0
		.amdhsa_exception_int_div_zero 0
	.end_amdhsa_kernel
	.section	.text._ZN9rocsparseL35gebsr2csr_block_per_row_1_32_kernelILi1024ELi16ELi4EfEEv20rocsparse_direction_ii21rocsparse_index_base_PKT2_PKiS7_iiS2_PS3_PiS9_,"axG",@progbits,_ZN9rocsparseL35gebsr2csr_block_per_row_1_32_kernelILi1024ELi16ELi4EfEEv20rocsparse_direction_ii21rocsparse_index_base_PKT2_PKiS7_iiS2_PS3_PiS9_,comdat
.Lfunc_end22:
	.size	_ZN9rocsparseL35gebsr2csr_block_per_row_1_32_kernelILi1024ELi16ELi4EfEEv20rocsparse_direction_ii21rocsparse_index_base_PKT2_PKiS7_iiS2_PS3_PiS9_, .Lfunc_end22-_ZN9rocsparseL35gebsr2csr_block_per_row_1_32_kernelILi1024ELi16ELi4EfEEv20rocsparse_direction_ii21rocsparse_index_base_PKT2_PKiS7_iiS2_PS3_PiS9_
                                        ; -- End function
	.section	.AMDGPU.csdata,"",@progbits
; Kernel info:
; codeLenInByte = 1336
; NumSgprs: 34
; NumVgprs: 36
; NumAgprs: 0
; TotalNumVgprs: 36
; ScratchSize: 0
; MemoryBound: 0
; FloatMode: 240
; IeeeMode: 1
; LDSByteSize: 0 bytes/workgroup (compile time only)
; SGPRBlocks: 4
; VGPRBlocks: 4
; NumSGPRsForWavesPerEU: 34
; NumVGPRsForWavesPerEU: 36
; AccumOffset: 36
; Occupancy: 8
; WaveLimiterHint : 0
; COMPUTE_PGM_RSRC2:SCRATCH_EN: 0
; COMPUTE_PGM_RSRC2:USER_SGPR: 6
; COMPUTE_PGM_RSRC2:TRAP_HANDLER: 0
; COMPUTE_PGM_RSRC2:TGID_X_EN: 1
; COMPUTE_PGM_RSRC2:TGID_Y_EN: 0
; COMPUTE_PGM_RSRC2:TGID_Z_EN: 0
; COMPUTE_PGM_RSRC2:TIDIG_COMP_CNT: 0
; COMPUTE_PGM_RSRC3_GFX90A:ACCUM_OFFSET: 8
; COMPUTE_PGM_RSRC3_GFX90A:TG_SPLIT: 0
	.section	.text._ZN9rocsparseL35gebsr2csr_block_per_row_1_32_kernelILi1024ELi16ELi8EfEEv20rocsparse_direction_ii21rocsparse_index_base_PKT2_PKiS7_iiS2_PS3_PiS9_,"axG",@progbits,_ZN9rocsparseL35gebsr2csr_block_per_row_1_32_kernelILi1024ELi16ELi8EfEEv20rocsparse_direction_ii21rocsparse_index_base_PKT2_PKiS7_iiS2_PS3_PiS9_,comdat
	.globl	_ZN9rocsparseL35gebsr2csr_block_per_row_1_32_kernelILi1024ELi16ELi8EfEEv20rocsparse_direction_ii21rocsparse_index_base_PKT2_PKiS7_iiS2_PS3_PiS9_ ; -- Begin function _ZN9rocsparseL35gebsr2csr_block_per_row_1_32_kernelILi1024ELi16ELi8EfEEv20rocsparse_direction_ii21rocsparse_index_base_PKT2_PKiS7_iiS2_PS3_PiS9_
	.p2align	8
	.type	_ZN9rocsparseL35gebsr2csr_block_per_row_1_32_kernelILi1024ELi16ELi8EfEEv20rocsparse_direction_ii21rocsparse_index_base_PKT2_PKiS7_iiS2_PS3_PiS9_,@function
_ZN9rocsparseL35gebsr2csr_block_per_row_1_32_kernelILi1024ELi16ELi8EfEEv20rocsparse_direction_ii21rocsparse_index_base_PKT2_PKiS7_iiS2_PS3_PiS9_: ; @_ZN9rocsparseL35gebsr2csr_block_per_row_1_32_kernelILi1024ELi16ELi8EfEEv20rocsparse_direction_ii21rocsparse_index_base_PKT2_PKiS7_iiS2_PS3_PiS9_
; %bb.0:
	s_load_dwordx2 s[0:1], s[4:5], 0x18
	s_load_dwordx4 s[8:11], s[4:5], 0x28
	s_load_dwordx2 s[2:3], s[4:5], 0x40
	s_ashr_i32 s7, s6, 31
	s_lshl_b64 s[12:13], s[6:7], 2
	s_waitcnt lgkmcnt(0)
	s_add_u32 s12, s0, s12
	v_or_b32_e32 v1, s6, v0
	s_addc_u32 s13, s1, s13
	v_cmp_eq_u32_e32 vcc, 0, v1
	s_and_saveexec_b64 s[0:1], vcc
	s_cbranch_execz .LBB23_2
; %bb.1:
	v_mov_b32_e32 v1, 0
	v_mov_b32_e32 v2, s10
	global_store_dword v1, v2, s[2:3]
.LBB23_2:
	s_or_b64 exec, exec, s[0:1]
	v_and_b32_e32 v4, 7, v0
	v_bfe_u32 v10, v0, 3, 4
	v_cmp_gt_i32_e32 vcc, s8, v10
	v_cmp_gt_i32_e64 s[0:1], s9, v4
	s_and_b64 s[0:1], vcc, s[0:1]
	s_and_saveexec_b64 s[14:15], s[0:1]
	s_cbranch_execz .LBB23_15
; %bb.3:
	s_load_dwordx2 s[16:17], s[12:13], 0x0
	s_load_dword s20, s[4:5], 0xc
	s_mul_i32 s21, s9, s8
	v_lshrrev_b32_e32 v5, 7, v0
	v_mov_b32_e32 v6, s3
	s_waitcnt lgkmcnt(0)
	s_sub_i32 s22, s16, s20
	s_sub_i32 s17, s17, s20
	;; [unrolled: 1-line block ×3, first 2 shown]
	s_mul_i32 s1, s25, s9
	s_mul_i32 s0, s22, s21
	v_mul_lo_u32 v0, s1, v10
	v_add_u32_e32 v1, s0, v0
	s_mul_i32 s0, s6, s8
	v_add_u32_e32 v2, s0, v10
	v_ashrrev_i32_e32 v3, 31, v2
	v_lshlrev_b64 v[2:3], 2, v[2:3]
	s_add_i32 s1, s1, s10
	v_add_co_u32_e32 v2, vcc, s2, v2
	v_add_u32_e32 v0, s1, v1
	v_addc_co_u32_e32 v3, vcc, v6, v3, vcc
	global_store_dword v[2:3], v0, off offset:4
	v_add_u32_e32 v0, s22, v5
	v_cmp_gt_i32_e32 vcc, s17, v0
	s_and_b64 exec, exec, vcc
	s_cbranch_execz .LBB23_15
; %bb.4:
	s_load_dwordx2 s[18:19], s[4:5], 0x20
	s_load_dwordx2 s[6:7], s[4:5], 0x38
	s_load_dword s0, s[4:5], 0x0
	s_load_dwordx2 s[12:13], s[4:5], 0x10
	s_load_dwordx2 s[14:15], s[4:5], 0x48
	v_add_u32_e32 v3, s16, v5
	v_subrev_u32_e32 v3, s20, v3
	s_waitcnt lgkmcnt(0)
	s_cmp_eq_u32 s0, 0
	v_mad_u64_u32 v[6:7], s[0:1], v4, s8, v[10:11]
	v_mad_u64_u32 v[8:9], s[0:1], v10, s9, v[4:5]
	s_cselect_b64 vcc, -1, 0
	v_add_u32_e32 v3, 8, v3
	s_not_b32 s0, s16
	v_max_i32_e32 v3, s17, v3
	s_add_i32 s0, s0, s20
	v_add_u32_e32 v3, s0, v3
	v_sub_u32_e32 v7, v3, v5
	s_movk_i32 s0, 0x87
	v_add_u32_e32 v2, s10, v4
	v_cmp_lt_u32_e64 s[0:1], s0, v7
	s_mov_b64 s[2:3], 0
	v_mul_lo_u32 v3, s25, v10
                                        ; implicit-def: $sgpr24
                                        ; implicit-def: $sgpr23
	s_and_saveexec_b64 s[4:5], s[0:1]
	s_xor_b64 s[10:11], exec, s[4:5]
	s_cbranch_execz .LBB23_10
; %bb.5:
	s_lshl_b32 s23, s9, 3
	s_mul_i32 s24, s22, s8
	v_mul_lo_u32 v3, s25, v10
	s_sub_i32 s4, 0, s23
	v_add3_u32 v5, v5, s24, v3
	v_mad_u64_u32 v[10:11], s[0:1], v5, s9, v[4:5]
	s_cmp_lt_i32 s23, 0
	s_cselect_b64 s[0:1], -1, 0
	s_and_b64 s[2:3], s[0:1], exec
	v_lshrrev_b32_e32 v7, 3, v7
	s_cselect_b32 s4, s4, s23
	v_mul_hi_u32 v5, s4, v7
	v_cmp_eq_u32_e64 s[2:3], 0, v5
	v_mul_lo_u32 v5, s4, v7
	v_add_u32_e32 v9, v10, v5
	v_sub_u32_e32 v5, v10, v5
	v_cmp_gt_i32_e64 s[4:5], v5, v10
	v_cndmask_b32_e64 v5, 0, 1, s[4:5]
	v_cmp_lt_i32_e64 s[4:5], v9, v10
	v_cndmask_b32_e64 v9, 0, 1, s[4:5]
	v_cndmask_b32_e64 v5, v9, v5, s[0:1]
	v_and_b32_e32 v5, 1, v5
	v_cmp_eq_u32_e64 s[0:1], 1, v5
	s_xor_b64 s[0:1], s[0:1], -1
	s_mov_b64 s[4:5], -1
	s_and_b64 s[0:1], s[0:1], s[2:3]
	s_and_saveexec_b64 s[2:3], s[0:1]
	s_cbranch_execz .LBB23_9
; %bb.6:
	v_add_u32_e32 v5, 1, v7
	v_add_u32_e32 v10, v1, v4
	v_and_b32_e32 v7, 0x3ffffffe, v5
	v_add_u32_e32 v1, 8, v0
	v_cndmask_b32_e32 v12, v6, v8, vcc
	s_mov_b32 s25, s20
	s_mov_b32 s26, s22
	;; [unrolled: 1-line block ×5, first 2 shown]
	s_mov_b64 s[4:5], 0
	v_mov_b32_e32 v9, s19
	v_mov_b32_e32 v14, v10
	;; [unrolled: 1-line block ×8, first 2 shown]
	v_pk_mov_b32 v[20:21], v[0:1], v[0:1] op_sel:[0,1]
.LBB23_7:                               ; =>This Inner Loop Header: Depth=1
	v_ashrrev_i32_e32 v25, 31, v20
	v_mov_b32_e32 v24, v20
	v_mad_u64_u32 v[26:27], s[0:1], v20, s21, v[12:13]
	v_mad_u64_u32 v[28:29], s[0:1], v21, s29, v[18:19]
	v_lshlrev_b64 v[24:25], 2, v[24:25]
	v_ashrrev_i32_e32 v23, 31, v21
	v_mov_b32_e32 v22, v21
	v_add_co_u32_e64 v24, s[0:1], s18, v24
	v_lshlrev_b64 v[22:23], 2, v[22:23]
	v_addc_co_u32_e64 v25, s[0:1], v9, v25, s[0:1]
	v_ashrrev_i32_e32 v27, 31, v26
	v_add_co_u32_e64 v22, s[0:1], s18, v22
	v_addc_co_u32_e64 v23, s[0:1], v9, v23, s[0:1]
	v_lshlrev_b64 v[26:27], 2, v[26:27]
	v_ashrrev_i32_e32 v29, 31, v28
	global_load_dword v1, v[24:25], off
	global_load_dword v19, v[22:23], off
	v_add_co_u32_e64 v22, s[0:1], s12, v26
	v_lshlrev_b64 v[28:29], 2, v[28:29]
	v_addc_co_u32_e64 v23, s[0:1], v13, v27, s[0:1]
	v_add_co_u32_e64 v24, s[0:1], s12, v28
	v_addc_co_u32_e64 v25, s[0:1], v13, v29, s[0:1]
	global_load_dword v34, v[22:23], off
	global_load_dword v35, v[24:25], off
	v_subrev_u32_e32 v22, s22, v20
	v_subrev_u32_e32 v24, s26, v21
	v_mad_u64_u32 v[22:23], s[0:1], v22, s27, v[10:11]
	v_add_u32_e32 v17, -2, v17
	v_mad_u64_u32 v[24:25], s[0:1], v24, s28, v[14:15]
	v_ashrrev_i32_e32 v23, 31, v22
	v_cmp_eq_u32_e64 s[0:1], 0, v17
	v_lshlrev_b64 v[22:23], 2, v[22:23]
	v_ashrrev_i32_e32 v25, 31, v24
	s_or_b64 s[4:5], s[0:1], s[4:5]
	v_add_co_u32_e64 v26, s[0:1], s14, v22
	v_lshlrev_b64 v[24:25], 2, v[24:25]
	v_addc_co_u32_e64 v27, s[0:1], v11, v23, s[0:1]
	v_add_co_u32_e64 v28, s[0:1], s14, v24
	v_addc_co_u32_e64 v29, s[0:1], v11, v25, s[0:1]
	v_add_co_u32_e64 v22, s[0:1], s6, v22
	v_addc_co_u32_e64 v23, s[0:1], v15, v23, s[0:1]
	v_add_u32_e32 v21, 16, v21
	v_add_u32_e32 v20, 16, v20
	v_add_co_u32_e64 v24, s[0:1], s6, v24
	v_addc_co_u32_e64 v25, s[0:1], v15, v25, s[0:1]
	s_waitcnt vmcnt(3)
	v_subrev_u32_e32 v1, s20, v1
	s_waitcnt vmcnt(2)
	v_subrev_u32_e32 v19, s25, v19
	v_mad_u64_u32 v[30:31], s[0:1], v19, s28, v[16:17]
	v_mad_u64_u32 v[32:33], s[0:1], v1, s27, v[2:3]
	s_waitcnt vmcnt(1)
	global_store_dword v[22:23], v34, off
	s_waitcnt vmcnt(1)
	global_store_dword v[24:25], v35, off
	global_store_dword v[26:27], v32, off
	;; [unrolled: 1-line block ×3, first 2 shown]
	s_andn2_b64 exec, exec, s[4:5]
	s_cbranch_execnz .LBB23_7
; %bb.8:
	s_or_b64 exec, exec, s[4:5]
	v_cmp_ne_u32_e64 s[0:1], v5, v7
	v_lshl_add_u32 v0, v7, 3, v0
	s_orn2_b64 s[4:5], s[0:1], exec
.LBB23_9:
	s_or_b64 exec, exec, s[2:3]
	s_and_b64 s[2:3], s[4:5], exec
.LBB23_10:
	s_or_saveexec_b64 s[0:1], s[10:11]
	v_mov_b32_e32 v1, s24
	v_mov_b32_e32 v10, s23
	s_xor_b64 exec, exec, s[0:1]
; %bb.11:
	s_mul_i32 s4, s8, s22
	s_lshl_b32 s5, s9, 3
	v_mov_b32_e32 v1, s4
	v_mov_b32_e32 v10, s5
	s_or_b64 s[2:3], s[2:3], exec
; %bb.12:
	s_or_b64 exec, exec, s[0:1]
	s_and_b64 exec, exec, s[2:3]
	s_cbranch_execz .LBB23_15
; %bb.13:
	v_cndmask_b32_e32 v6, v6, v8, vcc
	v_mul_lo_u32 v5, v0, s9
	v_mad_u64_u32 v[6:7], s[0:1], v5, s8, v[6:7]
	v_add_u32_e32 v5, s20, v0
	v_add3_u32 v1, v5, v1, v3
	v_subrev_u32_e32 v1, s16, v1
	v_mad_u64_u32 v[4:5], s[0:1], s9, v1, v[4:5]
	v_ashrrev_i32_e32 v1, 31, v0
	v_lshlrev_b64 v[8:9], 2, v[0:1]
	v_mov_b32_e32 v1, s19
	v_add_co_u32_e32 v8, vcc, s18, v8
	s_lshl_b32 s4, s21, 3
	v_addc_co_u32_e32 v9, vcc, v1, v9, vcc
	s_mov_b64 s[2:3], 0
	v_mov_b32_e32 v1, s15
	v_mov_b32_e32 v3, s13
	;; [unrolled: 1-line block ×3, first 2 shown]
.LBB23_14:                              ; =>This Inner Loop Header: Depth=1
	v_ashrrev_i32_e32 v7, 31, v6
	global_load_dword v16, v[8:9], off
	v_lshlrev_b64 v[12:13], 2, v[6:7]
	v_add_co_u32_e32 v12, vcc, s12, v12
	v_addc_co_u32_e32 v13, vcc, v3, v13, vcc
	global_load_dword v7, v[12:13], off
	v_ashrrev_i32_e32 v5, 31, v4
	v_lshlrev_b64 v[12:13], 2, v[4:5]
	v_add_co_u32_e32 v8, vcc, 32, v8
	v_add_co_u32_e64 v14, s[0:1], s14, v12
	v_add_u32_e32 v0, 8, v0
	v_addc_co_u32_e32 v9, vcc, 0, v9, vcc
	v_addc_co_u32_e64 v15, s[0:1], v1, v13, s[0:1]
	v_cmp_le_i32_e32 vcc, s17, v0
	v_add_co_u32_e64 v12, s[0:1], s6, v12
	v_add_u32_e32 v6, s4, v6
	v_add_u32_e32 v4, v4, v10
	v_addc_co_u32_e64 v13, s[0:1], v11, v13, s[0:1]
	s_or_b64 s[2:3], vcc, s[2:3]
	s_waitcnt vmcnt(1)
	v_subrev_u32_e32 v5, s20, v16
	v_mad_u64_u32 v[16:17], s[0:1], v5, s9, v[2:3]
	global_store_dword v[14:15], v16, off
	s_waitcnt vmcnt(1)
	global_store_dword v[12:13], v7, off
	s_andn2_b64 exec, exec, s[2:3]
	s_cbranch_execnz .LBB23_14
.LBB23_15:
	s_endpgm
	.section	.rodata,"a",@progbits
	.p2align	6, 0x0
	.amdhsa_kernel _ZN9rocsparseL35gebsr2csr_block_per_row_1_32_kernelILi1024ELi16ELi8EfEEv20rocsparse_direction_ii21rocsparse_index_base_PKT2_PKiS7_iiS2_PS3_PiS9_
		.amdhsa_group_segment_fixed_size 0
		.amdhsa_private_segment_fixed_size 0
		.amdhsa_kernarg_size 80
		.amdhsa_user_sgpr_count 6
		.amdhsa_user_sgpr_private_segment_buffer 1
		.amdhsa_user_sgpr_dispatch_ptr 0
		.amdhsa_user_sgpr_queue_ptr 0
		.amdhsa_user_sgpr_kernarg_segment_ptr 1
		.amdhsa_user_sgpr_dispatch_id 0
		.amdhsa_user_sgpr_flat_scratch_init 0
		.amdhsa_user_sgpr_kernarg_preload_length 0
		.amdhsa_user_sgpr_kernarg_preload_offset 0
		.amdhsa_user_sgpr_private_segment_size 0
		.amdhsa_uses_dynamic_stack 0
		.amdhsa_system_sgpr_private_segment_wavefront_offset 0
		.amdhsa_system_sgpr_workgroup_id_x 1
		.amdhsa_system_sgpr_workgroup_id_y 0
		.amdhsa_system_sgpr_workgroup_id_z 0
		.amdhsa_system_sgpr_workgroup_info 0
		.amdhsa_system_vgpr_workitem_id 0
		.amdhsa_next_free_vgpr 36
		.amdhsa_next_free_sgpr 30
		.amdhsa_accum_offset 36
		.amdhsa_reserve_vcc 1
		.amdhsa_reserve_flat_scratch 0
		.amdhsa_float_round_mode_32 0
		.amdhsa_float_round_mode_16_64 0
		.amdhsa_float_denorm_mode_32 3
		.amdhsa_float_denorm_mode_16_64 3
		.amdhsa_dx10_clamp 1
		.amdhsa_ieee_mode 1
		.amdhsa_fp16_overflow 0
		.amdhsa_tg_split 0
		.amdhsa_exception_fp_ieee_invalid_op 0
		.amdhsa_exception_fp_denorm_src 0
		.amdhsa_exception_fp_ieee_div_zero 0
		.amdhsa_exception_fp_ieee_overflow 0
		.amdhsa_exception_fp_ieee_underflow 0
		.amdhsa_exception_fp_ieee_inexact 0
		.amdhsa_exception_int_div_zero 0
	.end_amdhsa_kernel
	.section	.text._ZN9rocsparseL35gebsr2csr_block_per_row_1_32_kernelILi1024ELi16ELi8EfEEv20rocsparse_direction_ii21rocsparse_index_base_PKT2_PKiS7_iiS2_PS3_PiS9_,"axG",@progbits,_ZN9rocsparseL35gebsr2csr_block_per_row_1_32_kernelILi1024ELi16ELi8EfEEv20rocsparse_direction_ii21rocsparse_index_base_PKT2_PKiS7_iiS2_PS3_PiS9_,comdat
.Lfunc_end23:
	.size	_ZN9rocsparseL35gebsr2csr_block_per_row_1_32_kernelILi1024ELi16ELi8EfEEv20rocsparse_direction_ii21rocsparse_index_base_PKT2_PKiS7_iiS2_PS3_PiS9_, .Lfunc_end23-_ZN9rocsparseL35gebsr2csr_block_per_row_1_32_kernelILi1024ELi16ELi8EfEEv20rocsparse_direction_ii21rocsparse_index_base_PKT2_PKiS7_iiS2_PS3_PiS9_
                                        ; -- End function
	.section	.AMDGPU.csdata,"",@progbits
; Kernel info:
; codeLenInByte = 1336
; NumSgprs: 34
; NumVgprs: 36
; NumAgprs: 0
; TotalNumVgprs: 36
; ScratchSize: 0
; MemoryBound: 0
; FloatMode: 240
; IeeeMode: 1
; LDSByteSize: 0 bytes/workgroup (compile time only)
; SGPRBlocks: 4
; VGPRBlocks: 4
; NumSGPRsForWavesPerEU: 34
; NumVGPRsForWavesPerEU: 36
; AccumOffset: 36
; Occupancy: 8
; WaveLimiterHint : 0
; COMPUTE_PGM_RSRC2:SCRATCH_EN: 0
; COMPUTE_PGM_RSRC2:USER_SGPR: 6
; COMPUTE_PGM_RSRC2:TRAP_HANDLER: 0
; COMPUTE_PGM_RSRC2:TGID_X_EN: 1
; COMPUTE_PGM_RSRC2:TGID_Y_EN: 0
; COMPUTE_PGM_RSRC2:TGID_Z_EN: 0
; COMPUTE_PGM_RSRC2:TIDIG_COMP_CNT: 0
; COMPUTE_PGM_RSRC3_GFX90A:ACCUM_OFFSET: 8
; COMPUTE_PGM_RSRC3_GFX90A:TG_SPLIT: 0
	.section	.text._ZN9rocsparseL35gebsr2csr_block_per_row_1_32_kernelILi1024ELi16ELi16EfEEv20rocsparse_direction_ii21rocsparse_index_base_PKT2_PKiS7_iiS2_PS3_PiS9_,"axG",@progbits,_ZN9rocsparseL35gebsr2csr_block_per_row_1_32_kernelILi1024ELi16ELi16EfEEv20rocsparse_direction_ii21rocsparse_index_base_PKT2_PKiS7_iiS2_PS3_PiS9_,comdat
	.globl	_ZN9rocsparseL35gebsr2csr_block_per_row_1_32_kernelILi1024ELi16ELi16EfEEv20rocsparse_direction_ii21rocsparse_index_base_PKT2_PKiS7_iiS2_PS3_PiS9_ ; -- Begin function _ZN9rocsparseL35gebsr2csr_block_per_row_1_32_kernelILi1024ELi16ELi16EfEEv20rocsparse_direction_ii21rocsparse_index_base_PKT2_PKiS7_iiS2_PS3_PiS9_
	.p2align	8
	.type	_ZN9rocsparseL35gebsr2csr_block_per_row_1_32_kernelILi1024ELi16ELi16EfEEv20rocsparse_direction_ii21rocsparse_index_base_PKT2_PKiS7_iiS2_PS3_PiS9_,@function
_ZN9rocsparseL35gebsr2csr_block_per_row_1_32_kernelILi1024ELi16ELi16EfEEv20rocsparse_direction_ii21rocsparse_index_base_PKT2_PKiS7_iiS2_PS3_PiS9_: ; @_ZN9rocsparseL35gebsr2csr_block_per_row_1_32_kernelILi1024ELi16ELi16EfEEv20rocsparse_direction_ii21rocsparse_index_base_PKT2_PKiS7_iiS2_PS3_PiS9_
; %bb.0:
	s_load_dwordx2 s[0:1], s[4:5], 0x18
	s_load_dwordx4 s[8:11], s[4:5], 0x28
	s_load_dwordx2 s[2:3], s[4:5], 0x40
	s_ashr_i32 s7, s6, 31
	s_lshl_b64 s[12:13], s[6:7], 2
	s_waitcnt lgkmcnt(0)
	s_add_u32 s12, s0, s12
	v_or_b32_e32 v1, s6, v0
	s_addc_u32 s13, s1, s13
	v_cmp_eq_u32_e32 vcc, 0, v1
	s_and_saveexec_b64 s[0:1], vcc
	s_cbranch_execz .LBB24_2
; %bb.1:
	v_mov_b32_e32 v1, 0
	v_mov_b32_e32 v2, s10
	global_store_dword v1, v2, s[2:3]
.LBB24_2:
	s_or_b64 exec, exec, s[0:1]
	v_and_b32_e32 v4, 15, v0
	v_bfe_u32 v10, v0, 4, 4
	v_cmp_gt_i32_e32 vcc, s8, v10
	v_cmp_gt_i32_e64 s[0:1], s9, v4
	s_and_b64 s[0:1], vcc, s[0:1]
	s_and_saveexec_b64 s[14:15], s[0:1]
	s_cbranch_execz .LBB24_15
; %bb.3:
	s_load_dwordx2 s[16:17], s[12:13], 0x0
	s_load_dword s20, s[4:5], 0xc
	s_mul_i32 s21, s9, s8
	v_lshrrev_b32_e32 v5, 8, v0
	v_mov_b32_e32 v6, s3
	s_waitcnt lgkmcnt(0)
	s_sub_i32 s22, s16, s20
	s_sub_i32 s17, s17, s20
	;; [unrolled: 1-line block ×3, first 2 shown]
	s_mul_i32 s1, s25, s9
	s_mul_i32 s0, s22, s21
	v_mul_lo_u32 v0, s1, v10
	v_add_u32_e32 v1, s0, v0
	s_mul_i32 s0, s6, s8
	v_add_u32_e32 v2, s0, v10
	v_ashrrev_i32_e32 v3, 31, v2
	v_lshlrev_b64 v[2:3], 2, v[2:3]
	s_add_i32 s1, s1, s10
	v_add_co_u32_e32 v2, vcc, s2, v2
	v_add_u32_e32 v0, s1, v1
	v_addc_co_u32_e32 v3, vcc, v6, v3, vcc
	global_store_dword v[2:3], v0, off offset:4
	v_add_u32_e32 v0, s22, v5
	v_cmp_gt_i32_e32 vcc, s17, v0
	s_and_b64 exec, exec, vcc
	s_cbranch_execz .LBB24_15
; %bb.4:
	s_load_dwordx2 s[18:19], s[4:5], 0x20
	s_load_dwordx2 s[6:7], s[4:5], 0x38
	s_load_dword s0, s[4:5], 0x0
	s_load_dwordx2 s[12:13], s[4:5], 0x10
	s_load_dwordx2 s[14:15], s[4:5], 0x48
	v_add_u32_e32 v3, s16, v5
	v_subrev_u32_e32 v3, s20, v3
	s_waitcnt lgkmcnt(0)
	s_cmp_eq_u32 s0, 0
	v_mad_u64_u32 v[6:7], s[0:1], v4, s8, v[10:11]
	v_mad_u64_u32 v[8:9], s[0:1], v10, s9, v[4:5]
	s_cselect_b64 vcc, -1, 0
	v_add_u32_e32 v3, 4, v3
	s_not_b32 s0, s16
	v_max_i32_e32 v3, s17, v3
	s_add_i32 s0, s0, s20
	v_add_u32_e32 v3, s0, v3
	v_sub_u32_e32 v7, v3, v5
	s_movk_i32 s0, 0x43
	v_add_u32_e32 v2, s10, v4
	v_cmp_lt_u32_e64 s[0:1], s0, v7
	s_mov_b64 s[2:3], 0
	v_mul_lo_u32 v3, s25, v10
                                        ; implicit-def: $sgpr24
                                        ; implicit-def: $sgpr23
	s_and_saveexec_b64 s[4:5], s[0:1]
	s_xor_b64 s[10:11], exec, s[4:5]
	s_cbranch_execz .LBB24_10
; %bb.5:
	s_lshl_b32 s23, s9, 2
	s_mul_i32 s24, s22, s8
	v_mul_lo_u32 v3, s25, v10
	s_sub_i32 s4, 0, s23
	v_add3_u32 v5, v5, s24, v3
	v_mad_u64_u32 v[10:11], s[0:1], v5, s9, v[4:5]
	s_cmp_lt_i32 s23, 0
	s_cselect_b64 s[0:1], -1, 0
	s_and_b64 s[2:3], s[0:1], exec
	v_lshrrev_b32_e32 v7, 2, v7
	s_cselect_b32 s4, s4, s23
	v_mul_hi_u32 v5, s4, v7
	v_cmp_eq_u32_e64 s[2:3], 0, v5
	v_mul_lo_u32 v5, s4, v7
	v_add_u32_e32 v9, v10, v5
	v_sub_u32_e32 v5, v10, v5
	v_cmp_gt_i32_e64 s[4:5], v5, v10
	v_cndmask_b32_e64 v5, 0, 1, s[4:5]
	v_cmp_lt_i32_e64 s[4:5], v9, v10
	v_cndmask_b32_e64 v9, 0, 1, s[4:5]
	v_cndmask_b32_e64 v5, v9, v5, s[0:1]
	v_and_b32_e32 v5, 1, v5
	v_cmp_eq_u32_e64 s[0:1], 1, v5
	s_xor_b64 s[0:1], s[0:1], -1
	s_mov_b64 s[4:5], -1
	s_and_b64 s[0:1], s[0:1], s[2:3]
	s_and_saveexec_b64 s[2:3], s[0:1]
	s_cbranch_execz .LBB24_9
; %bb.6:
	v_add_u32_e32 v5, 1, v7
	v_add_u32_e32 v10, v1, v4
	v_and_b32_e32 v7, 0x7ffffffe, v5
	v_add_u32_e32 v1, 4, v0
	v_cndmask_b32_e32 v12, v6, v8, vcc
	s_mov_b32 s25, s20
	s_mov_b32 s26, s22
	;; [unrolled: 1-line block ×5, first 2 shown]
	s_mov_b64 s[4:5], 0
	v_mov_b32_e32 v9, s19
	v_mov_b32_e32 v14, v10
	v_mov_b32_e32 v16, v2
	v_mov_b32_e32 v11, s15
	v_mov_b32_e32 v18, v12
	v_mov_b32_e32 v13, s13
	v_mov_b32_e32 v15, s7
	v_mov_b32_e32 v17, v7
	v_pk_mov_b32 v[20:21], v[0:1], v[0:1] op_sel:[0,1]
.LBB24_7:                               ; =>This Inner Loop Header: Depth=1
	v_ashrrev_i32_e32 v25, 31, v20
	v_mov_b32_e32 v24, v20
	v_mad_u64_u32 v[26:27], s[0:1], v20, s21, v[12:13]
	v_mad_u64_u32 v[28:29], s[0:1], v21, s29, v[18:19]
	v_lshlrev_b64 v[24:25], 2, v[24:25]
	v_ashrrev_i32_e32 v23, 31, v21
	v_mov_b32_e32 v22, v21
	v_add_co_u32_e64 v24, s[0:1], s18, v24
	v_lshlrev_b64 v[22:23], 2, v[22:23]
	v_addc_co_u32_e64 v25, s[0:1], v9, v25, s[0:1]
	v_ashrrev_i32_e32 v27, 31, v26
	v_add_co_u32_e64 v22, s[0:1], s18, v22
	v_addc_co_u32_e64 v23, s[0:1], v9, v23, s[0:1]
	v_lshlrev_b64 v[26:27], 2, v[26:27]
	v_ashrrev_i32_e32 v29, 31, v28
	global_load_dword v1, v[24:25], off
	global_load_dword v19, v[22:23], off
	v_add_co_u32_e64 v22, s[0:1], s12, v26
	v_lshlrev_b64 v[28:29], 2, v[28:29]
	v_addc_co_u32_e64 v23, s[0:1], v13, v27, s[0:1]
	v_add_co_u32_e64 v24, s[0:1], s12, v28
	v_addc_co_u32_e64 v25, s[0:1], v13, v29, s[0:1]
	global_load_dword v34, v[22:23], off
	global_load_dword v35, v[24:25], off
	v_subrev_u32_e32 v22, s22, v20
	v_subrev_u32_e32 v24, s26, v21
	v_mad_u64_u32 v[22:23], s[0:1], v22, s27, v[10:11]
	v_add_u32_e32 v17, -2, v17
	v_mad_u64_u32 v[24:25], s[0:1], v24, s28, v[14:15]
	v_ashrrev_i32_e32 v23, 31, v22
	v_cmp_eq_u32_e64 s[0:1], 0, v17
	v_lshlrev_b64 v[22:23], 2, v[22:23]
	v_ashrrev_i32_e32 v25, 31, v24
	s_or_b64 s[4:5], s[0:1], s[4:5]
	v_add_co_u32_e64 v26, s[0:1], s14, v22
	v_lshlrev_b64 v[24:25], 2, v[24:25]
	v_addc_co_u32_e64 v27, s[0:1], v11, v23, s[0:1]
	v_add_co_u32_e64 v28, s[0:1], s14, v24
	v_addc_co_u32_e64 v29, s[0:1], v11, v25, s[0:1]
	v_add_co_u32_e64 v22, s[0:1], s6, v22
	v_addc_co_u32_e64 v23, s[0:1], v15, v23, s[0:1]
	v_add_u32_e32 v21, 8, v21
	v_add_u32_e32 v20, 8, v20
	v_add_co_u32_e64 v24, s[0:1], s6, v24
	v_addc_co_u32_e64 v25, s[0:1], v15, v25, s[0:1]
	s_waitcnt vmcnt(3)
	v_subrev_u32_e32 v1, s20, v1
	s_waitcnt vmcnt(2)
	v_subrev_u32_e32 v19, s25, v19
	v_mad_u64_u32 v[30:31], s[0:1], v19, s28, v[16:17]
	v_mad_u64_u32 v[32:33], s[0:1], v1, s27, v[2:3]
	s_waitcnt vmcnt(1)
	global_store_dword v[22:23], v34, off
	s_waitcnt vmcnt(1)
	global_store_dword v[24:25], v35, off
	global_store_dword v[26:27], v32, off
	;; [unrolled: 1-line block ×3, first 2 shown]
	s_andn2_b64 exec, exec, s[4:5]
	s_cbranch_execnz .LBB24_7
; %bb.8:
	s_or_b64 exec, exec, s[4:5]
	v_cmp_ne_u32_e64 s[0:1], v5, v7
	v_lshl_add_u32 v0, v7, 2, v0
	s_orn2_b64 s[4:5], s[0:1], exec
.LBB24_9:
	s_or_b64 exec, exec, s[2:3]
	s_and_b64 s[2:3], s[4:5], exec
.LBB24_10:
	s_or_saveexec_b64 s[0:1], s[10:11]
	v_mov_b32_e32 v1, s24
	v_mov_b32_e32 v10, s23
	s_xor_b64 exec, exec, s[0:1]
; %bb.11:
	s_mul_i32 s4, s8, s22
	s_lshl_b32 s5, s9, 2
	v_mov_b32_e32 v1, s4
	v_mov_b32_e32 v10, s5
	s_or_b64 s[2:3], s[2:3], exec
; %bb.12:
	s_or_b64 exec, exec, s[0:1]
	s_and_b64 exec, exec, s[2:3]
	s_cbranch_execz .LBB24_15
; %bb.13:
	v_cndmask_b32_e32 v6, v6, v8, vcc
	v_mul_lo_u32 v5, v0, s9
	v_mad_u64_u32 v[6:7], s[0:1], v5, s8, v[6:7]
	v_add_u32_e32 v5, s20, v0
	v_add3_u32 v1, v5, v1, v3
	v_subrev_u32_e32 v1, s16, v1
	v_mad_u64_u32 v[4:5], s[0:1], s9, v1, v[4:5]
	v_ashrrev_i32_e32 v1, 31, v0
	v_lshlrev_b64 v[8:9], 2, v[0:1]
	v_mov_b32_e32 v1, s19
	v_add_co_u32_e32 v8, vcc, s18, v8
	s_lshl_b32 s4, s21, 2
	v_addc_co_u32_e32 v9, vcc, v1, v9, vcc
	s_mov_b64 s[2:3], 0
	v_mov_b32_e32 v1, s15
	v_mov_b32_e32 v3, s13
	;; [unrolled: 1-line block ×3, first 2 shown]
.LBB24_14:                              ; =>This Inner Loop Header: Depth=1
	v_ashrrev_i32_e32 v7, 31, v6
	global_load_dword v16, v[8:9], off
	v_lshlrev_b64 v[12:13], 2, v[6:7]
	v_add_co_u32_e32 v12, vcc, s12, v12
	v_addc_co_u32_e32 v13, vcc, v3, v13, vcc
	global_load_dword v7, v[12:13], off
	v_ashrrev_i32_e32 v5, 31, v4
	v_lshlrev_b64 v[12:13], 2, v[4:5]
	v_add_co_u32_e32 v8, vcc, 16, v8
	v_add_co_u32_e64 v14, s[0:1], s14, v12
	v_add_u32_e32 v0, 4, v0
	v_addc_co_u32_e32 v9, vcc, 0, v9, vcc
	v_addc_co_u32_e64 v15, s[0:1], v1, v13, s[0:1]
	v_cmp_le_i32_e32 vcc, s17, v0
	v_add_co_u32_e64 v12, s[0:1], s6, v12
	v_add_u32_e32 v6, s4, v6
	v_add_u32_e32 v4, v4, v10
	v_addc_co_u32_e64 v13, s[0:1], v11, v13, s[0:1]
	s_or_b64 s[2:3], vcc, s[2:3]
	s_waitcnt vmcnt(1)
	v_subrev_u32_e32 v5, s20, v16
	v_mad_u64_u32 v[16:17], s[0:1], v5, s9, v[2:3]
	global_store_dword v[14:15], v16, off
	s_waitcnt vmcnt(1)
	global_store_dword v[12:13], v7, off
	s_andn2_b64 exec, exec, s[2:3]
	s_cbranch_execnz .LBB24_14
.LBB24_15:
	s_endpgm
	.section	.rodata,"a",@progbits
	.p2align	6, 0x0
	.amdhsa_kernel _ZN9rocsparseL35gebsr2csr_block_per_row_1_32_kernelILi1024ELi16ELi16EfEEv20rocsparse_direction_ii21rocsparse_index_base_PKT2_PKiS7_iiS2_PS3_PiS9_
		.amdhsa_group_segment_fixed_size 0
		.amdhsa_private_segment_fixed_size 0
		.amdhsa_kernarg_size 80
		.amdhsa_user_sgpr_count 6
		.amdhsa_user_sgpr_private_segment_buffer 1
		.amdhsa_user_sgpr_dispatch_ptr 0
		.amdhsa_user_sgpr_queue_ptr 0
		.amdhsa_user_sgpr_kernarg_segment_ptr 1
		.amdhsa_user_sgpr_dispatch_id 0
		.amdhsa_user_sgpr_flat_scratch_init 0
		.amdhsa_user_sgpr_kernarg_preload_length 0
		.amdhsa_user_sgpr_kernarg_preload_offset 0
		.amdhsa_user_sgpr_private_segment_size 0
		.amdhsa_uses_dynamic_stack 0
		.amdhsa_system_sgpr_private_segment_wavefront_offset 0
		.amdhsa_system_sgpr_workgroup_id_x 1
		.amdhsa_system_sgpr_workgroup_id_y 0
		.amdhsa_system_sgpr_workgroup_id_z 0
		.amdhsa_system_sgpr_workgroup_info 0
		.amdhsa_system_vgpr_workitem_id 0
		.amdhsa_next_free_vgpr 36
		.amdhsa_next_free_sgpr 30
		.amdhsa_accum_offset 36
		.amdhsa_reserve_vcc 1
		.amdhsa_reserve_flat_scratch 0
		.amdhsa_float_round_mode_32 0
		.amdhsa_float_round_mode_16_64 0
		.amdhsa_float_denorm_mode_32 3
		.amdhsa_float_denorm_mode_16_64 3
		.amdhsa_dx10_clamp 1
		.amdhsa_ieee_mode 1
		.amdhsa_fp16_overflow 0
		.amdhsa_tg_split 0
		.amdhsa_exception_fp_ieee_invalid_op 0
		.amdhsa_exception_fp_denorm_src 0
		.amdhsa_exception_fp_ieee_div_zero 0
		.amdhsa_exception_fp_ieee_overflow 0
		.amdhsa_exception_fp_ieee_underflow 0
		.amdhsa_exception_fp_ieee_inexact 0
		.amdhsa_exception_int_div_zero 0
	.end_amdhsa_kernel
	.section	.text._ZN9rocsparseL35gebsr2csr_block_per_row_1_32_kernelILi1024ELi16ELi16EfEEv20rocsparse_direction_ii21rocsparse_index_base_PKT2_PKiS7_iiS2_PS3_PiS9_,"axG",@progbits,_ZN9rocsparseL35gebsr2csr_block_per_row_1_32_kernelILi1024ELi16ELi16EfEEv20rocsparse_direction_ii21rocsparse_index_base_PKT2_PKiS7_iiS2_PS3_PiS9_,comdat
.Lfunc_end24:
	.size	_ZN9rocsparseL35gebsr2csr_block_per_row_1_32_kernelILi1024ELi16ELi16EfEEv20rocsparse_direction_ii21rocsparse_index_base_PKT2_PKiS7_iiS2_PS3_PiS9_, .Lfunc_end24-_ZN9rocsparseL35gebsr2csr_block_per_row_1_32_kernelILi1024ELi16ELi16EfEEv20rocsparse_direction_ii21rocsparse_index_base_PKT2_PKiS7_iiS2_PS3_PiS9_
                                        ; -- End function
	.section	.AMDGPU.csdata,"",@progbits
; Kernel info:
; codeLenInByte = 1336
; NumSgprs: 34
; NumVgprs: 36
; NumAgprs: 0
; TotalNumVgprs: 36
; ScratchSize: 0
; MemoryBound: 0
; FloatMode: 240
; IeeeMode: 1
; LDSByteSize: 0 bytes/workgroup (compile time only)
; SGPRBlocks: 4
; VGPRBlocks: 4
; NumSGPRsForWavesPerEU: 34
; NumVGPRsForWavesPerEU: 36
; AccumOffset: 36
; Occupancy: 8
; WaveLimiterHint : 0
; COMPUTE_PGM_RSRC2:SCRATCH_EN: 0
; COMPUTE_PGM_RSRC2:USER_SGPR: 6
; COMPUTE_PGM_RSRC2:TRAP_HANDLER: 0
; COMPUTE_PGM_RSRC2:TGID_X_EN: 1
; COMPUTE_PGM_RSRC2:TGID_Y_EN: 0
; COMPUTE_PGM_RSRC2:TGID_Z_EN: 0
; COMPUTE_PGM_RSRC2:TIDIG_COMP_CNT: 0
; COMPUTE_PGM_RSRC3_GFX90A:ACCUM_OFFSET: 8
; COMPUTE_PGM_RSRC3_GFX90A:TG_SPLIT: 0
	.section	.text._ZN9rocsparseL35gebsr2csr_block_per_row_1_32_kernelILi1024ELi16ELi32EfEEv20rocsparse_direction_ii21rocsparse_index_base_PKT2_PKiS7_iiS2_PS3_PiS9_,"axG",@progbits,_ZN9rocsparseL35gebsr2csr_block_per_row_1_32_kernelILi1024ELi16ELi32EfEEv20rocsparse_direction_ii21rocsparse_index_base_PKT2_PKiS7_iiS2_PS3_PiS9_,comdat
	.globl	_ZN9rocsparseL35gebsr2csr_block_per_row_1_32_kernelILi1024ELi16ELi32EfEEv20rocsparse_direction_ii21rocsparse_index_base_PKT2_PKiS7_iiS2_PS3_PiS9_ ; -- Begin function _ZN9rocsparseL35gebsr2csr_block_per_row_1_32_kernelILi1024ELi16ELi32EfEEv20rocsparse_direction_ii21rocsparse_index_base_PKT2_PKiS7_iiS2_PS3_PiS9_
	.p2align	8
	.type	_ZN9rocsparseL35gebsr2csr_block_per_row_1_32_kernelILi1024ELi16ELi32EfEEv20rocsparse_direction_ii21rocsparse_index_base_PKT2_PKiS7_iiS2_PS3_PiS9_,@function
_ZN9rocsparseL35gebsr2csr_block_per_row_1_32_kernelILi1024ELi16ELi32EfEEv20rocsparse_direction_ii21rocsparse_index_base_PKT2_PKiS7_iiS2_PS3_PiS9_: ; @_ZN9rocsparseL35gebsr2csr_block_per_row_1_32_kernelILi1024ELi16ELi32EfEEv20rocsparse_direction_ii21rocsparse_index_base_PKT2_PKiS7_iiS2_PS3_PiS9_
; %bb.0:
	s_load_dwordx2 s[0:1], s[4:5], 0x18
	s_load_dwordx4 s[8:11], s[4:5], 0x28
	s_load_dwordx2 s[2:3], s[4:5], 0x40
	s_ashr_i32 s7, s6, 31
	s_lshl_b64 s[12:13], s[6:7], 2
	s_waitcnt lgkmcnt(0)
	s_add_u32 s12, s0, s12
	v_or_b32_e32 v1, s6, v0
	s_addc_u32 s13, s1, s13
	v_cmp_eq_u32_e32 vcc, 0, v1
	s_and_saveexec_b64 s[0:1], vcc
	s_cbranch_execz .LBB25_2
; %bb.1:
	v_mov_b32_e32 v1, 0
	v_mov_b32_e32 v2, s10
	global_store_dword v1, v2, s[2:3]
.LBB25_2:
	s_or_b64 exec, exec, s[0:1]
	v_and_b32_e32 v4, 31, v0
	v_bfe_u32 v10, v0, 5, 4
	v_cmp_gt_i32_e32 vcc, s8, v10
	v_cmp_gt_i32_e64 s[0:1], s9, v4
	s_and_b64 s[0:1], vcc, s[0:1]
	s_and_saveexec_b64 s[14:15], s[0:1]
	s_cbranch_execz .LBB25_15
; %bb.3:
	s_load_dwordx2 s[16:17], s[12:13], 0x0
	s_load_dword s20, s[4:5], 0xc
	s_mul_i32 s21, s9, s8
	v_lshrrev_b32_e32 v5, 9, v0
	v_mov_b32_e32 v6, s3
	s_waitcnt lgkmcnt(0)
	s_sub_i32 s22, s16, s20
	s_sub_i32 s17, s17, s20
	;; [unrolled: 1-line block ×3, first 2 shown]
	s_mul_i32 s1, s25, s9
	s_mul_i32 s0, s22, s21
	v_mul_lo_u32 v0, s1, v10
	v_add_u32_e32 v1, s0, v0
	s_mul_i32 s0, s6, s8
	v_add_u32_e32 v2, s0, v10
	v_ashrrev_i32_e32 v3, 31, v2
	v_lshlrev_b64 v[2:3], 2, v[2:3]
	s_add_i32 s1, s1, s10
	v_add_co_u32_e32 v2, vcc, s2, v2
	v_add_u32_e32 v0, s1, v1
	v_addc_co_u32_e32 v3, vcc, v6, v3, vcc
	global_store_dword v[2:3], v0, off offset:4
	v_add_u32_e32 v0, s22, v5
	v_cmp_gt_i32_e32 vcc, s17, v0
	s_and_b64 exec, exec, vcc
	s_cbranch_execz .LBB25_15
; %bb.4:
	s_load_dwordx2 s[18:19], s[4:5], 0x20
	s_load_dwordx2 s[6:7], s[4:5], 0x38
	s_load_dword s0, s[4:5], 0x0
	s_load_dwordx2 s[12:13], s[4:5], 0x10
	s_load_dwordx2 s[14:15], s[4:5], 0x48
	v_add_u32_e32 v3, s16, v5
	v_subrev_u32_e32 v3, s20, v3
	s_waitcnt lgkmcnt(0)
	s_cmp_eq_u32 s0, 0
	v_mad_u64_u32 v[6:7], s[0:1], v4, s8, v[10:11]
	v_mad_u64_u32 v[8:9], s[0:1], v10, s9, v[4:5]
	s_cselect_b64 vcc, -1, 0
	v_add_u32_e32 v3, 2, v3
	s_not_b32 s0, s16
	v_max_i32_e32 v3, s17, v3
	s_add_i32 s0, s0, s20
	v_add_u32_e32 v3, s0, v3
	v_sub_u32_e32 v7, v3, v5
	v_add_u32_e32 v2, s10, v4
	v_cmp_lt_u32_e64 s[0:1], 33, v7
	s_mov_b64 s[2:3], 0
	v_mul_lo_u32 v3, s25, v10
                                        ; implicit-def: $sgpr24
                                        ; implicit-def: $sgpr23
	s_and_saveexec_b64 s[4:5], s[0:1]
	s_xor_b64 s[10:11], exec, s[4:5]
	s_cbranch_execz .LBB25_10
; %bb.5:
	s_lshl_b32 s23, s9, 1
	s_mul_i32 s24, s22, s8
	v_mul_lo_u32 v3, s25, v10
	s_sub_i32 s4, 0, s23
	v_add3_u32 v5, v5, s24, v3
	v_mad_u64_u32 v[10:11], s[0:1], v5, s9, v[4:5]
	s_cmp_lt_i32 s23, 0
	s_cselect_b64 s[0:1], -1, 0
	s_and_b64 s[2:3], s[0:1], exec
	v_lshrrev_b32_e32 v7, 1, v7
	s_cselect_b32 s4, s4, s23
	v_mul_hi_u32 v5, s4, v7
	v_cmp_eq_u32_e64 s[2:3], 0, v5
	v_mul_lo_u32 v5, s4, v7
	v_add_u32_e32 v9, v10, v5
	v_sub_u32_e32 v5, v10, v5
	v_cmp_gt_i32_e64 s[4:5], v5, v10
	v_cndmask_b32_e64 v5, 0, 1, s[4:5]
	v_cmp_lt_i32_e64 s[4:5], v9, v10
	v_cndmask_b32_e64 v9, 0, 1, s[4:5]
	v_cndmask_b32_e64 v5, v9, v5, s[0:1]
	v_and_b32_e32 v5, 1, v5
	v_cmp_eq_u32_e64 s[0:1], 1, v5
	s_xor_b64 s[0:1], s[0:1], -1
	s_mov_b64 s[4:5], -1
	s_and_b64 s[0:1], s[0:1], s[2:3]
	s_and_saveexec_b64 s[2:3], s[0:1]
	s_cbranch_execz .LBB25_9
; %bb.6:
	v_add_u32_e32 v5, 1, v7
	v_add_u32_e32 v10, v1, v4
	v_and_b32_e32 v7, -2, v5
	v_add_u32_e32 v1, 2, v0
	v_cndmask_b32_e32 v12, v6, v8, vcc
	s_mov_b32 s25, s20
	s_mov_b32 s26, s22
	;; [unrolled: 1-line block ×5, first 2 shown]
	s_mov_b64 s[4:5], 0
	v_mov_b32_e32 v9, s19
	v_mov_b32_e32 v14, v10
	;; [unrolled: 1-line block ×8, first 2 shown]
	v_pk_mov_b32 v[20:21], v[0:1], v[0:1] op_sel:[0,1]
.LBB25_7:                               ; =>This Inner Loop Header: Depth=1
	v_ashrrev_i32_e32 v25, 31, v20
	v_mov_b32_e32 v24, v20
	v_mad_u64_u32 v[26:27], s[0:1], v20, s21, v[12:13]
	v_mad_u64_u32 v[28:29], s[0:1], v21, s29, v[18:19]
	v_lshlrev_b64 v[24:25], 2, v[24:25]
	v_ashrrev_i32_e32 v23, 31, v21
	v_mov_b32_e32 v22, v21
	v_add_co_u32_e64 v24, s[0:1], s18, v24
	v_lshlrev_b64 v[22:23], 2, v[22:23]
	v_addc_co_u32_e64 v25, s[0:1], v9, v25, s[0:1]
	v_ashrrev_i32_e32 v27, 31, v26
	v_add_co_u32_e64 v22, s[0:1], s18, v22
	v_addc_co_u32_e64 v23, s[0:1], v9, v23, s[0:1]
	v_lshlrev_b64 v[26:27], 2, v[26:27]
	v_ashrrev_i32_e32 v29, 31, v28
	global_load_dword v1, v[24:25], off
	global_load_dword v19, v[22:23], off
	v_add_co_u32_e64 v22, s[0:1], s12, v26
	v_lshlrev_b64 v[28:29], 2, v[28:29]
	v_addc_co_u32_e64 v23, s[0:1], v13, v27, s[0:1]
	v_add_co_u32_e64 v24, s[0:1], s12, v28
	v_addc_co_u32_e64 v25, s[0:1], v13, v29, s[0:1]
	global_load_dword v34, v[22:23], off
	global_load_dword v35, v[24:25], off
	v_subrev_u32_e32 v22, s22, v20
	v_subrev_u32_e32 v24, s26, v21
	v_mad_u64_u32 v[22:23], s[0:1], v22, s27, v[10:11]
	v_add_u32_e32 v17, -2, v17
	v_mad_u64_u32 v[24:25], s[0:1], v24, s28, v[14:15]
	v_ashrrev_i32_e32 v23, 31, v22
	v_cmp_eq_u32_e64 s[0:1], 0, v17
	v_lshlrev_b64 v[22:23], 2, v[22:23]
	v_ashrrev_i32_e32 v25, 31, v24
	s_or_b64 s[4:5], s[0:1], s[4:5]
	v_add_co_u32_e64 v26, s[0:1], s14, v22
	v_lshlrev_b64 v[24:25], 2, v[24:25]
	v_addc_co_u32_e64 v27, s[0:1], v11, v23, s[0:1]
	v_add_co_u32_e64 v28, s[0:1], s14, v24
	v_addc_co_u32_e64 v29, s[0:1], v11, v25, s[0:1]
	v_add_co_u32_e64 v22, s[0:1], s6, v22
	v_addc_co_u32_e64 v23, s[0:1], v15, v23, s[0:1]
	v_add_u32_e32 v21, 4, v21
	v_add_u32_e32 v20, 4, v20
	v_add_co_u32_e64 v24, s[0:1], s6, v24
	v_addc_co_u32_e64 v25, s[0:1], v15, v25, s[0:1]
	s_waitcnt vmcnt(3)
	v_subrev_u32_e32 v1, s20, v1
	s_waitcnt vmcnt(2)
	v_subrev_u32_e32 v19, s25, v19
	v_mad_u64_u32 v[30:31], s[0:1], v19, s28, v[16:17]
	v_mad_u64_u32 v[32:33], s[0:1], v1, s27, v[2:3]
	s_waitcnt vmcnt(1)
	global_store_dword v[22:23], v34, off
	s_waitcnt vmcnt(1)
	global_store_dword v[24:25], v35, off
	global_store_dword v[26:27], v32, off
	;; [unrolled: 1-line block ×3, first 2 shown]
	s_andn2_b64 exec, exec, s[4:5]
	s_cbranch_execnz .LBB25_7
; %bb.8:
	s_or_b64 exec, exec, s[4:5]
	v_cmp_ne_u32_e64 s[0:1], v5, v7
	v_lshl_add_u32 v0, v7, 1, v0
	s_orn2_b64 s[4:5], s[0:1], exec
.LBB25_9:
	s_or_b64 exec, exec, s[2:3]
	s_and_b64 s[2:3], s[4:5], exec
.LBB25_10:
	s_or_saveexec_b64 s[0:1], s[10:11]
	v_mov_b32_e32 v1, s24
	v_mov_b32_e32 v10, s23
	s_xor_b64 exec, exec, s[0:1]
; %bb.11:
	s_mul_i32 s4, s8, s22
	s_lshl_b32 s5, s9, 1
	v_mov_b32_e32 v1, s4
	v_mov_b32_e32 v10, s5
	s_or_b64 s[2:3], s[2:3], exec
; %bb.12:
	s_or_b64 exec, exec, s[0:1]
	s_and_b64 exec, exec, s[2:3]
	s_cbranch_execz .LBB25_15
; %bb.13:
	v_cndmask_b32_e32 v6, v6, v8, vcc
	v_mul_lo_u32 v5, v0, s9
	v_mad_u64_u32 v[6:7], s[0:1], v5, s8, v[6:7]
	v_add_u32_e32 v5, s20, v0
	v_add3_u32 v1, v5, v1, v3
	v_subrev_u32_e32 v1, s16, v1
	v_mad_u64_u32 v[4:5], s[0:1], s9, v1, v[4:5]
	v_ashrrev_i32_e32 v1, 31, v0
	v_lshlrev_b64 v[8:9], 2, v[0:1]
	v_mov_b32_e32 v1, s19
	v_add_co_u32_e32 v8, vcc, s18, v8
	s_lshl_b32 s4, s21, 1
	v_addc_co_u32_e32 v9, vcc, v1, v9, vcc
	s_mov_b64 s[2:3], 0
	v_mov_b32_e32 v1, s15
	v_mov_b32_e32 v3, s13
	;; [unrolled: 1-line block ×3, first 2 shown]
.LBB25_14:                              ; =>This Inner Loop Header: Depth=1
	v_ashrrev_i32_e32 v7, 31, v6
	global_load_dword v16, v[8:9], off
	v_lshlrev_b64 v[12:13], 2, v[6:7]
	v_add_co_u32_e32 v12, vcc, s12, v12
	v_addc_co_u32_e32 v13, vcc, v3, v13, vcc
	global_load_dword v7, v[12:13], off
	v_ashrrev_i32_e32 v5, 31, v4
	v_lshlrev_b64 v[12:13], 2, v[4:5]
	v_add_co_u32_e32 v8, vcc, 8, v8
	v_add_co_u32_e64 v14, s[0:1], s14, v12
	v_add_u32_e32 v0, 2, v0
	v_addc_co_u32_e32 v9, vcc, 0, v9, vcc
	v_addc_co_u32_e64 v15, s[0:1], v1, v13, s[0:1]
	v_cmp_le_i32_e32 vcc, s17, v0
	v_add_co_u32_e64 v12, s[0:1], s6, v12
	v_add_u32_e32 v6, s4, v6
	v_add_u32_e32 v4, v4, v10
	v_addc_co_u32_e64 v13, s[0:1], v11, v13, s[0:1]
	s_or_b64 s[2:3], vcc, s[2:3]
	s_waitcnt vmcnt(1)
	v_subrev_u32_e32 v5, s20, v16
	v_mad_u64_u32 v[16:17], s[0:1], v5, s9, v[2:3]
	global_store_dword v[14:15], v16, off
	s_waitcnt vmcnt(1)
	global_store_dword v[12:13], v7, off
	s_andn2_b64 exec, exec, s[2:3]
	s_cbranch_execnz .LBB25_14
.LBB25_15:
	s_endpgm
	.section	.rodata,"a",@progbits
	.p2align	6, 0x0
	.amdhsa_kernel _ZN9rocsparseL35gebsr2csr_block_per_row_1_32_kernelILi1024ELi16ELi32EfEEv20rocsparse_direction_ii21rocsparse_index_base_PKT2_PKiS7_iiS2_PS3_PiS9_
		.amdhsa_group_segment_fixed_size 0
		.amdhsa_private_segment_fixed_size 0
		.amdhsa_kernarg_size 80
		.amdhsa_user_sgpr_count 6
		.amdhsa_user_sgpr_private_segment_buffer 1
		.amdhsa_user_sgpr_dispatch_ptr 0
		.amdhsa_user_sgpr_queue_ptr 0
		.amdhsa_user_sgpr_kernarg_segment_ptr 1
		.amdhsa_user_sgpr_dispatch_id 0
		.amdhsa_user_sgpr_flat_scratch_init 0
		.amdhsa_user_sgpr_kernarg_preload_length 0
		.amdhsa_user_sgpr_kernarg_preload_offset 0
		.amdhsa_user_sgpr_private_segment_size 0
		.amdhsa_uses_dynamic_stack 0
		.amdhsa_system_sgpr_private_segment_wavefront_offset 0
		.amdhsa_system_sgpr_workgroup_id_x 1
		.amdhsa_system_sgpr_workgroup_id_y 0
		.amdhsa_system_sgpr_workgroup_id_z 0
		.amdhsa_system_sgpr_workgroup_info 0
		.amdhsa_system_vgpr_workitem_id 0
		.amdhsa_next_free_vgpr 36
		.amdhsa_next_free_sgpr 30
		.amdhsa_accum_offset 36
		.amdhsa_reserve_vcc 1
		.amdhsa_reserve_flat_scratch 0
		.amdhsa_float_round_mode_32 0
		.amdhsa_float_round_mode_16_64 0
		.amdhsa_float_denorm_mode_32 3
		.amdhsa_float_denorm_mode_16_64 3
		.amdhsa_dx10_clamp 1
		.amdhsa_ieee_mode 1
		.amdhsa_fp16_overflow 0
		.amdhsa_tg_split 0
		.amdhsa_exception_fp_ieee_invalid_op 0
		.amdhsa_exception_fp_denorm_src 0
		.amdhsa_exception_fp_ieee_div_zero 0
		.amdhsa_exception_fp_ieee_overflow 0
		.amdhsa_exception_fp_ieee_underflow 0
		.amdhsa_exception_fp_ieee_inexact 0
		.amdhsa_exception_int_div_zero 0
	.end_amdhsa_kernel
	.section	.text._ZN9rocsparseL35gebsr2csr_block_per_row_1_32_kernelILi1024ELi16ELi32EfEEv20rocsparse_direction_ii21rocsparse_index_base_PKT2_PKiS7_iiS2_PS3_PiS9_,"axG",@progbits,_ZN9rocsparseL35gebsr2csr_block_per_row_1_32_kernelILi1024ELi16ELi32EfEEv20rocsparse_direction_ii21rocsparse_index_base_PKT2_PKiS7_iiS2_PS3_PiS9_,comdat
.Lfunc_end25:
	.size	_ZN9rocsparseL35gebsr2csr_block_per_row_1_32_kernelILi1024ELi16ELi32EfEEv20rocsparse_direction_ii21rocsparse_index_base_PKT2_PKiS7_iiS2_PS3_PiS9_, .Lfunc_end25-_ZN9rocsparseL35gebsr2csr_block_per_row_1_32_kernelILi1024ELi16ELi32EfEEv20rocsparse_direction_ii21rocsparse_index_base_PKT2_PKiS7_iiS2_PS3_PiS9_
                                        ; -- End function
	.section	.AMDGPU.csdata,"",@progbits
; Kernel info:
; codeLenInByte = 1328
; NumSgprs: 34
; NumVgprs: 36
; NumAgprs: 0
; TotalNumVgprs: 36
; ScratchSize: 0
; MemoryBound: 0
; FloatMode: 240
; IeeeMode: 1
; LDSByteSize: 0 bytes/workgroup (compile time only)
; SGPRBlocks: 4
; VGPRBlocks: 4
; NumSGPRsForWavesPerEU: 34
; NumVGPRsForWavesPerEU: 36
; AccumOffset: 36
; Occupancy: 8
; WaveLimiterHint : 0
; COMPUTE_PGM_RSRC2:SCRATCH_EN: 0
; COMPUTE_PGM_RSRC2:USER_SGPR: 6
; COMPUTE_PGM_RSRC2:TRAP_HANDLER: 0
; COMPUTE_PGM_RSRC2:TGID_X_EN: 1
; COMPUTE_PGM_RSRC2:TGID_Y_EN: 0
; COMPUTE_PGM_RSRC2:TGID_Z_EN: 0
; COMPUTE_PGM_RSRC2:TIDIG_COMP_CNT: 0
; COMPUTE_PGM_RSRC3_GFX90A:ACCUM_OFFSET: 8
; COMPUTE_PGM_RSRC3_GFX90A:TG_SPLIT: 0
	.section	.text._ZN9rocsparseL37gebsr2csr_block_per_row_33_128_kernelILi1024ELi16ELi64ELi16ELi32EfEEv20rocsparse_direction_ii21rocsparse_index_base_PKT4_PKiS7_iiS2_PS3_PiS9_,"axG",@progbits,_ZN9rocsparseL37gebsr2csr_block_per_row_33_128_kernelILi1024ELi16ELi64ELi16ELi32EfEEv20rocsparse_direction_ii21rocsparse_index_base_PKT4_PKiS7_iiS2_PS3_PiS9_,comdat
	.globl	_ZN9rocsparseL37gebsr2csr_block_per_row_33_128_kernelILi1024ELi16ELi64ELi16ELi32EfEEv20rocsparse_direction_ii21rocsparse_index_base_PKT4_PKiS7_iiS2_PS3_PiS9_ ; -- Begin function _ZN9rocsparseL37gebsr2csr_block_per_row_33_128_kernelILi1024ELi16ELi64ELi16ELi32EfEEv20rocsparse_direction_ii21rocsparse_index_base_PKT4_PKiS7_iiS2_PS3_PiS9_
	.p2align	8
	.type	_ZN9rocsparseL37gebsr2csr_block_per_row_33_128_kernelILi1024ELi16ELi64ELi16ELi32EfEEv20rocsparse_direction_ii21rocsparse_index_base_PKT4_PKiS7_iiS2_PS3_PiS9_,@function
_ZN9rocsparseL37gebsr2csr_block_per_row_33_128_kernelILi1024ELi16ELi64ELi16ELi32EfEEv20rocsparse_direction_ii21rocsparse_index_base_PKT4_PKiS7_iiS2_PS3_PiS9_: ; @_ZN9rocsparseL37gebsr2csr_block_per_row_33_128_kernelILi1024ELi16ELi64ELi16ELi32EfEEv20rocsparse_direction_ii21rocsparse_index_base_PKT4_PKiS7_iiS2_PS3_PiS9_
; %bb.0:
	s_load_dwordx2 s[0:1], s[4:5], 0x18
	s_load_dwordx4 s[8:11], s[4:5], 0x28
	s_load_dwordx2 s[2:3], s[4:5], 0x40
	s_ashr_i32 s7, s6, 31
	s_lshl_b64 s[12:13], s[6:7], 2
	s_waitcnt lgkmcnt(0)
	s_add_u32 s0, s0, s12
	s_addc_u32 s1, s1, s13
	s_load_dwordx2 s[14:15], s[0:1], 0x0
	v_or_b32_e32 v1, s6, v0
	v_cmp_eq_u32_e32 vcc, 0, v1
	s_and_saveexec_b64 s[0:1], vcc
	s_cbranch_execz .LBB26_2
; %bb.1:
	v_mov_b32_e32 v1, 0
	v_mov_b32_e32 v2, s10
	global_store_dword v1, v2, s[2:3]
.LBB26_2:
	s_or_b64 exec, exec, s[0:1]
	s_load_dword s11, s[4:5], 0xc
	v_lshrrev_b32_e32 v4, 5, v0
	v_cmp_gt_i32_e64 s[0:1], s8, v4
	s_mul_i32 s23, s9, s8
	s_waitcnt lgkmcnt(0)
	s_sub_i32 s12, s14, s11
	s_sub_i32 s22, s15, s11
	s_and_saveexec_b64 s[16:17], s[0:1]
	s_cbranch_execz .LBB26_4
; %bb.3:
	s_mul_i32 s6, s6, s8
	v_add_u32_e32 v2, s6, v4
	s_mul_i32 s7, s23, s12
	s_sub_i32 s13, s22, s12
	v_ashrrev_i32_e32 v3, 31, v2
	s_mul_i32 s13, s13, s9
	s_add_i32 s7, s7, s10
	v_lshlrev_b64 v[2:3], 2, v[2:3]
	v_mul_lo_u32 v1, s13, v4
	s_add_i32 s7, s7, s13
	v_mov_b32_e32 v5, s3
	v_add_co_u32_e32 v2, vcc, s2, v2
	v_add_u32_e32 v1, s7, v1
	v_addc_co_u32_e32 v3, vcc, v5, v3, vcc
	global_store_dword v[2:3], v1, off offset:4
.LBB26_4:
	s_or_b64 exec, exec, s[16:17]
	s_cmp_ge_i32 s14, s15
	s_cbranch_scc1 .LBB26_11
; %bb.5:
	s_load_dwordx2 s[18:19], s[4:5], 0x20
	s_load_dwordx2 s[6:7], s[4:5], 0x38
	;; [unrolled: 1-line block ×4, first 2 shown]
	s_load_dword s2, s[4:5], 0x0
	s_mul_i32 s13, s8, s12
	v_and_b32_e32 v0, 31, v0
	v_add_u32_e32 v1, s13, v4
	v_mad_u64_u32 v[2:3], s[4:5], s9, v1, v[0:1]
	s_mul_i32 s4, s9, s12
	s_sub_i32 s3, s22, s12
	v_add_u32_e32 v3, s4, v0
	v_mul_lo_u32 v6, s3, v4
	s_waitcnt lgkmcnt(0)
	s_cmp_eq_u32 s2, 0
	v_cmp_gt_i32_e64 s[2:3], s9, v0
	v_mad_u64_u32 v[8:9], s[4:5], s8, v3, v[4:5]
	v_or_b32_e32 v1, 32, v0
	s_cselect_b64 vcc, -1, 0
	s_and_b64 s[4:5], s[0:1], s[2:3]
	v_cmp_gt_i32_e64 s[2:3], s9, v1
	v_add_u32_e32 v3, 32, v3
	s_and_b64 s[2:3], s[0:1], s[2:3]
	v_mad_u64_u32 v[4:5], s[0:1], s8, v3, v[4:5]
	v_add_u32_e32 v3, s13, v6
	v_mad_u64_u32 v[6:7], s[0:1], s9, v3, v[0:1]
	s_ashr_i32 s13, s12, 31
	s_lshl_b64 s[0:1], s[12:13], 2
	s_add_u32 s18, s18, s0
	s_mov_b32 s24, 0
	s_addc_u32 s19, s19, s1
	v_cndmask_b32_e32 v3, v8, v2, vcc
	s_branch .LBB26_7
.LBB26_6:                               ;   in Loop: Header=BB26_7 Depth=1
	s_or_b64 exec, exec, s[20:21]
	s_add_i32 s12, s12, 1
	s_add_i32 s24, s24, s23
	s_add_u32 s18, s18, 4
	s_addc_u32 s19, s19, 0
	s_cmp_ge_i32 s12, s22
	v_add_u32_e32 v6, s9, v6
	s_cbranch_scc1 .LBB26_11
.LBB26_7:                               ; =>This Inner Loop Header: Depth=1
	s_load_dword s0, s[18:19], 0x0
	s_waitcnt lgkmcnt(0)
	s_sub_i32 s0, s0, s11
	s_mul_i32 s8, s0, s9
	s_add_i32 s8, s8, s10
	s_and_saveexec_b64 s[20:21], s[4:5]
	s_cbranch_execz .LBB26_9
; %bb.8:                                ;   in Loop: Header=BB26_7 Depth=1
	v_add_u32_e32 v8, s24, v3
	v_ashrrev_i32_e32 v9, 31, v8
	v_lshlrev_b64 v[8:9], 2, v[8:9]
	v_mov_b32_e32 v5, s17
	v_add_co_u32_e64 v8, s[0:1], s16, v8
	v_addc_co_u32_e64 v9, s[0:1], v5, v9, s[0:1]
	global_load_dword v5, v[8:9], off
	v_ashrrev_i32_e32 v7, 31, v6
	v_lshlrev_b64 v[8:9], 2, v[6:7]
	v_mov_b32_e32 v7, s15
	v_add_co_u32_e64 v10, s[0:1], s14, v8
	v_addc_co_u32_e64 v11, s[0:1], v7, v9, s[0:1]
	v_mov_b32_e32 v7, s7
	v_add_co_u32_e64 v8, s[0:1], s6, v8
	v_add_u32_e32 v12, s8, v0
	v_addc_co_u32_e64 v9, s[0:1], v7, v9, s[0:1]
	global_store_dword v[10:11], v12, off
	s_waitcnt vmcnt(1)
	global_store_dword v[8:9], v5, off
.LBB26_9:                               ;   in Loop: Header=BB26_7 Depth=1
	s_or_b64 exec, exec, s[20:21]
	s_and_saveexec_b64 s[20:21], s[2:3]
	s_cbranch_execz .LBB26_6
; %bb.10:                               ;   in Loop: Header=BB26_7 Depth=1
	v_add3_u32 v5, v2, s24, 32
	v_add_u32_e32 v7, s24, v4
	v_cndmask_b32_e32 v8, v7, v5, vcc
	v_ashrrev_i32_e32 v9, 31, v8
	v_lshlrev_b64 v[8:9], 2, v[8:9]
	v_mov_b32_e32 v5, s17
	v_add_co_u32_e64 v8, s[0:1], s16, v8
	v_addc_co_u32_e64 v9, s[0:1], v5, v9, s[0:1]
	global_load_dword v5, v[8:9], off
	v_add_u32_e32 v8, 32, v6
	v_ashrrev_i32_e32 v9, 31, v8
	v_lshlrev_b64 v[8:9], 2, v[8:9]
	v_mov_b32_e32 v11, s15
	v_add_co_u32_e64 v10, s[0:1], s14, v8
	v_add_u32_e32 v7, s8, v1
	v_addc_co_u32_e64 v11, s[0:1], v11, v9, s[0:1]
	global_store_dword v[10:11], v7, off
	v_mov_b32_e32 v7, s7
	v_add_co_u32_e64 v8, s[0:1], s6, v8
	v_addc_co_u32_e64 v9, s[0:1], v7, v9, s[0:1]
	s_waitcnt vmcnt(1)
	global_store_dword v[8:9], v5, off
	s_branch .LBB26_6
.LBB26_11:
	s_endpgm
	.section	.rodata,"a",@progbits
	.p2align	6, 0x0
	.amdhsa_kernel _ZN9rocsparseL37gebsr2csr_block_per_row_33_128_kernelILi1024ELi16ELi64ELi16ELi32EfEEv20rocsparse_direction_ii21rocsparse_index_base_PKT4_PKiS7_iiS2_PS3_PiS9_
		.amdhsa_group_segment_fixed_size 0
		.amdhsa_private_segment_fixed_size 0
		.amdhsa_kernarg_size 80
		.amdhsa_user_sgpr_count 6
		.amdhsa_user_sgpr_private_segment_buffer 1
		.amdhsa_user_sgpr_dispatch_ptr 0
		.amdhsa_user_sgpr_queue_ptr 0
		.amdhsa_user_sgpr_kernarg_segment_ptr 1
		.amdhsa_user_sgpr_dispatch_id 0
		.amdhsa_user_sgpr_flat_scratch_init 0
		.amdhsa_user_sgpr_kernarg_preload_length 0
		.amdhsa_user_sgpr_kernarg_preload_offset 0
		.amdhsa_user_sgpr_private_segment_size 0
		.amdhsa_uses_dynamic_stack 0
		.amdhsa_system_sgpr_private_segment_wavefront_offset 0
		.amdhsa_system_sgpr_workgroup_id_x 1
		.amdhsa_system_sgpr_workgroup_id_y 0
		.amdhsa_system_sgpr_workgroup_id_z 0
		.amdhsa_system_sgpr_workgroup_info 0
		.amdhsa_system_vgpr_workitem_id 0
		.amdhsa_next_free_vgpr 13
		.amdhsa_next_free_sgpr 25
		.amdhsa_accum_offset 16
		.amdhsa_reserve_vcc 1
		.amdhsa_reserve_flat_scratch 0
		.amdhsa_float_round_mode_32 0
		.amdhsa_float_round_mode_16_64 0
		.amdhsa_float_denorm_mode_32 3
		.amdhsa_float_denorm_mode_16_64 3
		.amdhsa_dx10_clamp 1
		.amdhsa_ieee_mode 1
		.amdhsa_fp16_overflow 0
		.amdhsa_tg_split 0
		.amdhsa_exception_fp_ieee_invalid_op 0
		.amdhsa_exception_fp_denorm_src 0
		.amdhsa_exception_fp_ieee_div_zero 0
		.amdhsa_exception_fp_ieee_overflow 0
		.amdhsa_exception_fp_ieee_underflow 0
		.amdhsa_exception_fp_ieee_inexact 0
		.amdhsa_exception_int_div_zero 0
	.end_amdhsa_kernel
	.section	.text._ZN9rocsparseL37gebsr2csr_block_per_row_33_128_kernelILi1024ELi16ELi64ELi16ELi32EfEEv20rocsparse_direction_ii21rocsparse_index_base_PKT4_PKiS7_iiS2_PS3_PiS9_,"axG",@progbits,_ZN9rocsparseL37gebsr2csr_block_per_row_33_128_kernelILi1024ELi16ELi64ELi16ELi32EfEEv20rocsparse_direction_ii21rocsparse_index_base_PKT4_PKiS7_iiS2_PS3_PiS9_,comdat
.Lfunc_end26:
	.size	_ZN9rocsparseL37gebsr2csr_block_per_row_33_128_kernelILi1024ELi16ELi64ELi16ELi32EfEEv20rocsparse_direction_ii21rocsparse_index_base_PKT4_PKiS7_iiS2_PS3_PiS9_, .Lfunc_end26-_ZN9rocsparseL37gebsr2csr_block_per_row_33_128_kernelILi1024ELi16ELi64ELi16ELi32EfEEv20rocsparse_direction_ii21rocsparse_index_base_PKT4_PKiS7_iiS2_PS3_PiS9_
                                        ; -- End function
	.section	.AMDGPU.csdata,"",@progbits
; Kernel info:
; codeLenInByte = 736
; NumSgprs: 29
; NumVgprs: 13
; NumAgprs: 0
; TotalNumVgprs: 13
; ScratchSize: 0
; MemoryBound: 0
; FloatMode: 240
; IeeeMode: 1
; LDSByteSize: 0 bytes/workgroup (compile time only)
; SGPRBlocks: 3
; VGPRBlocks: 1
; NumSGPRsForWavesPerEU: 29
; NumVGPRsForWavesPerEU: 13
; AccumOffset: 16
; Occupancy: 8
; WaveLimiterHint : 1
; COMPUTE_PGM_RSRC2:SCRATCH_EN: 0
; COMPUTE_PGM_RSRC2:USER_SGPR: 6
; COMPUTE_PGM_RSRC2:TRAP_HANDLER: 0
; COMPUTE_PGM_RSRC2:TGID_X_EN: 1
; COMPUTE_PGM_RSRC2:TGID_Y_EN: 0
; COMPUTE_PGM_RSRC2:TGID_Z_EN: 0
; COMPUTE_PGM_RSRC2:TIDIG_COMP_CNT: 0
; COMPUTE_PGM_RSRC3_GFX90A:ACCUM_OFFSET: 3
; COMPUTE_PGM_RSRC3_GFX90A:TG_SPLIT: 0
	.section	.text._ZN9rocsparseL37gebsr2csr_block_per_row_33_128_kernelILi1024ELi16ELi128ELi16ELi32EfEEv20rocsparse_direction_ii21rocsparse_index_base_PKT4_PKiS7_iiS2_PS3_PiS9_,"axG",@progbits,_ZN9rocsparseL37gebsr2csr_block_per_row_33_128_kernelILi1024ELi16ELi128ELi16ELi32EfEEv20rocsparse_direction_ii21rocsparse_index_base_PKT4_PKiS7_iiS2_PS3_PiS9_,comdat
	.globl	_ZN9rocsparseL37gebsr2csr_block_per_row_33_128_kernelILi1024ELi16ELi128ELi16ELi32EfEEv20rocsparse_direction_ii21rocsparse_index_base_PKT4_PKiS7_iiS2_PS3_PiS9_ ; -- Begin function _ZN9rocsparseL37gebsr2csr_block_per_row_33_128_kernelILi1024ELi16ELi128ELi16ELi32EfEEv20rocsparse_direction_ii21rocsparse_index_base_PKT4_PKiS7_iiS2_PS3_PiS9_
	.p2align	8
	.type	_ZN9rocsparseL37gebsr2csr_block_per_row_33_128_kernelILi1024ELi16ELi128ELi16ELi32EfEEv20rocsparse_direction_ii21rocsparse_index_base_PKT4_PKiS7_iiS2_PS3_PiS9_,@function
_ZN9rocsparseL37gebsr2csr_block_per_row_33_128_kernelILi1024ELi16ELi128ELi16ELi32EfEEv20rocsparse_direction_ii21rocsparse_index_base_PKT4_PKiS7_iiS2_PS3_PiS9_: ; @_ZN9rocsparseL37gebsr2csr_block_per_row_33_128_kernelILi1024ELi16ELi128ELi16ELi32EfEEv20rocsparse_direction_ii21rocsparse_index_base_PKT4_PKiS7_iiS2_PS3_PiS9_
; %bb.0:
	s_load_dwordx2 s[0:1], s[4:5], 0x18
	s_load_dwordx4 s[8:11], s[4:5], 0x28
	s_load_dwordx2 s[2:3], s[4:5], 0x40
	s_ashr_i32 s7, s6, 31
	s_lshl_b64 s[12:13], s[6:7], 2
	s_waitcnt lgkmcnt(0)
	s_add_u32 s0, s0, s12
	s_addc_u32 s1, s1, s13
	s_load_dwordx2 s[14:15], s[0:1], 0x0
	v_or_b32_e32 v1, s6, v0
	v_cmp_eq_u32_e32 vcc, 0, v1
	s_and_saveexec_b64 s[0:1], vcc
	s_cbranch_execz .LBB27_2
; %bb.1:
	v_mov_b32_e32 v1, 0
	v_mov_b32_e32 v2, s10
	global_store_dword v1, v2, s[2:3]
.LBB27_2:
	s_or_b64 exec, exec, s[0:1]
	s_load_dword s11, s[4:5], 0xc
	v_lshrrev_b32_e32 v1, 5, v0
	v_cmp_gt_i32_e64 s[0:1], s8, v1
	s_mul_i32 s27, s9, s8
	s_waitcnt lgkmcnt(0)
	s_sub_i32 s12, s14, s11
	s_sub_i32 s26, s15, s11
	s_and_saveexec_b64 s[16:17], s[0:1]
	s_cbranch_execz .LBB27_4
; %bb.3:
	s_mul_i32 s7, s27, s12
	s_sub_i32 s13, s26, s12
	s_mul_i32 s13, s13, s9
	s_add_i32 s7, s7, s10
	v_mul_lo_u32 v2, s13, v1
	s_add_i32 s7, s7, s13
	s_mul_i32 s6, s6, s8
	v_add_u32_e32 v4, s7, v2
	v_add_u32_e32 v2, s6, v1
	v_ashrrev_i32_e32 v3, 31, v2
	v_lshlrev_b64 v[2:3], 2, v[2:3]
	v_mov_b32_e32 v5, s3
	v_add_co_u32_e32 v2, vcc, s2, v2
	v_addc_co_u32_e32 v3, vcc, v5, v3, vcc
	global_store_dword v[2:3], v4, off offset:4
.LBB27_4:
	s_or_b64 exec, exec, s[16:17]
	s_cmp_ge_i32 s14, s15
	s_cbranch_scc1 .LBB27_15
; %bb.5:
	s_load_dwordx2 s[22:23], s[4:5], 0x20
	s_load_dwordx2 s[6:7], s[4:5], 0x38
	;; [unrolled: 1-line block ×3, first 2 shown]
	s_load_dword s2, s[4:5], 0x0
	s_load_dwordx2 s[16:17], s[4:5], 0x48
	v_and_b32_e32 v0, 31, v0
	s_sub_i32 s3, s26, s12
	v_mul_lo_u32 v10, s3, v1
	s_waitcnt lgkmcnt(0)
	s_cmp_eq_u32 s2, 0
	v_cmp_gt_i32_e64 s[2:3], s9, v0
	v_or_b32_e32 v2, 32, v0
	s_cselect_b64 vcc, -1, 0
	s_and_b64 s[4:5], s[0:1], s[2:3]
	v_cmp_gt_i32_e64 s[2:3], s9, v2
	v_or_b32_e32 v3, 64, v0
	s_and_b64 s[18:19], s[0:1], s[2:3]
	v_cmp_gt_i32_e64 s[2:3], s9, v3
	v_or_b32_e32 v4, 0x60, v0
	s_and_b64 s[20:21], s[0:1], s[2:3]
	v_cmp_gt_i32_e64 s[2:3], s9, v4
	s_and_b64 s[2:3], s[0:1], s[2:3]
	s_mul_i32 s0, s8, s12
	s_mul_i32 s1, s9, s12
	s_ashr_i32 s13, s12, 31
	v_add_u32_e32 v5, s0, v1
	v_add_u32_e32 v9, s1, v0
	;; [unrolled: 1-line block ×3, first 2 shown]
	s_lshl_b64 s[0:1], s[12:13], 2
	v_add_u32_e32 v6, 0x60, v9
	v_add_u32_e32 v7, 64, v9
	;; [unrolled: 1-line block ×3, first 2 shown]
	s_add_u32 s22, s22, s0
	s_movk_i32 s28, 0x60
	v_mul_lo_u32 v5, s9, v5
	v_mul_lo_u32 v6, s8, v6
	;; [unrolled: 1-line block ×6, first 2 shown]
	s_addc_u32 s23, s23, s1
	s_branch .LBB27_7
.LBB27_6:                               ;   in Loop: Header=BB27_7 Depth=1
	s_or_b64 exec, exec, s[24:25]
	s_add_i32 s12, s12, 1
	s_add_u32 s22, s22, 4
	s_addc_u32 s23, s23, 0
	v_add_u32_e32 v5, s27, v5
	v_add_u32_e32 v1, s27, v1
	s_cmp_ge_i32 s12, s26
	v_add_u32_e32 v10, s9, v10
	s_cbranch_scc1 .LBB27_15
.LBB27_7:                               ; =>This Inner Loop Header: Depth=1
	s_load_dword s0, s[22:23], 0x0
	s_waitcnt lgkmcnt(0)
	s_sub_i32 s0, s0, s11
	s_mul_i32 s8, s0, s9
	s_add_i32 s8, s8, s10
	s_and_saveexec_b64 s[24:25], s[4:5]
	s_cbranch_execnz .LBB27_11
; %bb.8:                                ;   in Loop: Header=BB27_7 Depth=1
	s_or_b64 exec, exec, s[24:25]
	s_and_saveexec_b64 s[24:25], s[18:19]
	s_cbranch_execnz .LBB27_12
.LBB27_9:                               ;   in Loop: Header=BB27_7 Depth=1
	s_or_b64 exec, exec, s[24:25]
	s_and_saveexec_b64 s[24:25], s[20:21]
	s_cbranch_execnz .LBB27_13
.LBB27_10:                              ;   in Loop: Header=BB27_7 Depth=1
	s_or_b64 exec, exec, s[24:25]
	s_and_saveexec_b64 s[24:25], s[2:3]
	s_cbranch_execz .LBB27_6
	s_branch .LBB27_14
.LBB27_11:                              ;   in Loop: Header=BB27_7 Depth=1
	v_add_u32_e32 v11, v0, v5
	v_add_u32_e32 v12, v9, v1
	v_cndmask_b32_e32 v12, v12, v11, vcc
	v_ashrrev_i32_e32 v13, 31, v12
	v_lshlrev_b64 v[12:13], 2, v[12:13]
	v_mov_b32_e32 v11, s15
	v_add_co_u32_e64 v12, s[0:1], s14, v12
	v_addc_co_u32_e64 v13, s[0:1], v11, v13, s[0:1]
	global_load_dword v11, v[12:13], off
	v_add_u32_e32 v12, v0, v10
	v_ashrrev_i32_e32 v13, 31, v12
	v_lshlrev_b64 v[12:13], 2, v[12:13]
	v_mov_b32_e32 v15, s17
	v_add_co_u32_e64 v14, s[0:1], s16, v12
	v_add_u32_e32 v16, s8, v0
	v_addc_co_u32_e64 v15, s[0:1], v15, v13, s[0:1]
	global_store_dword v[14:15], v16, off
	v_mov_b32_e32 v14, s7
	v_add_co_u32_e64 v12, s[0:1], s6, v12
	v_addc_co_u32_e64 v13, s[0:1], v14, v13, s[0:1]
	s_waitcnt vmcnt(1)
	global_store_dword v[12:13], v11, off
	s_or_b64 exec, exec, s[24:25]
	s_and_saveexec_b64 s[24:25], s[18:19]
	s_cbranch_execz .LBB27_9
.LBB27_12:                              ;   in Loop: Header=BB27_7 Depth=1
	v_add3_u32 v11, v0, v5, 32
	v_add_u32_e32 v12, v8, v1
	v_cndmask_b32_e32 v12, v12, v11, vcc
	v_ashrrev_i32_e32 v13, 31, v12
	v_lshlrev_b64 v[12:13], 2, v[12:13]
	v_mov_b32_e32 v11, s15
	v_add_co_u32_e64 v12, s[0:1], s14, v12
	v_addc_co_u32_e64 v13, s[0:1], v11, v13, s[0:1]
	global_load_dword v11, v[12:13], off
	v_add3_u32 v12, v0, v10, 32
	v_ashrrev_i32_e32 v13, 31, v12
	v_lshlrev_b64 v[12:13], 2, v[12:13]
	v_mov_b32_e32 v15, s17
	v_add_co_u32_e64 v14, s[0:1], s16, v12
	v_add_u32_e32 v16, s8, v2
	v_addc_co_u32_e64 v15, s[0:1], v15, v13, s[0:1]
	global_store_dword v[14:15], v16, off
	v_mov_b32_e32 v14, s7
	v_add_co_u32_e64 v12, s[0:1], s6, v12
	v_addc_co_u32_e64 v13, s[0:1], v14, v13, s[0:1]
	s_waitcnt vmcnt(1)
	global_store_dword v[12:13], v11, off
	s_or_b64 exec, exec, s[24:25]
	s_and_saveexec_b64 s[24:25], s[20:21]
	s_cbranch_execz .LBB27_10
.LBB27_13:                              ;   in Loop: Header=BB27_7 Depth=1
	v_add3_u32 v11, v0, v5, 64
	v_add_u32_e32 v12, v7, v1
	v_cndmask_b32_e32 v12, v12, v11, vcc
	v_ashrrev_i32_e32 v13, 31, v12
	v_lshlrev_b64 v[12:13], 2, v[12:13]
	v_mov_b32_e32 v11, s15
	v_add_co_u32_e64 v12, s[0:1], s14, v12
	v_addc_co_u32_e64 v13, s[0:1], v11, v13, s[0:1]
	global_load_dword v11, v[12:13], off
	v_add3_u32 v12, v0, v10, 64
	v_ashrrev_i32_e32 v13, 31, v12
	v_lshlrev_b64 v[12:13], 2, v[12:13]
	v_mov_b32_e32 v15, s17
	v_add_co_u32_e64 v14, s[0:1], s16, v12
	v_add_u32_e32 v16, s8, v3
	v_addc_co_u32_e64 v15, s[0:1], v15, v13, s[0:1]
	global_store_dword v[14:15], v16, off
	v_mov_b32_e32 v14, s7
	v_add_co_u32_e64 v12, s[0:1], s6, v12
	v_addc_co_u32_e64 v13, s[0:1], v14, v13, s[0:1]
	s_waitcnt vmcnt(1)
	global_store_dword v[12:13], v11, off
	s_or_b64 exec, exec, s[24:25]
	s_and_saveexec_b64 s[24:25], s[2:3]
	s_cbranch_execz .LBB27_6
.LBB27_14:                              ;   in Loop: Header=BB27_7 Depth=1
	v_add3_u32 v11, v0, v5, s28
	v_add_u32_e32 v12, v6, v1
	v_cndmask_b32_e32 v12, v12, v11, vcc
	v_ashrrev_i32_e32 v13, 31, v12
	v_lshlrev_b64 v[12:13], 2, v[12:13]
	v_mov_b32_e32 v11, s15
	v_add_co_u32_e64 v12, s[0:1], s14, v12
	v_addc_co_u32_e64 v13, s[0:1], v11, v13, s[0:1]
	global_load_dword v11, v[12:13], off
	v_add3_u32 v12, v0, v10, s28
	v_ashrrev_i32_e32 v13, 31, v12
	v_lshlrev_b64 v[12:13], 2, v[12:13]
	v_mov_b32_e32 v15, s17
	v_add_co_u32_e64 v14, s[0:1], s16, v12
	v_add_u32_e32 v16, s8, v4
	v_addc_co_u32_e64 v15, s[0:1], v15, v13, s[0:1]
	global_store_dword v[14:15], v16, off
	v_mov_b32_e32 v14, s7
	v_add_co_u32_e64 v12, s[0:1], s6, v12
	v_addc_co_u32_e64 v13, s[0:1], v14, v13, s[0:1]
	s_waitcnt vmcnt(1)
	global_store_dword v[12:13], v11, off
	s_branch .LBB27_6
.LBB27_15:
	s_endpgm
	.section	.rodata,"a",@progbits
	.p2align	6, 0x0
	.amdhsa_kernel _ZN9rocsparseL37gebsr2csr_block_per_row_33_128_kernelILi1024ELi16ELi128ELi16ELi32EfEEv20rocsparse_direction_ii21rocsparse_index_base_PKT4_PKiS7_iiS2_PS3_PiS9_
		.amdhsa_group_segment_fixed_size 0
		.amdhsa_private_segment_fixed_size 0
		.amdhsa_kernarg_size 80
		.amdhsa_user_sgpr_count 6
		.amdhsa_user_sgpr_private_segment_buffer 1
		.amdhsa_user_sgpr_dispatch_ptr 0
		.amdhsa_user_sgpr_queue_ptr 0
		.amdhsa_user_sgpr_kernarg_segment_ptr 1
		.amdhsa_user_sgpr_dispatch_id 0
		.amdhsa_user_sgpr_flat_scratch_init 0
		.amdhsa_user_sgpr_kernarg_preload_length 0
		.amdhsa_user_sgpr_kernarg_preload_offset 0
		.amdhsa_user_sgpr_private_segment_size 0
		.amdhsa_uses_dynamic_stack 0
		.amdhsa_system_sgpr_private_segment_wavefront_offset 0
		.amdhsa_system_sgpr_workgroup_id_x 1
		.amdhsa_system_sgpr_workgroup_id_y 0
		.amdhsa_system_sgpr_workgroup_id_z 0
		.amdhsa_system_sgpr_workgroup_info 0
		.amdhsa_system_vgpr_workitem_id 0
		.amdhsa_next_free_vgpr 17
		.amdhsa_next_free_sgpr 29
		.amdhsa_accum_offset 20
		.amdhsa_reserve_vcc 1
		.amdhsa_reserve_flat_scratch 0
		.amdhsa_float_round_mode_32 0
		.amdhsa_float_round_mode_16_64 0
		.amdhsa_float_denorm_mode_32 3
		.amdhsa_float_denorm_mode_16_64 3
		.amdhsa_dx10_clamp 1
		.amdhsa_ieee_mode 1
		.amdhsa_fp16_overflow 0
		.amdhsa_tg_split 0
		.amdhsa_exception_fp_ieee_invalid_op 0
		.amdhsa_exception_fp_denorm_src 0
		.amdhsa_exception_fp_ieee_div_zero 0
		.amdhsa_exception_fp_ieee_overflow 0
		.amdhsa_exception_fp_ieee_underflow 0
		.amdhsa_exception_fp_ieee_inexact 0
		.amdhsa_exception_int_div_zero 0
	.end_amdhsa_kernel
	.section	.text._ZN9rocsparseL37gebsr2csr_block_per_row_33_128_kernelILi1024ELi16ELi128ELi16ELi32EfEEv20rocsparse_direction_ii21rocsparse_index_base_PKT4_PKiS7_iiS2_PS3_PiS9_,"axG",@progbits,_ZN9rocsparseL37gebsr2csr_block_per_row_33_128_kernelILi1024ELi16ELi128ELi16ELi32EfEEv20rocsparse_direction_ii21rocsparse_index_base_PKT4_PKiS7_iiS2_PS3_PiS9_,comdat
.Lfunc_end27:
	.size	_ZN9rocsparseL37gebsr2csr_block_per_row_33_128_kernelILi1024ELi16ELi128ELi16ELi32EfEEv20rocsparse_direction_ii21rocsparse_index_base_PKT4_PKiS7_iiS2_PS3_PiS9_, .Lfunc_end27-_ZN9rocsparseL37gebsr2csr_block_per_row_33_128_kernelILi1024ELi16ELi128ELi16ELi32EfEEv20rocsparse_direction_ii21rocsparse_index_base_PKT4_PKiS7_iiS2_PS3_PiS9_
                                        ; -- End function
	.section	.AMDGPU.csdata,"",@progbits
; Kernel info:
; codeLenInByte = 1160
; NumSgprs: 33
; NumVgprs: 17
; NumAgprs: 0
; TotalNumVgprs: 17
; ScratchSize: 0
; MemoryBound: 0
; FloatMode: 240
; IeeeMode: 1
; LDSByteSize: 0 bytes/workgroup (compile time only)
; SGPRBlocks: 4
; VGPRBlocks: 2
; NumSGPRsForWavesPerEU: 33
; NumVGPRsForWavesPerEU: 17
; AccumOffset: 20
; Occupancy: 8
; WaveLimiterHint : 1
; COMPUTE_PGM_RSRC2:SCRATCH_EN: 0
; COMPUTE_PGM_RSRC2:USER_SGPR: 6
; COMPUTE_PGM_RSRC2:TRAP_HANDLER: 0
; COMPUTE_PGM_RSRC2:TGID_X_EN: 1
; COMPUTE_PGM_RSRC2:TGID_Y_EN: 0
; COMPUTE_PGM_RSRC2:TGID_Z_EN: 0
; COMPUTE_PGM_RSRC2:TIDIG_COMP_CNT: 0
; COMPUTE_PGM_RSRC3_GFX90A:ACCUM_OFFSET: 4
; COMPUTE_PGM_RSRC3_GFX90A:TG_SPLIT: 0
	.section	.text._ZN9rocsparseL35gebsr2csr_block_per_row_1_32_kernelILi1024ELi32ELi2EfEEv20rocsparse_direction_ii21rocsparse_index_base_PKT2_PKiS7_iiS2_PS3_PiS9_,"axG",@progbits,_ZN9rocsparseL35gebsr2csr_block_per_row_1_32_kernelILi1024ELi32ELi2EfEEv20rocsparse_direction_ii21rocsparse_index_base_PKT2_PKiS7_iiS2_PS3_PiS9_,comdat
	.globl	_ZN9rocsparseL35gebsr2csr_block_per_row_1_32_kernelILi1024ELi32ELi2EfEEv20rocsparse_direction_ii21rocsparse_index_base_PKT2_PKiS7_iiS2_PS3_PiS9_ ; -- Begin function _ZN9rocsparseL35gebsr2csr_block_per_row_1_32_kernelILi1024ELi32ELi2EfEEv20rocsparse_direction_ii21rocsparse_index_base_PKT2_PKiS7_iiS2_PS3_PiS9_
	.p2align	8
	.type	_ZN9rocsparseL35gebsr2csr_block_per_row_1_32_kernelILi1024ELi32ELi2EfEEv20rocsparse_direction_ii21rocsparse_index_base_PKT2_PKiS7_iiS2_PS3_PiS9_,@function
_ZN9rocsparseL35gebsr2csr_block_per_row_1_32_kernelILi1024ELi32ELi2EfEEv20rocsparse_direction_ii21rocsparse_index_base_PKT2_PKiS7_iiS2_PS3_PiS9_: ; @_ZN9rocsparseL35gebsr2csr_block_per_row_1_32_kernelILi1024ELi32ELi2EfEEv20rocsparse_direction_ii21rocsparse_index_base_PKT2_PKiS7_iiS2_PS3_PiS9_
; %bb.0:
	s_load_dwordx2 s[0:1], s[4:5], 0x18
	s_load_dwordx4 s[8:11], s[4:5], 0x28
	s_load_dwordx2 s[2:3], s[4:5], 0x40
	s_ashr_i32 s7, s6, 31
	s_lshl_b64 s[12:13], s[6:7], 2
	s_waitcnt lgkmcnt(0)
	s_add_u32 s12, s0, s12
	v_or_b32_e32 v1, s6, v0
	s_addc_u32 s13, s1, s13
	v_cmp_eq_u32_e32 vcc, 0, v1
	s_and_saveexec_b64 s[0:1], vcc
	s_cbranch_execz .LBB28_2
; %bb.1:
	v_mov_b32_e32 v1, 0
	v_mov_b32_e32 v2, s10
	global_store_dword v1, v2, s[2:3]
.LBB28_2:
	s_or_b64 exec, exec, s[0:1]
	v_and_b32_e32 v4, 1, v0
	v_bfe_u32 v10, v0, 1, 5
	v_cmp_gt_i32_e32 vcc, s8, v10
	v_cmp_gt_i32_e64 s[0:1], s9, v4
	s_and_b64 s[0:1], vcc, s[0:1]
	s_and_saveexec_b64 s[14:15], s[0:1]
	s_cbranch_execz .LBB28_15
; %bb.3:
	s_load_dwordx2 s[16:17], s[12:13], 0x0
	s_load_dword s20, s[4:5], 0xc
	s_mul_i32 s21, s9, s8
	v_lshrrev_b32_e32 v5, 6, v0
	v_mov_b32_e32 v6, s3
	s_waitcnt lgkmcnt(0)
	s_sub_i32 s22, s16, s20
	s_sub_i32 s17, s17, s20
	;; [unrolled: 1-line block ×3, first 2 shown]
	s_mul_i32 s1, s25, s9
	s_mul_i32 s0, s22, s21
	v_mul_lo_u32 v0, s1, v10
	v_add_u32_e32 v1, s0, v0
	s_mul_i32 s0, s6, s8
	v_add_u32_e32 v2, s0, v10
	v_ashrrev_i32_e32 v3, 31, v2
	v_lshlrev_b64 v[2:3], 2, v[2:3]
	s_add_i32 s1, s1, s10
	v_add_co_u32_e32 v2, vcc, s2, v2
	v_add_u32_e32 v0, s1, v1
	v_addc_co_u32_e32 v3, vcc, v6, v3, vcc
	global_store_dword v[2:3], v0, off offset:4
	v_add_u32_e32 v0, s22, v5
	v_cmp_gt_i32_e32 vcc, s17, v0
	s_and_b64 exec, exec, vcc
	s_cbranch_execz .LBB28_15
; %bb.4:
	s_load_dwordx2 s[18:19], s[4:5], 0x20
	s_load_dwordx2 s[6:7], s[4:5], 0x38
	s_load_dword s0, s[4:5], 0x0
	s_load_dwordx2 s[12:13], s[4:5], 0x10
	s_load_dwordx2 s[14:15], s[4:5], 0x48
	v_add_u32_e32 v3, s16, v5
	v_subrev_u32_e32 v3, s20, v3
	s_waitcnt lgkmcnt(0)
	s_cmp_eq_u32 s0, 0
	v_mad_u64_u32 v[6:7], s[0:1], v4, s8, v[10:11]
	v_mad_u64_u32 v[8:9], s[0:1], v10, s9, v[4:5]
	s_cselect_b64 vcc, -1, 0
	v_add_u32_e32 v3, 16, v3
	s_not_b32 s0, s16
	v_max_i32_e32 v3, s17, v3
	s_add_i32 s0, s0, s20
	v_add_u32_e32 v3, s0, v3
	v_sub_u32_e32 v7, v3, v5
	s_movk_i32 s0, 0x10f
	v_add_u32_e32 v2, s10, v4
	v_cmp_lt_u32_e64 s[0:1], s0, v7
	s_mov_b64 s[2:3], 0
	v_mul_lo_u32 v3, s25, v10
                                        ; implicit-def: $sgpr24
                                        ; implicit-def: $sgpr23
	s_and_saveexec_b64 s[4:5], s[0:1]
	s_xor_b64 s[10:11], exec, s[4:5]
	s_cbranch_execz .LBB28_10
; %bb.5:
	s_lshl_b32 s23, s9, 4
	s_mul_i32 s24, s22, s8
	v_mul_lo_u32 v3, s25, v10
	s_sub_i32 s4, 0, s23
	v_add3_u32 v5, v5, s24, v3
	v_mad_u64_u32 v[10:11], s[0:1], v5, s9, v[4:5]
	s_cmp_lt_i32 s23, 0
	s_cselect_b64 s[0:1], -1, 0
	s_and_b64 s[2:3], s[0:1], exec
	v_lshrrev_b32_e32 v7, 4, v7
	s_cselect_b32 s4, s4, s23
	v_mul_hi_u32 v5, s4, v7
	v_cmp_eq_u32_e64 s[2:3], 0, v5
	v_mul_lo_u32 v5, s4, v7
	v_add_u32_e32 v9, v10, v5
	v_sub_u32_e32 v5, v10, v5
	v_cmp_gt_i32_e64 s[4:5], v5, v10
	v_cndmask_b32_e64 v5, 0, 1, s[4:5]
	v_cmp_lt_i32_e64 s[4:5], v9, v10
	v_cndmask_b32_e64 v9, 0, 1, s[4:5]
	v_cndmask_b32_e64 v5, v9, v5, s[0:1]
	v_and_b32_e32 v5, 1, v5
	v_cmp_eq_u32_e64 s[0:1], 1, v5
	s_xor_b64 s[0:1], s[0:1], -1
	s_mov_b64 s[4:5], -1
	s_and_b64 s[0:1], s[0:1], s[2:3]
	s_and_saveexec_b64 s[2:3], s[0:1]
	s_cbranch_execz .LBB28_9
; %bb.6:
	v_add_u32_e32 v5, 1, v7
	v_add_u32_e32 v10, v1, v4
	v_and_b32_e32 v7, 0x1ffffffe, v5
	v_add_u32_e32 v1, 16, v0
	v_cndmask_b32_e32 v12, v6, v8, vcc
	s_mov_b32 s25, s20
	s_mov_b32 s26, s22
	;; [unrolled: 1-line block ×5, first 2 shown]
	s_mov_b64 s[4:5], 0
	v_mov_b32_e32 v9, s19
	v_mov_b32_e32 v14, v10
	v_mov_b32_e32 v16, v2
	v_mov_b32_e32 v11, s15
	v_mov_b32_e32 v18, v12
	v_mov_b32_e32 v13, s13
	v_mov_b32_e32 v15, s7
	v_mov_b32_e32 v17, v7
	v_pk_mov_b32 v[20:21], v[0:1], v[0:1] op_sel:[0,1]
.LBB28_7:                               ; =>This Inner Loop Header: Depth=1
	v_ashrrev_i32_e32 v25, 31, v20
	v_mov_b32_e32 v24, v20
	v_mad_u64_u32 v[26:27], s[0:1], v20, s21, v[12:13]
	v_mad_u64_u32 v[28:29], s[0:1], v21, s29, v[18:19]
	v_lshlrev_b64 v[24:25], 2, v[24:25]
	v_ashrrev_i32_e32 v23, 31, v21
	v_mov_b32_e32 v22, v21
	v_add_co_u32_e64 v24, s[0:1], s18, v24
	v_lshlrev_b64 v[22:23], 2, v[22:23]
	v_addc_co_u32_e64 v25, s[0:1], v9, v25, s[0:1]
	v_ashrrev_i32_e32 v27, 31, v26
	v_add_co_u32_e64 v22, s[0:1], s18, v22
	v_addc_co_u32_e64 v23, s[0:1], v9, v23, s[0:1]
	v_lshlrev_b64 v[26:27], 2, v[26:27]
	v_ashrrev_i32_e32 v29, 31, v28
	global_load_dword v1, v[24:25], off
	global_load_dword v19, v[22:23], off
	v_add_co_u32_e64 v22, s[0:1], s12, v26
	v_lshlrev_b64 v[28:29], 2, v[28:29]
	v_addc_co_u32_e64 v23, s[0:1], v13, v27, s[0:1]
	v_add_co_u32_e64 v24, s[0:1], s12, v28
	v_addc_co_u32_e64 v25, s[0:1], v13, v29, s[0:1]
	global_load_dword v34, v[22:23], off
	global_load_dword v35, v[24:25], off
	v_subrev_u32_e32 v22, s22, v20
	v_subrev_u32_e32 v24, s26, v21
	v_mad_u64_u32 v[22:23], s[0:1], v22, s27, v[10:11]
	v_add_u32_e32 v17, -2, v17
	v_mad_u64_u32 v[24:25], s[0:1], v24, s28, v[14:15]
	v_ashrrev_i32_e32 v23, 31, v22
	v_cmp_eq_u32_e64 s[0:1], 0, v17
	v_lshlrev_b64 v[22:23], 2, v[22:23]
	v_ashrrev_i32_e32 v25, 31, v24
	s_or_b64 s[4:5], s[0:1], s[4:5]
	v_add_co_u32_e64 v26, s[0:1], s14, v22
	v_lshlrev_b64 v[24:25], 2, v[24:25]
	v_addc_co_u32_e64 v27, s[0:1], v11, v23, s[0:1]
	v_add_co_u32_e64 v28, s[0:1], s14, v24
	v_addc_co_u32_e64 v29, s[0:1], v11, v25, s[0:1]
	v_add_co_u32_e64 v22, s[0:1], s6, v22
	v_addc_co_u32_e64 v23, s[0:1], v15, v23, s[0:1]
	v_add_u32_e32 v21, 32, v21
	v_add_u32_e32 v20, 32, v20
	v_add_co_u32_e64 v24, s[0:1], s6, v24
	v_addc_co_u32_e64 v25, s[0:1], v15, v25, s[0:1]
	s_waitcnt vmcnt(3)
	v_subrev_u32_e32 v1, s20, v1
	s_waitcnt vmcnt(2)
	v_subrev_u32_e32 v19, s25, v19
	v_mad_u64_u32 v[30:31], s[0:1], v19, s28, v[16:17]
	v_mad_u64_u32 v[32:33], s[0:1], v1, s27, v[2:3]
	s_waitcnt vmcnt(1)
	global_store_dword v[22:23], v34, off
	s_waitcnt vmcnt(1)
	global_store_dword v[24:25], v35, off
	global_store_dword v[26:27], v32, off
	;; [unrolled: 1-line block ×3, first 2 shown]
	s_andn2_b64 exec, exec, s[4:5]
	s_cbranch_execnz .LBB28_7
; %bb.8:
	s_or_b64 exec, exec, s[4:5]
	v_cmp_ne_u32_e64 s[0:1], v5, v7
	v_lshl_add_u32 v0, v7, 4, v0
	s_orn2_b64 s[4:5], s[0:1], exec
.LBB28_9:
	s_or_b64 exec, exec, s[2:3]
	s_and_b64 s[2:3], s[4:5], exec
.LBB28_10:
	s_or_saveexec_b64 s[0:1], s[10:11]
	v_mov_b32_e32 v1, s24
	v_mov_b32_e32 v10, s23
	s_xor_b64 exec, exec, s[0:1]
; %bb.11:
	s_mul_i32 s4, s8, s22
	s_lshl_b32 s5, s9, 4
	v_mov_b32_e32 v1, s4
	v_mov_b32_e32 v10, s5
	s_or_b64 s[2:3], s[2:3], exec
; %bb.12:
	s_or_b64 exec, exec, s[0:1]
	s_and_b64 exec, exec, s[2:3]
	s_cbranch_execz .LBB28_15
; %bb.13:
	v_cndmask_b32_e32 v6, v6, v8, vcc
	v_mul_lo_u32 v5, v0, s9
	v_mad_u64_u32 v[6:7], s[0:1], v5, s8, v[6:7]
	v_add_u32_e32 v5, s20, v0
	v_add3_u32 v1, v5, v1, v3
	v_subrev_u32_e32 v1, s16, v1
	v_mad_u64_u32 v[4:5], s[0:1], s9, v1, v[4:5]
	v_ashrrev_i32_e32 v1, 31, v0
	v_lshlrev_b64 v[8:9], 2, v[0:1]
	v_mov_b32_e32 v1, s19
	v_add_co_u32_e32 v8, vcc, s18, v8
	s_lshl_b32 s4, s21, 4
	v_addc_co_u32_e32 v9, vcc, v1, v9, vcc
	s_mov_b64 s[2:3], 0
	v_mov_b32_e32 v1, s15
	v_mov_b32_e32 v3, s13
	;; [unrolled: 1-line block ×3, first 2 shown]
.LBB28_14:                              ; =>This Inner Loop Header: Depth=1
	v_ashrrev_i32_e32 v7, 31, v6
	global_load_dword v16, v[8:9], off
	v_lshlrev_b64 v[12:13], 2, v[6:7]
	v_add_co_u32_e32 v12, vcc, s12, v12
	v_addc_co_u32_e32 v13, vcc, v3, v13, vcc
	global_load_dword v7, v[12:13], off
	v_ashrrev_i32_e32 v5, 31, v4
	v_lshlrev_b64 v[12:13], 2, v[4:5]
	v_add_co_u32_e32 v8, vcc, 64, v8
	v_add_co_u32_e64 v14, s[0:1], s14, v12
	v_add_u32_e32 v0, 16, v0
	v_addc_co_u32_e32 v9, vcc, 0, v9, vcc
	v_addc_co_u32_e64 v15, s[0:1], v1, v13, s[0:1]
	v_cmp_le_i32_e32 vcc, s17, v0
	v_add_co_u32_e64 v12, s[0:1], s6, v12
	v_add_u32_e32 v6, s4, v6
	v_add_u32_e32 v4, v4, v10
	v_addc_co_u32_e64 v13, s[0:1], v11, v13, s[0:1]
	s_or_b64 s[2:3], vcc, s[2:3]
	s_waitcnt vmcnt(1)
	v_subrev_u32_e32 v5, s20, v16
	v_mad_u64_u32 v[16:17], s[0:1], v5, s9, v[2:3]
	global_store_dword v[14:15], v16, off
	s_waitcnt vmcnt(1)
	global_store_dword v[12:13], v7, off
	s_andn2_b64 exec, exec, s[2:3]
	s_cbranch_execnz .LBB28_14
.LBB28_15:
	s_endpgm
	.section	.rodata,"a",@progbits
	.p2align	6, 0x0
	.amdhsa_kernel _ZN9rocsparseL35gebsr2csr_block_per_row_1_32_kernelILi1024ELi32ELi2EfEEv20rocsparse_direction_ii21rocsparse_index_base_PKT2_PKiS7_iiS2_PS3_PiS9_
		.amdhsa_group_segment_fixed_size 0
		.amdhsa_private_segment_fixed_size 0
		.amdhsa_kernarg_size 80
		.amdhsa_user_sgpr_count 6
		.amdhsa_user_sgpr_private_segment_buffer 1
		.amdhsa_user_sgpr_dispatch_ptr 0
		.amdhsa_user_sgpr_queue_ptr 0
		.amdhsa_user_sgpr_kernarg_segment_ptr 1
		.amdhsa_user_sgpr_dispatch_id 0
		.amdhsa_user_sgpr_flat_scratch_init 0
		.amdhsa_user_sgpr_kernarg_preload_length 0
		.amdhsa_user_sgpr_kernarg_preload_offset 0
		.amdhsa_user_sgpr_private_segment_size 0
		.amdhsa_uses_dynamic_stack 0
		.amdhsa_system_sgpr_private_segment_wavefront_offset 0
		.amdhsa_system_sgpr_workgroup_id_x 1
		.amdhsa_system_sgpr_workgroup_id_y 0
		.amdhsa_system_sgpr_workgroup_id_z 0
		.amdhsa_system_sgpr_workgroup_info 0
		.amdhsa_system_vgpr_workitem_id 0
		.amdhsa_next_free_vgpr 36
		.amdhsa_next_free_sgpr 30
		.amdhsa_accum_offset 36
		.amdhsa_reserve_vcc 1
		.amdhsa_reserve_flat_scratch 0
		.amdhsa_float_round_mode_32 0
		.amdhsa_float_round_mode_16_64 0
		.amdhsa_float_denorm_mode_32 3
		.amdhsa_float_denorm_mode_16_64 3
		.amdhsa_dx10_clamp 1
		.amdhsa_ieee_mode 1
		.amdhsa_fp16_overflow 0
		.amdhsa_tg_split 0
		.amdhsa_exception_fp_ieee_invalid_op 0
		.amdhsa_exception_fp_denorm_src 0
		.amdhsa_exception_fp_ieee_div_zero 0
		.amdhsa_exception_fp_ieee_overflow 0
		.amdhsa_exception_fp_ieee_underflow 0
		.amdhsa_exception_fp_ieee_inexact 0
		.amdhsa_exception_int_div_zero 0
	.end_amdhsa_kernel
	.section	.text._ZN9rocsparseL35gebsr2csr_block_per_row_1_32_kernelILi1024ELi32ELi2EfEEv20rocsparse_direction_ii21rocsparse_index_base_PKT2_PKiS7_iiS2_PS3_PiS9_,"axG",@progbits,_ZN9rocsparseL35gebsr2csr_block_per_row_1_32_kernelILi1024ELi32ELi2EfEEv20rocsparse_direction_ii21rocsparse_index_base_PKT2_PKiS7_iiS2_PS3_PiS9_,comdat
.Lfunc_end28:
	.size	_ZN9rocsparseL35gebsr2csr_block_per_row_1_32_kernelILi1024ELi32ELi2EfEEv20rocsparse_direction_ii21rocsparse_index_base_PKT2_PKiS7_iiS2_PS3_PiS9_, .Lfunc_end28-_ZN9rocsparseL35gebsr2csr_block_per_row_1_32_kernelILi1024ELi32ELi2EfEEv20rocsparse_direction_ii21rocsparse_index_base_PKT2_PKiS7_iiS2_PS3_PiS9_
                                        ; -- End function
	.section	.AMDGPU.csdata,"",@progbits
; Kernel info:
; codeLenInByte = 1336
; NumSgprs: 34
; NumVgprs: 36
; NumAgprs: 0
; TotalNumVgprs: 36
; ScratchSize: 0
; MemoryBound: 0
; FloatMode: 240
; IeeeMode: 1
; LDSByteSize: 0 bytes/workgroup (compile time only)
; SGPRBlocks: 4
; VGPRBlocks: 4
; NumSGPRsForWavesPerEU: 34
; NumVGPRsForWavesPerEU: 36
; AccumOffset: 36
; Occupancy: 8
; WaveLimiterHint : 0
; COMPUTE_PGM_RSRC2:SCRATCH_EN: 0
; COMPUTE_PGM_RSRC2:USER_SGPR: 6
; COMPUTE_PGM_RSRC2:TRAP_HANDLER: 0
; COMPUTE_PGM_RSRC2:TGID_X_EN: 1
; COMPUTE_PGM_RSRC2:TGID_Y_EN: 0
; COMPUTE_PGM_RSRC2:TGID_Z_EN: 0
; COMPUTE_PGM_RSRC2:TIDIG_COMP_CNT: 0
; COMPUTE_PGM_RSRC3_GFX90A:ACCUM_OFFSET: 8
; COMPUTE_PGM_RSRC3_GFX90A:TG_SPLIT: 0
	.section	.text._ZN9rocsparseL35gebsr2csr_block_per_row_1_32_kernelILi1024ELi32ELi4EfEEv20rocsparse_direction_ii21rocsparse_index_base_PKT2_PKiS7_iiS2_PS3_PiS9_,"axG",@progbits,_ZN9rocsparseL35gebsr2csr_block_per_row_1_32_kernelILi1024ELi32ELi4EfEEv20rocsparse_direction_ii21rocsparse_index_base_PKT2_PKiS7_iiS2_PS3_PiS9_,comdat
	.globl	_ZN9rocsparseL35gebsr2csr_block_per_row_1_32_kernelILi1024ELi32ELi4EfEEv20rocsparse_direction_ii21rocsparse_index_base_PKT2_PKiS7_iiS2_PS3_PiS9_ ; -- Begin function _ZN9rocsparseL35gebsr2csr_block_per_row_1_32_kernelILi1024ELi32ELi4EfEEv20rocsparse_direction_ii21rocsparse_index_base_PKT2_PKiS7_iiS2_PS3_PiS9_
	.p2align	8
	.type	_ZN9rocsparseL35gebsr2csr_block_per_row_1_32_kernelILi1024ELi32ELi4EfEEv20rocsparse_direction_ii21rocsparse_index_base_PKT2_PKiS7_iiS2_PS3_PiS9_,@function
_ZN9rocsparseL35gebsr2csr_block_per_row_1_32_kernelILi1024ELi32ELi4EfEEv20rocsparse_direction_ii21rocsparse_index_base_PKT2_PKiS7_iiS2_PS3_PiS9_: ; @_ZN9rocsparseL35gebsr2csr_block_per_row_1_32_kernelILi1024ELi32ELi4EfEEv20rocsparse_direction_ii21rocsparse_index_base_PKT2_PKiS7_iiS2_PS3_PiS9_
; %bb.0:
	s_load_dwordx2 s[0:1], s[4:5], 0x18
	s_load_dwordx4 s[8:11], s[4:5], 0x28
	s_load_dwordx2 s[2:3], s[4:5], 0x40
	s_ashr_i32 s7, s6, 31
	s_lshl_b64 s[12:13], s[6:7], 2
	s_waitcnt lgkmcnt(0)
	s_add_u32 s12, s0, s12
	v_or_b32_e32 v1, s6, v0
	s_addc_u32 s13, s1, s13
	v_cmp_eq_u32_e32 vcc, 0, v1
	s_and_saveexec_b64 s[0:1], vcc
	s_cbranch_execz .LBB29_2
; %bb.1:
	v_mov_b32_e32 v1, 0
	v_mov_b32_e32 v2, s10
	global_store_dword v1, v2, s[2:3]
.LBB29_2:
	s_or_b64 exec, exec, s[0:1]
	v_and_b32_e32 v4, 3, v0
	v_bfe_u32 v10, v0, 2, 5
	v_cmp_gt_i32_e32 vcc, s8, v10
	v_cmp_gt_i32_e64 s[0:1], s9, v4
	s_and_b64 s[0:1], vcc, s[0:1]
	s_and_saveexec_b64 s[14:15], s[0:1]
	s_cbranch_execz .LBB29_15
; %bb.3:
	s_load_dwordx2 s[16:17], s[12:13], 0x0
	s_load_dword s20, s[4:5], 0xc
	s_mul_i32 s21, s9, s8
	v_lshrrev_b32_e32 v5, 7, v0
	v_mov_b32_e32 v6, s3
	s_waitcnt lgkmcnt(0)
	s_sub_i32 s22, s16, s20
	s_sub_i32 s17, s17, s20
	;; [unrolled: 1-line block ×3, first 2 shown]
	s_mul_i32 s1, s25, s9
	s_mul_i32 s0, s22, s21
	v_mul_lo_u32 v0, s1, v10
	v_add_u32_e32 v1, s0, v0
	s_mul_i32 s0, s6, s8
	v_add_u32_e32 v2, s0, v10
	v_ashrrev_i32_e32 v3, 31, v2
	v_lshlrev_b64 v[2:3], 2, v[2:3]
	s_add_i32 s1, s1, s10
	v_add_co_u32_e32 v2, vcc, s2, v2
	v_add_u32_e32 v0, s1, v1
	v_addc_co_u32_e32 v3, vcc, v6, v3, vcc
	global_store_dword v[2:3], v0, off offset:4
	v_add_u32_e32 v0, s22, v5
	v_cmp_gt_i32_e32 vcc, s17, v0
	s_and_b64 exec, exec, vcc
	s_cbranch_execz .LBB29_15
; %bb.4:
	s_load_dwordx2 s[18:19], s[4:5], 0x20
	s_load_dwordx2 s[6:7], s[4:5], 0x38
	s_load_dword s0, s[4:5], 0x0
	s_load_dwordx2 s[12:13], s[4:5], 0x10
	s_load_dwordx2 s[14:15], s[4:5], 0x48
	v_add_u32_e32 v3, s16, v5
	v_subrev_u32_e32 v3, s20, v3
	s_waitcnt lgkmcnt(0)
	s_cmp_eq_u32 s0, 0
	v_mad_u64_u32 v[6:7], s[0:1], v4, s8, v[10:11]
	v_mad_u64_u32 v[8:9], s[0:1], v10, s9, v[4:5]
	s_cselect_b64 vcc, -1, 0
	v_add_u32_e32 v3, 8, v3
	s_not_b32 s0, s16
	v_max_i32_e32 v3, s17, v3
	s_add_i32 s0, s0, s20
	v_add_u32_e32 v3, s0, v3
	v_sub_u32_e32 v7, v3, v5
	s_movk_i32 s0, 0x87
	v_add_u32_e32 v2, s10, v4
	v_cmp_lt_u32_e64 s[0:1], s0, v7
	s_mov_b64 s[2:3], 0
	v_mul_lo_u32 v3, s25, v10
                                        ; implicit-def: $sgpr24
                                        ; implicit-def: $sgpr23
	s_and_saveexec_b64 s[4:5], s[0:1]
	s_xor_b64 s[10:11], exec, s[4:5]
	s_cbranch_execz .LBB29_10
; %bb.5:
	s_lshl_b32 s23, s9, 3
	s_mul_i32 s24, s22, s8
	v_mul_lo_u32 v3, s25, v10
	s_sub_i32 s4, 0, s23
	v_add3_u32 v5, v5, s24, v3
	v_mad_u64_u32 v[10:11], s[0:1], v5, s9, v[4:5]
	s_cmp_lt_i32 s23, 0
	s_cselect_b64 s[0:1], -1, 0
	s_and_b64 s[2:3], s[0:1], exec
	v_lshrrev_b32_e32 v7, 3, v7
	s_cselect_b32 s4, s4, s23
	v_mul_hi_u32 v5, s4, v7
	v_cmp_eq_u32_e64 s[2:3], 0, v5
	v_mul_lo_u32 v5, s4, v7
	v_add_u32_e32 v9, v10, v5
	v_sub_u32_e32 v5, v10, v5
	v_cmp_gt_i32_e64 s[4:5], v5, v10
	v_cndmask_b32_e64 v5, 0, 1, s[4:5]
	v_cmp_lt_i32_e64 s[4:5], v9, v10
	v_cndmask_b32_e64 v9, 0, 1, s[4:5]
	v_cndmask_b32_e64 v5, v9, v5, s[0:1]
	v_and_b32_e32 v5, 1, v5
	v_cmp_eq_u32_e64 s[0:1], 1, v5
	s_xor_b64 s[0:1], s[0:1], -1
	s_mov_b64 s[4:5], -1
	s_and_b64 s[0:1], s[0:1], s[2:3]
	s_and_saveexec_b64 s[2:3], s[0:1]
	s_cbranch_execz .LBB29_9
; %bb.6:
	v_add_u32_e32 v5, 1, v7
	v_add_u32_e32 v10, v1, v4
	v_and_b32_e32 v7, 0x3ffffffe, v5
	v_add_u32_e32 v1, 8, v0
	v_cndmask_b32_e32 v12, v6, v8, vcc
	s_mov_b32 s25, s20
	s_mov_b32 s26, s22
	s_mov_b32 s27, s9
	s_mov_b32 s28, s9
	s_mov_b32 s29, s21
	s_mov_b64 s[4:5], 0
	v_mov_b32_e32 v9, s19
	v_mov_b32_e32 v14, v10
	v_mov_b32_e32 v16, v2
	v_mov_b32_e32 v11, s15
	v_mov_b32_e32 v18, v12
	v_mov_b32_e32 v13, s13
	v_mov_b32_e32 v15, s7
	v_mov_b32_e32 v17, v7
	v_pk_mov_b32 v[20:21], v[0:1], v[0:1] op_sel:[0,1]
.LBB29_7:                               ; =>This Inner Loop Header: Depth=1
	v_ashrrev_i32_e32 v25, 31, v20
	v_mov_b32_e32 v24, v20
	v_mad_u64_u32 v[26:27], s[0:1], v20, s21, v[12:13]
	v_mad_u64_u32 v[28:29], s[0:1], v21, s29, v[18:19]
	v_lshlrev_b64 v[24:25], 2, v[24:25]
	v_ashrrev_i32_e32 v23, 31, v21
	v_mov_b32_e32 v22, v21
	v_add_co_u32_e64 v24, s[0:1], s18, v24
	v_lshlrev_b64 v[22:23], 2, v[22:23]
	v_addc_co_u32_e64 v25, s[0:1], v9, v25, s[0:1]
	v_ashrrev_i32_e32 v27, 31, v26
	v_add_co_u32_e64 v22, s[0:1], s18, v22
	v_addc_co_u32_e64 v23, s[0:1], v9, v23, s[0:1]
	v_lshlrev_b64 v[26:27], 2, v[26:27]
	v_ashrrev_i32_e32 v29, 31, v28
	global_load_dword v1, v[24:25], off
	global_load_dword v19, v[22:23], off
	v_add_co_u32_e64 v22, s[0:1], s12, v26
	v_lshlrev_b64 v[28:29], 2, v[28:29]
	v_addc_co_u32_e64 v23, s[0:1], v13, v27, s[0:1]
	v_add_co_u32_e64 v24, s[0:1], s12, v28
	v_addc_co_u32_e64 v25, s[0:1], v13, v29, s[0:1]
	global_load_dword v34, v[22:23], off
	global_load_dword v35, v[24:25], off
	v_subrev_u32_e32 v22, s22, v20
	v_subrev_u32_e32 v24, s26, v21
	v_mad_u64_u32 v[22:23], s[0:1], v22, s27, v[10:11]
	v_add_u32_e32 v17, -2, v17
	v_mad_u64_u32 v[24:25], s[0:1], v24, s28, v[14:15]
	v_ashrrev_i32_e32 v23, 31, v22
	v_cmp_eq_u32_e64 s[0:1], 0, v17
	v_lshlrev_b64 v[22:23], 2, v[22:23]
	v_ashrrev_i32_e32 v25, 31, v24
	s_or_b64 s[4:5], s[0:1], s[4:5]
	v_add_co_u32_e64 v26, s[0:1], s14, v22
	v_lshlrev_b64 v[24:25], 2, v[24:25]
	v_addc_co_u32_e64 v27, s[0:1], v11, v23, s[0:1]
	v_add_co_u32_e64 v28, s[0:1], s14, v24
	v_addc_co_u32_e64 v29, s[0:1], v11, v25, s[0:1]
	v_add_co_u32_e64 v22, s[0:1], s6, v22
	v_addc_co_u32_e64 v23, s[0:1], v15, v23, s[0:1]
	v_add_u32_e32 v21, 16, v21
	v_add_u32_e32 v20, 16, v20
	v_add_co_u32_e64 v24, s[0:1], s6, v24
	v_addc_co_u32_e64 v25, s[0:1], v15, v25, s[0:1]
	s_waitcnt vmcnt(3)
	v_subrev_u32_e32 v1, s20, v1
	s_waitcnt vmcnt(2)
	v_subrev_u32_e32 v19, s25, v19
	v_mad_u64_u32 v[30:31], s[0:1], v19, s28, v[16:17]
	v_mad_u64_u32 v[32:33], s[0:1], v1, s27, v[2:3]
	s_waitcnt vmcnt(1)
	global_store_dword v[22:23], v34, off
	s_waitcnt vmcnt(1)
	global_store_dword v[24:25], v35, off
	global_store_dword v[26:27], v32, off
	;; [unrolled: 1-line block ×3, first 2 shown]
	s_andn2_b64 exec, exec, s[4:5]
	s_cbranch_execnz .LBB29_7
; %bb.8:
	s_or_b64 exec, exec, s[4:5]
	v_cmp_ne_u32_e64 s[0:1], v5, v7
	v_lshl_add_u32 v0, v7, 3, v0
	s_orn2_b64 s[4:5], s[0:1], exec
.LBB29_9:
	s_or_b64 exec, exec, s[2:3]
	s_and_b64 s[2:3], s[4:5], exec
.LBB29_10:
	s_or_saveexec_b64 s[0:1], s[10:11]
	v_mov_b32_e32 v1, s24
	v_mov_b32_e32 v10, s23
	s_xor_b64 exec, exec, s[0:1]
; %bb.11:
	s_mul_i32 s4, s8, s22
	s_lshl_b32 s5, s9, 3
	v_mov_b32_e32 v1, s4
	v_mov_b32_e32 v10, s5
	s_or_b64 s[2:3], s[2:3], exec
; %bb.12:
	s_or_b64 exec, exec, s[0:1]
	s_and_b64 exec, exec, s[2:3]
	s_cbranch_execz .LBB29_15
; %bb.13:
	v_cndmask_b32_e32 v6, v6, v8, vcc
	v_mul_lo_u32 v5, v0, s9
	v_mad_u64_u32 v[6:7], s[0:1], v5, s8, v[6:7]
	v_add_u32_e32 v5, s20, v0
	v_add3_u32 v1, v5, v1, v3
	v_subrev_u32_e32 v1, s16, v1
	v_mad_u64_u32 v[4:5], s[0:1], s9, v1, v[4:5]
	v_ashrrev_i32_e32 v1, 31, v0
	v_lshlrev_b64 v[8:9], 2, v[0:1]
	v_mov_b32_e32 v1, s19
	v_add_co_u32_e32 v8, vcc, s18, v8
	s_lshl_b32 s4, s21, 3
	v_addc_co_u32_e32 v9, vcc, v1, v9, vcc
	s_mov_b64 s[2:3], 0
	v_mov_b32_e32 v1, s15
	v_mov_b32_e32 v3, s13
	;; [unrolled: 1-line block ×3, first 2 shown]
.LBB29_14:                              ; =>This Inner Loop Header: Depth=1
	v_ashrrev_i32_e32 v7, 31, v6
	global_load_dword v16, v[8:9], off
	v_lshlrev_b64 v[12:13], 2, v[6:7]
	v_add_co_u32_e32 v12, vcc, s12, v12
	v_addc_co_u32_e32 v13, vcc, v3, v13, vcc
	global_load_dword v7, v[12:13], off
	v_ashrrev_i32_e32 v5, 31, v4
	v_lshlrev_b64 v[12:13], 2, v[4:5]
	v_add_co_u32_e32 v8, vcc, 32, v8
	v_add_co_u32_e64 v14, s[0:1], s14, v12
	v_add_u32_e32 v0, 8, v0
	v_addc_co_u32_e32 v9, vcc, 0, v9, vcc
	v_addc_co_u32_e64 v15, s[0:1], v1, v13, s[0:1]
	v_cmp_le_i32_e32 vcc, s17, v0
	v_add_co_u32_e64 v12, s[0:1], s6, v12
	v_add_u32_e32 v6, s4, v6
	v_add_u32_e32 v4, v4, v10
	v_addc_co_u32_e64 v13, s[0:1], v11, v13, s[0:1]
	s_or_b64 s[2:3], vcc, s[2:3]
	s_waitcnt vmcnt(1)
	v_subrev_u32_e32 v5, s20, v16
	v_mad_u64_u32 v[16:17], s[0:1], v5, s9, v[2:3]
	global_store_dword v[14:15], v16, off
	s_waitcnt vmcnt(1)
	global_store_dword v[12:13], v7, off
	s_andn2_b64 exec, exec, s[2:3]
	s_cbranch_execnz .LBB29_14
.LBB29_15:
	s_endpgm
	.section	.rodata,"a",@progbits
	.p2align	6, 0x0
	.amdhsa_kernel _ZN9rocsparseL35gebsr2csr_block_per_row_1_32_kernelILi1024ELi32ELi4EfEEv20rocsparse_direction_ii21rocsparse_index_base_PKT2_PKiS7_iiS2_PS3_PiS9_
		.amdhsa_group_segment_fixed_size 0
		.amdhsa_private_segment_fixed_size 0
		.amdhsa_kernarg_size 80
		.amdhsa_user_sgpr_count 6
		.amdhsa_user_sgpr_private_segment_buffer 1
		.amdhsa_user_sgpr_dispatch_ptr 0
		.amdhsa_user_sgpr_queue_ptr 0
		.amdhsa_user_sgpr_kernarg_segment_ptr 1
		.amdhsa_user_sgpr_dispatch_id 0
		.amdhsa_user_sgpr_flat_scratch_init 0
		.amdhsa_user_sgpr_kernarg_preload_length 0
		.amdhsa_user_sgpr_kernarg_preload_offset 0
		.amdhsa_user_sgpr_private_segment_size 0
		.amdhsa_uses_dynamic_stack 0
		.amdhsa_system_sgpr_private_segment_wavefront_offset 0
		.amdhsa_system_sgpr_workgroup_id_x 1
		.amdhsa_system_sgpr_workgroup_id_y 0
		.amdhsa_system_sgpr_workgroup_id_z 0
		.amdhsa_system_sgpr_workgroup_info 0
		.amdhsa_system_vgpr_workitem_id 0
		.amdhsa_next_free_vgpr 36
		.amdhsa_next_free_sgpr 30
		.amdhsa_accum_offset 36
		.amdhsa_reserve_vcc 1
		.amdhsa_reserve_flat_scratch 0
		.amdhsa_float_round_mode_32 0
		.amdhsa_float_round_mode_16_64 0
		.amdhsa_float_denorm_mode_32 3
		.amdhsa_float_denorm_mode_16_64 3
		.amdhsa_dx10_clamp 1
		.amdhsa_ieee_mode 1
		.amdhsa_fp16_overflow 0
		.amdhsa_tg_split 0
		.amdhsa_exception_fp_ieee_invalid_op 0
		.amdhsa_exception_fp_denorm_src 0
		.amdhsa_exception_fp_ieee_div_zero 0
		.amdhsa_exception_fp_ieee_overflow 0
		.amdhsa_exception_fp_ieee_underflow 0
		.amdhsa_exception_fp_ieee_inexact 0
		.amdhsa_exception_int_div_zero 0
	.end_amdhsa_kernel
	.section	.text._ZN9rocsparseL35gebsr2csr_block_per_row_1_32_kernelILi1024ELi32ELi4EfEEv20rocsparse_direction_ii21rocsparse_index_base_PKT2_PKiS7_iiS2_PS3_PiS9_,"axG",@progbits,_ZN9rocsparseL35gebsr2csr_block_per_row_1_32_kernelILi1024ELi32ELi4EfEEv20rocsparse_direction_ii21rocsparse_index_base_PKT2_PKiS7_iiS2_PS3_PiS9_,comdat
.Lfunc_end29:
	.size	_ZN9rocsparseL35gebsr2csr_block_per_row_1_32_kernelILi1024ELi32ELi4EfEEv20rocsparse_direction_ii21rocsparse_index_base_PKT2_PKiS7_iiS2_PS3_PiS9_, .Lfunc_end29-_ZN9rocsparseL35gebsr2csr_block_per_row_1_32_kernelILi1024ELi32ELi4EfEEv20rocsparse_direction_ii21rocsparse_index_base_PKT2_PKiS7_iiS2_PS3_PiS9_
                                        ; -- End function
	.section	.AMDGPU.csdata,"",@progbits
; Kernel info:
; codeLenInByte = 1336
; NumSgprs: 34
; NumVgprs: 36
; NumAgprs: 0
; TotalNumVgprs: 36
; ScratchSize: 0
; MemoryBound: 0
; FloatMode: 240
; IeeeMode: 1
; LDSByteSize: 0 bytes/workgroup (compile time only)
; SGPRBlocks: 4
; VGPRBlocks: 4
; NumSGPRsForWavesPerEU: 34
; NumVGPRsForWavesPerEU: 36
; AccumOffset: 36
; Occupancy: 8
; WaveLimiterHint : 0
; COMPUTE_PGM_RSRC2:SCRATCH_EN: 0
; COMPUTE_PGM_RSRC2:USER_SGPR: 6
; COMPUTE_PGM_RSRC2:TRAP_HANDLER: 0
; COMPUTE_PGM_RSRC2:TGID_X_EN: 1
; COMPUTE_PGM_RSRC2:TGID_Y_EN: 0
; COMPUTE_PGM_RSRC2:TGID_Z_EN: 0
; COMPUTE_PGM_RSRC2:TIDIG_COMP_CNT: 0
; COMPUTE_PGM_RSRC3_GFX90A:ACCUM_OFFSET: 8
; COMPUTE_PGM_RSRC3_GFX90A:TG_SPLIT: 0
	.section	.text._ZN9rocsparseL35gebsr2csr_block_per_row_1_32_kernelILi1024ELi32ELi8EfEEv20rocsparse_direction_ii21rocsparse_index_base_PKT2_PKiS7_iiS2_PS3_PiS9_,"axG",@progbits,_ZN9rocsparseL35gebsr2csr_block_per_row_1_32_kernelILi1024ELi32ELi8EfEEv20rocsparse_direction_ii21rocsparse_index_base_PKT2_PKiS7_iiS2_PS3_PiS9_,comdat
	.globl	_ZN9rocsparseL35gebsr2csr_block_per_row_1_32_kernelILi1024ELi32ELi8EfEEv20rocsparse_direction_ii21rocsparse_index_base_PKT2_PKiS7_iiS2_PS3_PiS9_ ; -- Begin function _ZN9rocsparseL35gebsr2csr_block_per_row_1_32_kernelILi1024ELi32ELi8EfEEv20rocsparse_direction_ii21rocsparse_index_base_PKT2_PKiS7_iiS2_PS3_PiS9_
	.p2align	8
	.type	_ZN9rocsparseL35gebsr2csr_block_per_row_1_32_kernelILi1024ELi32ELi8EfEEv20rocsparse_direction_ii21rocsparse_index_base_PKT2_PKiS7_iiS2_PS3_PiS9_,@function
_ZN9rocsparseL35gebsr2csr_block_per_row_1_32_kernelILi1024ELi32ELi8EfEEv20rocsparse_direction_ii21rocsparse_index_base_PKT2_PKiS7_iiS2_PS3_PiS9_: ; @_ZN9rocsparseL35gebsr2csr_block_per_row_1_32_kernelILi1024ELi32ELi8EfEEv20rocsparse_direction_ii21rocsparse_index_base_PKT2_PKiS7_iiS2_PS3_PiS9_
; %bb.0:
	s_load_dwordx2 s[0:1], s[4:5], 0x18
	s_load_dwordx4 s[8:11], s[4:5], 0x28
	s_load_dwordx2 s[2:3], s[4:5], 0x40
	s_ashr_i32 s7, s6, 31
	s_lshl_b64 s[12:13], s[6:7], 2
	s_waitcnt lgkmcnt(0)
	s_add_u32 s12, s0, s12
	v_or_b32_e32 v1, s6, v0
	s_addc_u32 s13, s1, s13
	v_cmp_eq_u32_e32 vcc, 0, v1
	s_and_saveexec_b64 s[0:1], vcc
	s_cbranch_execz .LBB30_2
; %bb.1:
	v_mov_b32_e32 v1, 0
	v_mov_b32_e32 v2, s10
	global_store_dword v1, v2, s[2:3]
.LBB30_2:
	s_or_b64 exec, exec, s[0:1]
	v_and_b32_e32 v4, 7, v0
	v_bfe_u32 v10, v0, 3, 5
	v_cmp_gt_i32_e32 vcc, s8, v10
	v_cmp_gt_i32_e64 s[0:1], s9, v4
	s_and_b64 s[0:1], vcc, s[0:1]
	s_and_saveexec_b64 s[14:15], s[0:1]
	s_cbranch_execz .LBB30_15
; %bb.3:
	s_load_dwordx2 s[16:17], s[12:13], 0x0
	s_load_dword s20, s[4:5], 0xc
	s_mul_i32 s21, s9, s8
	v_lshrrev_b32_e32 v5, 8, v0
	v_mov_b32_e32 v6, s3
	s_waitcnt lgkmcnt(0)
	s_sub_i32 s22, s16, s20
	s_sub_i32 s17, s17, s20
	;; [unrolled: 1-line block ×3, first 2 shown]
	s_mul_i32 s1, s25, s9
	s_mul_i32 s0, s22, s21
	v_mul_lo_u32 v0, s1, v10
	v_add_u32_e32 v1, s0, v0
	s_mul_i32 s0, s6, s8
	v_add_u32_e32 v2, s0, v10
	v_ashrrev_i32_e32 v3, 31, v2
	v_lshlrev_b64 v[2:3], 2, v[2:3]
	s_add_i32 s1, s1, s10
	v_add_co_u32_e32 v2, vcc, s2, v2
	v_add_u32_e32 v0, s1, v1
	v_addc_co_u32_e32 v3, vcc, v6, v3, vcc
	global_store_dword v[2:3], v0, off offset:4
	v_add_u32_e32 v0, s22, v5
	v_cmp_gt_i32_e32 vcc, s17, v0
	s_and_b64 exec, exec, vcc
	s_cbranch_execz .LBB30_15
; %bb.4:
	s_load_dwordx2 s[18:19], s[4:5], 0x20
	s_load_dwordx2 s[6:7], s[4:5], 0x38
	s_load_dword s0, s[4:5], 0x0
	s_load_dwordx2 s[12:13], s[4:5], 0x10
	s_load_dwordx2 s[14:15], s[4:5], 0x48
	v_add_u32_e32 v3, s16, v5
	v_subrev_u32_e32 v3, s20, v3
	s_waitcnt lgkmcnt(0)
	s_cmp_eq_u32 s0, 0
	v_mad_u64_u32 v[6:7], s[0:1], v4, s8, v[10:11]
	v_mad_u64_u32 v[8:9], s[0:1], v10, s9, v[4:5]
	s_cselect_b64 vcc, -1, 0
	v_add_u32_e32 v3, 4, v3
	s_not_b32 s0, s16
	v_max_i32_e32 v3, s17, v3
	s_add_i32 s0, s0, s20
	v_add_u32_e32 v3, s0, v3
	v_sub_u32_e32 v7, v3, v5
	s_movk_i32 s0, 0x43
	v_add_u32_e32 v2, s10, v4
	v_cmp_lt_u32_e64 s[0:1], s0, v7
	s_mov_b64 s[2:3], 0
	v_mul_lo_u32 v3, s25, v10
                                        ; implicit-def: $sgpr24
                                        ; implicit-def: $sgpr23
	s_and_saveexec_b64 s[4:5], s[0:1]
	s_xor_b64 s[10:11], exec, s[4:5]
	s_cbranch_execz .LBB30_10
; %bb.5:
	s_lshl_b32 s23, s9, 2
	s_mul_i32 s24, s22, s8
	v_mul_lo_u32 v3, s25, v10
	s_sub_i32 s4, 0, s23
	v_add3_u32 v5, v5, s24, v3
	v_mad_u64_u32 v[10:11], s[0:1], v5, s9, v[4:5]
	s_cmp_lt_i32 s23, 0
	s_cselect_b64 s[0:1], -1, 0
	s_and_b64 s[2:3], s[0:1], exec
	v_lshrrev_b32_e32 v7, 2, v7
	s_cselect_b32 s4, s4, s23
	v_mul_hi_u32 v5, s4, v7
	v_cmp_eq_u32_e64 s[2:3], 0, v5
	v_mul_lo_u32 v5, s4, v7
	v_add_u32_e32 v9, v10, v5
	v_sub_u32_e32 v5, v10, v5
	v_cmp_gt_i32_e64 s[4:5], v5, v10
	v_cndmask_b32_e64 v5, 0, 1, s[4:5]
	v_cmp_lt_i32_e64 s[4:5], v9, v10
	v_cndmask_b32_e64 v9, 0, 1, s[4:5]
	v_cndmask_b32_e64 v5, v9, v5, s[0:1]
	v_and_b32_e32 v5, 1, v5
	v_cmp_eq_u32_e64 s[0:1], 1, v5
	s_xor_b64 s[0:1], s[0:1], -1
	s_mov_b64 s[4:5], -1
	s_and_b64 s[0:1], s[0:1], s[2:3]
	s_and_saveexec_b64 s[2:3], s[0:1]
	s_cbranch_execz .LBB30_9
; %bb.6:
	v_add_u32_e32 v5, 1, v7
	v_add_u32_e32 v10, v1, v4
	v_and_b32_e32 v7, 0x7ffffffe, v5
	v_add_u32_e32 v1, 4, v0
	v_cndmask_b32_e32 v12, v6, v8, vcc
	s_mov_b32 s25, s20
	s_mov_b32 s26, s22
	;; [unrolled: 1-line block ×5, first 2 shown]
	s_mov_b64 s[4:5], 0
	v_mov_b32_e32 v9, s19
	v_mov_b32_e32 v14, v10
	;; [unrolled: 1-line block ×8, first 2 shown]
	v_pk_mov_b32 v[20:21], v[0:1], v[0:1] op_sel:[0,1]
.LBB30_7:                               ; =>This Inner Loop Header: Depth=1
	v_ashrrev_i32_e32 v25, 31, v20
	v_mov_b32_e32 v24, v20
	v_mad_u64_u32 v[26:27], s[0:1], v20, s21, v[12:13]
	v_mad_u64_u32 v[28:29], s[0:1], v21, s29, v[18:19]
	v_lshlrev_b64 v[24:25], 2, v[24:25]
	v_ashrrev_i32_e32 v23, 31, v21
	v_mov_b32_e32 v22, v21
	v_add_co_u32_e64 v24, s[0:1], s18, v24
	v_lshlrev_b64 v[22:23], 2, v[22:23]
	v_addc_co_u32_e64 v25, s[0:1], v9, v25, s[0:1]
	v_ashrrev_i32_e32 v27, 31, v26
	v_add_co_u32_e64 v22, s[0:1], s18, v22
	v_addc_co_u32_e64 v23, s[0:1], v9, v23, s[0:1]
	v_lshlrev_b64 v[26:27], 2, v[26:27]
	v_ashrrev_i32_e32 v29, 31, v28
	global_load_dword v1, v[24:25], off
	global_load_dword v19, v[22:23], off
	v_add_co_u32_e64 v22, s[0:1], s12, v26
	v_lshlrev_b64 v[28:29], 2, v[28:29]
	v_addc_co_u32_e64 v23, s[0:1], v13, v27, s[0:1]
	v_add_co_u32_e64 v24, s[0:1], s12, v28
	v_addc_co_u32_e64 v25, s[0:1], v13, v29, s[0:1]
	global_load_dword v34, v[22:23], off
	global_load_dword v35, v[24:25], off
	v_subrev_u32_e32 v22, s22, v20
	v_subrev_u32_e32 v24, s26, v21
	v_mad_u64_u32 v[22:23], s[0:1], v22, s27, v[10:11]
	v_add_u32_e32 v17, -2, v17
	v_mad_u64_u32 v[24:25], s[0:1], v24, s28, v[14:15]
	v_ashrrev_i32_e32 v23, 31, v22
	v_cmp_eq_u32_e64 s[0:1], 0, v17
	v_lshlrev_b64 v[22:23], 2, v[22:23]
	v_ashrrev_i32_e32 v25, 31, v24
	s_or_b64 s[4:5], s[0:1], s[4:5]
	v_add_co_u32_e64 v26, s[0:1], s14, v22
	v_lshlrev_b64 v[24:25], 2, v[24:25]
	v_addc_co_u32_e64 v27, s[0:1], v11, v23, s[0:1]
	v_add_co_u32_e64 v28, s[0:1], s14, v24
	v_addc_co_u32_e64 v29, s[0:1], v11, v25, s[0:1]
	v_add_co_u32_e64 v22, s[0:1], s6, v22
	v_addc_co_u32_e64 v23, s[0:1], v15, v23, s[0:1]
	v_add_u32_e32 v21, 8, v21
	v_add_u32_e32 v20, 8, v20
	v_add_co_u32_e64 v24, s[0:1], s6, v24
	v_addc_co_u32_e64 v25, s[0:1], v15, v25, s[0:1]
	s_waitcnt vmcnt(3)
	v_subrev_u32_e32 v1, s20, v1
	s_waitcnt vmcnt(2)
	v_subrev_u32_e32 v19, s25, v19
	v_mad_u64_u32 v[30:31], s[0:1], v19, s28, v[16:17]
	v_mad_u64_u32 v[32:33], s[0:1], v1, s27, v[2:3]
	s_waitcnt vmcnt(1)
	global_store_dword v[22:23], v34, off
	s_waitcnt vmcnt(1)
	global_store_dword v[24:25], v35, off
	global_store_dword v[26:27], v32, off
	;; [unrolled: 1-line block ×3, first 2 shown]
	s_andn2_b64 exec, exec, s[4:5]
	s_cbranch_execnz .LBB30_7
; %bb.8:
	s_or_b64 exec, exec, s[4:5]
	v_cmp_ne_u32_e64 s[0:1], v5, v7
	v_lshl_add_u32 v0, v7, 2, v0
	s_orn2_b64 s[4:5], s[0:1], exec
.LBB30_9:
	s_or_b64 exec, exec, s[2:3]
	s_and_b64 s[2:3], s[4:5], exec
.LBB30_10:
	s_or_saveexec_b64 s[0:1], s[10:11]
	v_mov_b32_e32 v1, s24
	v_mov_b32_e32 v10, s23
	s_xor_b64 exec, exec, s[0:1]
; %bb.11:
	s_mul_i32 s4, s8, s22
	s_lshl_b32 s5, s9, 2
	v_mov_b32_e32 v1, s4
	v_mov_b32_e32 v10, s5
	s_or_b64 s[2:3], s[2:3], exec
; %bb.12:
	s_or_b64 exec, exec, s[0:1]
	s_and_b64 exec, exec, s[2:3]
	s_cbranch_execz .LBB30_15
; %bb.13:
	v_cndmask_b32_e32 v6, v6, v8, vcc
	v_mul_lo_u32 v5, v0, s9
	v_mad_u64_u32 v[6:7], s[0:1], v5, s8, v[6:7]
	v_add_u32_e32 v5, s20, v0
	v_add3_u32 v1, v5, v1, v3
	v_subrev_u32_e32 v1, s16, v1
	v_mad_u64_u32 v[4:5], s[0:1], s9, v1, v[4:5]
	v_ashrrev_i32_e32 v1, 31, v0
	v_lshlrev_b64 v[8:9], 2, v[0:1]
	v_mov_b32_e32 v1, s19
	v_add_co_u32_e32 v8, vcc, s18, v8
	s_lshl_b32 s4, s21, 2
	v_addc_co_u32_e32 v9, vcc, v1, v9, vcc
	s_mov_b64 s[2:3], 0
	v_mov_b32_e32 v1, s15
	v_mov_b32_e32 v3, s13
	;; [unrolled: 1-line block ×3, first 2 shown]
.LBB30_14:                              ; =>This Inner Loop Header: Depth=1
	v_ashrrev_i32_e32 v7, 31, v6
	global_load_dword v16, v[8:9], off
	v_lshlrev_b64 v[12:13], 2, v[6:7]
	v_add_co_u32_e32 v12, vcc, s12, v12
	v_addc_co_u32_e32 v13, vcc, v3, v13, vcc
	global_load_dword v7, v[12:13], off
	v_ashrrev_i32_e32 v5, 31, v4
	v_lshlrev_b64 v[12:13], 2, v[4:5]
	v_add_co_u32_e32 v8, vcc, 16, v8
	v_add_co_u32_e64 v14, s[0:1], s14, v12
	v_add_u32_e32 v0, 4, v0
	v_addc_co_u32_e32 v9, vcc, 0, v9, vcc
	v_addc_co_u32_e64 v15, s[0:1], v1, v13, s[0:1]
	v_cmp_le_i32_e32 vcc, s17, v0
	v_add_co_u32_e64 v12, s[0:1], s6, v12
	v_add_u32_e32 v6, s4, v6
	v_add_u32_e32 v4, v4, v10
	v_addc_co_u32_e64 v13, s[0:1], v11, v13, s[0:1]
	s_or_b64 s[2:3], vcc, s[2:3]
	s_waitcnt vmcnt(1)
	v_subrev_u32_e32 v5, s20, v16
	v_mad_u64_u32 v[16:17], s[0:1], v5, s9, v[2:3]
	global_store_dword v[14:15], v16, off
	s_waitcnt vmcnt(1)
	global_store_dword v[12:13], v7, off
	s_andn2_b64 exec, exec, s[2:3]
	s_cbranch_execnz .LBB30_14
.LBB30_15:
	s_endpgm
	.section	.rodata,"a",@progbits
	.p2align	6, 0x0
	.amdhsa_kernel _ZN9rocsparseL35gebsr2csr_block_per_row_1_32_kernelILi1024ELi32ELi8EfEEv20rocsparse_direction_ii21rocsparse_index_base_PKT2_PKiS7_iiS2_PS3_PiS9_
		.amdhsa_group_segment_fixed_size 0
		.amdhsa_private_segment_fixed_size 0
		.amdhsa_kernarg_size 80
		.amdhsa_user_sgpr_count 6
		.amdhsa_user_sgpr_private_segment_buffer 1
		.amdhsa_user_sgpr_dispatch_ptr 0
		.amdhsa_user_sgpr_queue_ptr 0
		.amdhsa_user_sgpr_kernarg_segment_ptr 1
		.amdhsa_user_sgpr_dispatch_id 0
		.amdhsa_user_sgpr_flat_scratch_init 0
		.amdhsa_user_sgpr_kernarg_preload_length 0
		.amdhsa_user_sgpr_kernarg_preload_offset 0
		.amdhsa_user_sgpr_private_segment_size 0
		.amdhsa_uses_dynamic_stack 0
		.amdhsa_system_sgpr_private_segment_wavefront_offset 0
		.amdhsa_system_sgpr_workgroup_id_x 1
		.amdhsa_system_sgpr_workgroup_id_y 0
		.amdhsa_system_sgpr_workgroup_id_z 0
		.amdhsa_system_sgpr_workgroup_info 0
		.amdhsa_system_vgpr_workitem_id 0
		.amdhsa_next_free_vgpr 36
		.amdhsa_next_free_sgpr 30
		.amdhsa_accum_offset 36
		.amdhsa_reserve_vcc 1
		.amdhsa_reserve_flat_scratch 0
		.amdhsa_float_round_mode_32 0
		.amdhsa_float_round_mode_16_64 0
		.amdhsa_float_denorm_mode_32 3
		.amdhsa_float_denorm_mode_16_64 3
		.amdhsa_dx10_clamp 1
		.amdhsa_ieee_mode 1
		.amdhsa_fp16_overflow 0
		.amdhsa_tg_split 0
		.amdhsa_exception_fp_ieee_invalid_op 0
		.amdhsa_exception_fp_denorm_src 0
		.amdhsa_exception_fp_ieee_div_zero 0
		.amdhsa_exception_fp_ieee_overflow 0
		.amdhsa_exception_fp_ieee_underflow 0
		.amdhsa_exception_fp_ieee_inexact 0
		.amdhsa_exception_int_div_zero 0
	.end_amdhsa_kernel
	.section	.text._ZN9rocsparseL35gebsr2csr_block_per_row_1_32_kernelILi1024ELi32ELi8EfEEv20rocsparse_direction_ii21rocsparse_index_base_PKT2_PKiS7_iiS2_PS3_PiS9_,"axG",@progbits,_ZN9rocsparseL35gebsr2csr_block_per_row_1_32_kernelILi1024ELi32ELi8EfEEv20rocsparse_direction_ii21rocsparse_index_base_PKT2_PKiS7_iiS2_PS3_PiS9_,comdat
.Lfunc_end30:
	.size	_ZN9rocsparseL35gebsr2csr_block_per_row_1_32_kernelILi1024ELi32ELi8EfEEv20rocsparse_direction_ii21rocsparse_index_base_PKT2_PKiS7_iiS2_PS3_PiS9_, .Lfunc_end30-_ZN9rocsparseL35gebsr2csr_block_per_row_1_32_kernelILi1024ELi32ELi8EfEEv20rocsparse_direction_ii21rocsparse_index_base_PKT2_PKiS7_iiS2_PS3_PiS9_
                                        ; -- End function
	.section	.AMDGPU.csdata,"",@progbits
; Kernel info:
; codeLenInByte = 1336
; NumSgprs: 34
; NumVgprs: 36
; NumAgprs: 0
; TotalNumVgprs: 36
; ScratchSize: 0
; MemoryBound: 0
; FloatMode: 240
; IeeeMode: 1
; LDSByteSize: 0 bytes/workgroup (compile time only)
; SGPRBlocks: 4
; VGPRBlocks: 4
; NumSGPRsForWavesPerEU: 34
; NumVGPRsForWavesPerEU: 36
; AccumOffset: 36
; Occupancy: 8
; WaveLimiterHint : 0
; COMPUTE_PGM_RSRC2:SCRATCH_EN: 0
; COMPUTE_PGM_RSRC2:USER_SGPR: 6
; COMPUTE_PGM_RSRC2:TRAP_HANDLER: 0
; COMPUTE_PGM_RSRC2:TGID_X_EN: 1
; COMPUTE_PGM_RSRC2:TGID_Y_EN: 0
; COMPUTE_PGM_RSRC2:TGID_Z_EN: 0
; COMPUTE_PGM_RSRC2:TIDIG_COMP_CNT: 0
; COMPUTE_PGM_RSRC3_GFX90A:ACCUM_OFFSET: 8
; COMPUTE_PGM_RSRC3_GFX90A:TG_SPLIT: 0
	.section	.text._ZN9rocsparseL35gebsr2csr_block_per_row_1_32_kernelILi1024ELi32ELi16EfEEv20rocsparse_direction_ii21rocsparse_index_base_PKT2_PKiS7_iiS2_PS3_PiS9_,"axG",@progbits,_ZN9rocsparseL35gebsr2csr_block_per_row_1_32_kernelILi1024ELi32ELi16EfEEv20rocsparse_direction_ii21rocsparse_index_base_PKT2_PKiS7_iiS2_PS3_PiS9_,comdat
	.globl	_ZN9rocsparseL35gebsr2csr_block_per_row_1_32_kernelILi1024ELi32ELi16EfEEv20rocsparse_direction_ii21rocsparse_index_base_PKT2_PKiS7_iiS2_PS3_PiS9_ ; -- Begin function _ZN9rocsparseL35gebsr2csr_block_per_row_1_32_kernelILi1024ELi32ELi16EfEEv20rocsparse_direction_ii21rocsparse_index_base_PKT2_PKiS7_iiS2_PS3_PiS9_
	.p2align	8
	.type	_ZN9rocsparseL35gebsr2csr_block_per_row_1_32_kernelILi1024ELi32ELi16EfEEv20rocsparse_direction_ii21rocsparse_index_base_PKT2_PKiS7_iiS2_PS3_PiS9_,@function
_ZN9rocsparseL35gebsr2csr_block_per_row_1_32_kernelILi1024ELi32ELi16EfEEv20rocsparse_direction_ii21rocsparse_index_base_PKT2_PKiS7_iiS2_PS3_PiS9_: ; @_ZN9rocsparseL35gebsr2csr_block_per_row_1_32_kernelILi1024ELi32ELi16EfEEv20rocsparse_direction_ii21rocsparse_index_base_PKT2_PKiS7_iiS2_PS3_PiS9_
; %bb.0:
	s_load_dwordx2 s[0:1], s[4:5], 0x18
	s_load_dwordx4 s[8:11], s[4:5], 0x28
	s_load_dwordx2 s[2:3], s[4:5], 0x40
	s_ashr_i32 s7, s6, 31
	s_lshl_b64 s[12:13], s[6:7], 2
	s_waitcnt lgkmcnt(0)
	s_add_u32 s12, s0, s12
	v_or_b32_e32 v1, s6, v0
	s_addc_u32 s13, s1, s13
	v_cmp_eq_u32_e32 vcc, 0, v1
	s_and_saveexec_b64 s[0:1], vcc
	s_cbranch_execz .LBB31_2
; %bb.1:
	v_mov_b32_e32 v1, 0
	v_mov_b32_e32 v2, s10
	global_store_dword v1, v2, s[2:3]
.LBB31_2:
	s_or_b64 exec, exec, s[0:1]
	v_and_b32_e32 v4, 15, v0
	v_bfe_u32 v10, v0, 4, 5
	v_cmp_gt_i32_e32 vcc, s8, v10
	v_cmp_gt_i32_e64 s[0:1], s9, v4
	s_and_b64 s[0:1], vcc, s[0:1]
	s_and_saveexec_b64 s[14:15], s[0:1]
	s_cbranch_execz .LBB31_15
; %bb.3:
	s_load_dwordx2 s[16:17], s[12:13], 0x0
	s_load_dword s20, s[4:5], 0xc
	s_mul_i32 s21, s9, s8
	v_lshrrev_b32_e32 v5, 9, v0
	v_mov_b32_e32 v6, s3
	s_waitcnt lgkmcnt(0)
	s_sub_i32 s22, s16, s20
	s_sub_i32 s17, s17, s20
	;; [unrolled: 1-line block ×3, first 2 shown]
	s_mul_i32 s1, s25, s9
	s_mul_i32 s0, s22, s21
	v_mul_lo_u32 v0, s1, v10
	v_add_u32_e32 v1, s0, v0
	s_mul_i32 s0, s6, s8
	v_add_u32_e32 v2, s0, v10
	v_ashrrev_i32_e32 v3, 31, v2
	v_lshlrev_b64 v[2:3], 2, v[2:3]
	s_add_i32 s1, s1, s10
	v_add_co_u32_e32 v2, vcc, s2, v2
	v_add_u32_e32 v0, s1, v1
	v_addc_co_u32_e32 v3, vcc, v6, v3, vcc
	global_store_dword v[2:3], v0, off offset:4
	v_add_u32_e32 v0, s22, v5
	v_cmp_gt_i32_e32 vcc, s17, v0
	s_and_b64 exec, exec, vcc
	s_cbranch_execz .LBB31_15
; %bb.4:
	s_load_dwordx2 s[18:19], s[4:5], 0x20
	s_load_dwordx2 s[6:7], s[4:5], 0x38
	s_load_dword s0, s[4:5], 0x0
	s_load_dwordx2 s[12:13], s[4:5], 0x10
	s_load_dwordx2 s[14:15], s[4:5], 0x48
	v_add_u32_e32 v3, s16, v5
	v_subrev_u32_e32 v3, s20, v3
	s_waitcnt lgkmcnt(0)
	s_cmp_eq_u32 s0, 0
	v_mad_u64_u32 v[6:7], s[0:1], v4, s8, v[10:11]
	v_mad_u64_u32 v[8:9], s[0:1], v10, s9, v[4:5]
	s_cselect_b64 vcc, -1, 0
	v_add_u32_e32 v3, 2, v3
	s_not_b32 s0, s16
	v_max_i32_e32 v3, s17, v3
	s_add_i32 s0, s0, s20
	v_add_u32_e32 v3, s0, v3
	v_sub_u32_e32 v7, v3, v5
	v_add_u32_e32 v2, s10, v4
	v_cmp_lt_u32_e64 s[0:1], 33, v7
	s_mov_b64 s[2:3], 0
	v_mul_lo_u32 v3, s25, v10
                                        ; implicit-def: $sgpr24
                                        ; implicit-def: $sgpr23
	s_and_saveexec_b64 s[4:5], s[0:1]
	s_xor_b64 s[10:11], exec, s[4:5]
	s_cbranch_execz .LBB31_10
; %bb.5:
	s_lshl_b32 s23, s9, 1
	s_mul_i32 s24, s22, s8
	v_mul_lo_u32 v3, s25, v10
	s_sub_i32 s4, 0, s23
	v_add3_u32 v5, v5, s24, v3
	v_mad_u64_u32 v[10:11], s[0:1], v5, s9, v[4:5]
	s_cmp_lt_i32 s23, 0
	s_cselect_b64 s[0:1], -1, 0
	s_and_b64 s[2:3], s[0:1], exec
	v_lshrrev_b32_e32 v7, 1, v7
	s_cselect_b32 s4, s4, s23
	v_mul_hi_u32 v5, s4, v7
	v_cmp_eq_u32_e64 s[2:3], 0, v5
	v_mul_lo_u32 v5, s4, v7
	v_add_u32_e32 v9, v10, v5
	v_sub_u32_e32 v5, v10, v5
	v_cmp_gt_i32_e64 s[4:5], v5, v10
	v_cndmask_b32_e64 v5, 0, 1, s[4:5]
	v_cmp_lt_i32_e64 s[4:5], v9, v10
	v_cndmask_b32_e64 v9, 0, 1, s[4:5]
	v_cndmask_b32_e64 v5, v9, v5, s[0:1]
	v_and_b32_e32 v5, 1, v5
	v_cmp_eq_u32_e64 s[0:1], 1, v5
	s_xor_b64 s[0:1], s[0:1], -1
	s_mov_b64 s[4:5], -1
	s_and_b64 s[0:1], s[0:1], s[2:3]
	s_and_saveexec_b64 s[2:3], s[0:1]
	s_cbranch_execz .LBB31_9
; %bb.6:
	v_add_u32_e32 v5, 1, v7
	v_add_u32_e32 v10, v1, v4
	v_and_b32_e32 v7, -2, v5
	v_add_u32_e32 v1, 2, v0
	v_cndmask_b32_e32 v12, v6, v8, vcc
	s_mov_b32 s25, s20
	s_mov_b32 s26, s22
	;; [unrolled: 1-line block ×5, first 2 shown]
	s_mov_b64 s[4:5], 0
	v_mov_b32_e32 v9, s19
	v_mov_b32_e32 v14, v10
	;; [unrolled: 1-line block ×8, first 2 shown]
	v_pk_mov_b32 v[20:21], v[0:1], v[0:1] op_sel:[0,1]
.LBB31_7:                               ; =>This Inner Loop Header: Depth=1
	v_ashrrev_i32_e32 v25, 31, v20
	v_mov_b32_e32 v24, v20
	v_mad_u64_u32 v[26:27], s[0:1], v20, s21, v[12:13]
	v_mad_u64_u32 v[28:29], s[0:1], v21, s29, v[18:19]
	v_lshlrev_b64 v[24:25], 2, v[24:25]
	v_ashrrev_i32_e32 v23, 31, v21
	v_mov_b32_e32 v22, v21
	v_add_co_u32_e64 v24, s[0:1], s18, v24
	v_lshlrev_b64 v[22:23], 2, v[22:23]
	v_addc_co_u32_e64 v25, s[0:1], v9, v25, s[0:1]
	v_ashrrev_i32_e32 v27, 31, v26
	v_add_co_u32_e64 v22, s[0:1], s18, v22
	v_addc_co_u32_e64 v23, s[0:1], v9, v23, s[0:1]
	v_lshlrev_b64 v[26:27], 2, v[26:27]
	v_ashrrev_i32_e32 v29, 31, v28
	global_load_dword v1, v[24:25], off
	global_load_dword v19, v[22:23], off
	v_add_co_u32_e64 v22, s[0:1], s12, v26
	v_lshlrev_b64 v[28:29], 2, v[28:29]
	v_addc_co_u32_e64 v23, s[0:1], v13, v27, s[0:1]
	v_add_co_u32_e64 v24, s[0:1], s12, v28
	v_addc_co_u32_e64 v25, s[0:1], v13, v29, s[0:1]
	global_load_dword v34, v[22:23], off
	global_load_dword v35, v[24:25], off
	v_subrev_u32_e32 v22, s22, v20
	v_subrev_u32_e32 v24, s26, v21
	v_mad_u64_u32 v[22:23], s[0:1], v22, s27, v[10:11]
	v_add_u32_e32 v17, -2, v17
	v_mad_u64_u32 v[24:25], s[0:1], v24, s28, v[14:15]
	v_ashrrev_i32_e32 v23, 31, v22
	v_cmp_eq_u32_e64 s[0:1], 0, v17
	v_lshlrev_b64 v[22:23], 2, v[22:23]
	v_ashrrev_i32_e32 v25, 31, v24
	s_or_b64 s[4:5], s[0:1], s[4:5]
	v_add_co_u32_e64 v26, s[0:1], s14, v22
	v_lshlrev_b64 v[24:25], 2, v[24:25]
	v_addc_co_u32_e64 v27, s[0:1], v11, v23, s[0:1]
	v_add_co_u32_e64 v28, s[0:1], s14, v24
	v_addc_co_u32_e64 v29, s[0:1], v11, v25, s[0:1]
	v_add_co_u32_e64 v22, s[0:1], s6, v22
	v_addc_co_u32_e64 v23, s[0:1], v15, v23, s[0:1]
	v_add_u32_e32 v21, 4, v21
	v_add_u32_e32 v20, 4, v20
	v_add_co_u32_e64 v24, s[0:1], s6, v24
	v_addc_co_u32_e64 v25, s[0:1], v15, v25, s[0:1]
	s_waitcnt vmcnt(3)
	v_subrev_u32_e32 v1, s20, v1
	s_waitcnt vmcnt(2)
	v_subrev_u32_e32 v19, s25, v19
	v_mad_u64_u32 v[30:31], s[0:1], v19, s28, v[16:17]
	v_mad_u64_u32 v[32:33], s[0:1], v1, s27, v[2:3]
	s_waitcnt vmcnt(1)
	global_store_dword v[22:23], v34, off
	s_waitcnt vmcnt(1)
	global_store_dword v[24:25], v35, off
	global_store_dword v[26:27], v32, off
	;; [unrolled: 1-line block ×3, first 2 shown]
	s_andn2_b64 exec, exec, s[4:5]
	s_cbranch_execnz .LBB31_7
; %bb.8:
	s_or_b64 exec, exec, s[4:5]
	v_cmp_ne_u32_e64 s[0:1], v5, v7
	v_lshl_add_u32 v0, v7, 1, v0
	s_orn2_b64 s[4:5], s[0:1], exec
.LBB31_9:
	s_or_b64 exec, exec, s[2:3]
	s_and_b64 s[2:3], s[4:5], exec
.LBB31_10:
	s_or_saveexec_b64 s[0:1], s[10:11]
	v_mov_b32_e32 v1, s24
	v_mov_b32_e32 v10, s23
	s_xor_b64 exec, exec, s[0:1]
; %bb.11:
	s_mul_i32 s4, s8, s22
	s_lshl_b32 s5, s9, 1
	v_mov_b32_e32 v1, s4
	v_mov_b32_e32 v10, s5
	s_or_b64 s[2:3], s[2:3], exec
; %bb.12:
	s_or_b64 exec, exec, s[0:1]
	s_and_b64 exec, exec, s[2:3]
	s_cbranch_execz .LBB31_15
; %bb.13:
	v_cndmask_b32_e32 v6, v6, v8, vcc
	v_mul_lo_u32 v5, v0, s9
	v_mad_u64_u32 v[6:7], s[0:1], v5, s8, v[6:7]
	v_add_u32_e32 v5, s20, v0
	v_add3_u32 v1, v5, v1, v3
	v_subrev_u32_e32 v1, s16, v1
	v_mad_u64_u32 v[4:5], s[0:1], s9, v1, v[4:5]
	v_ashrrev_i32_e32 v1, 31, v0
	v_lshlrev_b64 v[8:9], 2, v[0:1]
	v_mov_b32_e32 v1, s19
	v_add_co_u32_e32 v8, vcc, s18, v8
	s_lshl_b32 s4, s21, 1
	v_addc_co_u32_e32 v9, vcc, v1, v9, vcc
	s_mov_b64 s[2:3], 0
	v_mov_b32_e32 v1, s15
	v_mov_b32_e32 v3, s13
	;; [unrolled: 1-line block ×3, first 2 shown]
.LBB31_14:                              ; =>This Inner Loop Header: Depth=1
	v_ashrrev_i32_e32 v7, 31, v6
	global_load_dword v16, v[8:9], off
	v_lshlrev_b64 v[12:13], 2, v[6:7]
	v_add_co_u32_e32 v12, vcc, s12, v12
	v_addc_co_u32_e32 v13, vcc, v3, v13, vcc
	global_load_dword v7, v[12:13], off
	v_ashrrev_i32_e32 v5, 31, v4
	v_lshlrev_b64 v[12:13], 2, v[4:5]
	v_add_co_u32_e32 v8, vcc, 8, v8
	v_add_co_u32_e64 v14, s[0:1], s14, v12
	v_add_u32_e32 v0, 2, v0
	v_addc_co_u32_e32 v9, vcc, 0, v9, vcc
	v_addc_co_u32_e64 v15, s[0:1], v1, v13, s[0:1]
	v_cmp_le_i32_e32 vcc, s17, v0
	v_add_co_u32_e64 v12, s[0:1], s6, v12
	v_add_u32_e32 v6, s4, v6
	v_add_u32_e32 v4, v4, v10
	v_addc_co_u32_e64 v13, s[0:1], v11, v13, s[0:1]
	s_or_b64 s[2:3], vcc, s[2:3]
	s_waitcnt vmcnt(1)
	v_subrev_u32_e32 v5, s20, v16
	v_mad_u64_u32 v[16:17], s[0:1], v5, s9, v[2:3]
	global_store_dword v[14:15], v16, off
	s_waitcnt vmcnt(1)
	global_store_dword v[12:13], v7, off
	s_andn2_b64 exec, exec, s[2:3]
	s_cbranch_execnz .LBB31_14
.LBB31_15:
	s_endpgm
	.section	.rodata,"a",@progbits
	.p2align	6, 0x0
	.amdhsa_kernel _ZN9rocsparseL35gebsr2csr_block_per_row_1_32_kernelILi1024ELi32ELi16EfEEv20rocsparse_direction_ii21rocsparse_index_base_PKT2_PKiS7_iiS2_PS3_PiS9_
		.amdhsa_group_segment_fixed_size 0
		.amdhsa_private_segment_fixed_size 0
		.amdhsa_kernarg_size 80
		.amdhsa_user_sgpr_count 6
		.amdhsa_user_sgpr_private_segment_buffer 1
		.amdhsa_user_sgpr_dispatch_ptr 0
		.amdhsa_user_sgpr_queue_ptr 0
		.amdhsa_user_sgpr_kernarg_segment_ptr 1
		.amdhsa_user_sgpr_dispatch_id 0
		.amdhsa_user_sgpr_flat_scratch_init 0
		.amdhsa_user_sgpr_kernarg_preload_length 0
		.amdhsa_user_sgpr_kernarg_preload_offset 0
		.amdhsa_user_sgpr_private_segment_size 0
		.amdhsa_uses_dynamic_stack 0
		.amdhsa_system_sgpr_private_segment_wavefront_offset 0
		.amdhsa_system_sgpr_workgroup_id_x 1
		.amdhsa_system_sgpr_workgroup_id_y 0
		.amdhsa_system_sgpr_workgroup_id_z 0
		.amdhsa_system_sgpr_workgroup_info 0
		.amdhsa_system_vgpr_workitem_id 0
		.amdhsa_next_free_vgpr 36
		.amdhsa_next_free_sgpr 30
		.amdhsa_accum_offset 36
		.amdhsa_reserve_vcc 1
		.amdhsa_reserve_flat_scratch 0
		.amdhsa_float_round_mode_32 0
		.amdhsa_float_round_mode_16_64 0
		.amdhsa_float_denorm_mode_32 3
		.amdhsa_float_denorm_mode_16_64 3
		.amdhsa_dx10_clamp 1
		.amdhsa_ieee_mode 1
		.amdhsa_fp16_overflow 0
		.amdhsa_tg_split 0
		.amdhsa_exception_fp_ieee_invalid_op 0
		.amdhsa_exception_fp_denorm_src 0
		.amdhsa_exception_fp_ieee_div_zero 0
		.amdhsa_exception_fp_ieee_overflow 0
		.amdhsa_exception_fp_ieee_underflow 0
		.amdhsa_exception_fp_ieee_inexact 0
		.amdhsa_exception_int_div_zero 0
	.end_amdhsa_kernel
	.section	.text._ZN9rocsparseL35gebsr2csr_block_per_row_1_32_kernelILi1024ELi32ELi16EfEEv20rocsparse_direction_ii21rocsparse_index_base_PKT2_PKiS7_iiS2_PS3_PiS9_,"axG",@progbits,_ZN9rocsparseL35gebsr2csr_block_per_row_1_32_kernelILi1024ELi32ELi16EfEEv20rocsparse_direction_ii21rocsparse_index_base_PKT2_PKiS7_iiS2_PS3_PiS9_,comdat
.Lfunc_end31:
	.size	_ZN9rocsparseL35gebsr2csr_block_per_row_1_32_kernelILi1024ELi32ELi16EfEEv20rocsparse_direction_ii21rocsparse_index_base_PKT2_PKiS7_iiS2_PS3_PiS9_, .Lfunc_end31-_ZN9rocsparseL35gebsr2csr_block_per_row_1_32_kernelILi1024ELi32ELi16EfEEv20rocsparse_direction_ii21rocsparse_index_base_PKT2_PKiS7_iiS2_PS3_PiS9_
                                        ; -- End function
	.section	.AMDGPU.csdata,"",@progbits
; Kernel info:
; codeLenInByte = 1328
; NumSgprs: 34
; NumVgprs: 36
; NumAgprs: 0
; TotalNumVgprs: 36
; ScratchSize: 0
; MemoryBound: 0
; FloatMode: 240
; IeeeMode: 1
; LDSByteSize: 0 bytes/workgroup (compile time only)
; SGPRBlocks: 4
; VGPRBlocks: 4
; NumSGPRsForWavesPerEU: 34
; NumVGPRsForWavesPerEU: 36
; AccumOffset: 36
; Occupancy: 8
; WaveLimiterHint : 0
; COMPUTE_PGM_RSRC2:SCRATCH_EN: 0
; COMPUTE_PGM_RSRC2:USER_SGPR: 6
; COMPUTE_PGM_RSRC2:TRAP_HANDLER: 0
; COMPUTE_PGM_RSRC2:TGID_X_EN: 1
; COMPUTE_PGM_RSRC2:TGID_Y_EN: 0
; COMPUTE_PGM_RSRC2:TGID_Z_EN: 0
; COMPUTE_PGM_RSRC2:TIDIG_COMP_CNT: 0
; COMPUTE_PGM_RSRC3_GFX90A:ACCUM_OFFSET: 8
; COMPUTE_PGM_RSRC3_GFX90A:TG_SPLIT: 0
	.section	.text._ZN9rocsparseL35gebsr2csr_block_per_row_1_32_kernelILi1024ELi32ELi32EfEEv20rocsparse_direction_ii21rocsparse_index_base_PKT2_PKiS7_iiS2_PS3_PiS9_,"axG",@progbits,_ZN9rocsparseL35gebsr2csr_block_per_row_1_32_kernelILi1024ELi32ELi32EfEEv20rocsparse_direction_ii21rocsparse_index_base_PKT2_PKiS7_iiS2_PS3_PiS9_,comdat
	.globl	_ZN9rocsparseL35gebsr2csr_block_per_row_1_32_kernelILi1024ELi32ELi32EfEEv20rocsparse_direction_ii21rocsparse_index_base_PKT2_PKiS7_iiS2_PS3_PiS9_ ; -- Begin function _ZN9rocsparseL35gebsr2csr_block_per_row_1_32_kernelILi1024ELi32ELi32EfEEv20rocsparse_direction_ii21rocsparse_index_base_PKT2_PKiS7_iiS2_PS3_PiS9_
	.p2align	8
	.type	_ZN9rocsparseL35gebsr2csr_block_per_row_1_32_kernelILi1024ELi32ELi32EfEEv20rocsparse_direction_ii21rocsparse_index_base_PKT2_PKiS7_iiS2_PS3_PiS9_,@function
_ZN9rocsparseL35gebsr2csr_block_per_row_1_32_kernelILi1024ELi32ELi32EfEEv20rocsparse_direction_ii21rocsparse_index_base_PKT2_PKiS7_iiS2_PS3_PiS9_: ; @_ZN9rocsparseL35gebsr2csr_block_per_row_1_32_kernelILi1024ELi32ELi32EfEEv20rocsparse_direction_ii21rocsparse_index_base_PKT2_PKiS7_iiS2_PS3_PiS9_
; %bb.0:
	s_load_dwordx2 s[0:1], s[4:5], 0x18
	s_load_dwordx4 s[8:11], s[4:5], 0x28
	s_load_dwordx2 s[2:3], s[4:5], 0x40
	s_ashr_i32 s7, s6, 31
	s_lshl_b64 s[12:13], s[6:7], 2
	s_waitcnt lgkmcnt(0)
	s_add_u32 s12, s0, s12
	v_or_b32_e32 v1, s6, v0
	s_addc_u32 s13, s1, s13
	v_cmp_eq_u32_e32 vcc, 0, v1
	s_and_saveexec_b64 s[0:1], vcc
	s_cbranch_execz .LBB32_2
; %bb.1:
	v_mov_b32_e32 v1, 0
	v_mov_b32_e32 v2, s10
	global_store_dword v1, v2, s[2:3]
.LBB32_2:
	s_or_b64 exec, exec, s[0:1]
	v_and_b32_e32 v2, 31, v0
	v_lshrrev_b32_e32 v8, 5, v0
	v_cmp_gt_i32_e32 vcc, s8, v8
	v_cmp_gt_i32_e64 s[0:1], s9, v2
	s_and_b64 s[0:1], vcc, s[0:1]
	s_and_saveexec_b64 s[14:15], s[0:1]
	s_cbranch_execz .LBB32_15
; %bb.3:
	s_load_dwordx2 s[14:15], s[12:13], 0x0
	s_load_dword s22, s[4:5], 0xc
	s_mul_i32 s23, s9, s8
	v_mov_b32_e32 v4, s3
	s_waitcnt lgkmcnt(0)
	s_sub_i32 s18, s14, s22
	s_sub_i32 s24, s15, s22
	;; [unrolled: 1-line block ×3, first 2 shown]
	s_mul_i32 s1, s11, s9
	s_mul_i32 s0, s18, s23
	v_mul_lo_u32 v0, s1, v8
	s_add_i32 s1, s1, s10
	s_add_i32 s1, s1, s0
	s_mul_i32 s0, s6, s8
	v_add_u32_e32 v3, s1, v0
	v_add_u32_e32 v0, s0, v8
	v_ashrrev_i32_e32 v1, 31, v0
	v_lshlrev_b64 v[0:1], 2, v[0:1]
	v_add_co_u32_e32 v0, vcc, s2, v0
	v_addc_co_u32_e32 v1, vcc, v4, v1, vcc
	s_cmp_ge_i32 s14, s15
	global_store_dword v[0:1], v3, off offset:4
	s_cbranch_scc1 .LBB32_15
; %bb.4:
	s_load_dwordx2 s[16:17], s[4:5], 0x20
	s_load_dwordx2 s[2:3], s[4:5], 0x38
	s_load_dword s0, s[4:5], 0x0
	s_load_dwordx2 s[6:7], s[4:5], 0x10
	s_load_dwordx2 s[12:13], s[4:5], 0x48
	v_mad_u64_u32 v[4:5], s[4:5], v2, s8, v[8:9]
	s_waitcnt lgkmcnt(0)
	s_cmp_eq_u32 s0, 0
	v_mad_u64_u32 v[6:7], s[4:5], v8, s9, v[2:3]
	s_cselect_b64 s[0:1], -1, 0
	s_sub_i32 s4, s14, s22
	s_add_i32 s4, s4, 1
	s_max_i32 s4, s4, s24
	s_add_i32 s4, s4, s22
	s_sub_i32 s25, s4, s14
	v_add_u32_e32 v0, s10, v2
	s_cmp_gt_u32 s25, 7
	v_mul_lo_u32 v7, v8, s11
	s_cbranch_scc0 .LBB32_11
; %bb.5:
	s_cmp_eq_u32 s9, 1
	s_cselect_b64 s[20:21], -1, 0
	s_not_b32 s5, s14
	s_mul_i32 s15, s18, s8
	v_mul_lo_u32 v5, v8, s11
	s_add_i32 s4, s4, s5
	v_add3_u32 v10, s15, v5, v2
	v_add_u32_e32 v1, s4, v10
	v_cmp_ge_i32_e32 vcc, v1, v10
	s_and_b64 s[20:21], s[20:21], vcc
	s_mov_b64 s[10:11], -1
	v_mov_b32_e32 v8, s18
	s_and_saveexec_b64 s[4:5], s[20:21]
	s_cbranch_execz .LBB32_9
; %bb.6:
	s_and_b32 s26, s25, -2
	s_add_i32 s19, s18, 1
	v_cndmask_b32_e64 v8, v4, v6, s[0:1]
	s_mov_b32 s27, s22
	v_mov_b32_e32 v1, v0
	s_mov_b32 s28, s23
	v_mov_b32_e32 v3, v8
	v_mov_b32_e32 v9, s13
	;; [unrolled: 1-line block ×4, first 2 shown]
	s_mov_b32 s10, s18
	s_mov_b32 s29, s26
	s_mov_b64 s[20:21], s[18:19]
.LBB32_7:                               ; =>This Inner Loop Header: Depth=1
	s_mul_i32 s19, s20, s23
	v_add_u32_e32 v14, s19, v8
	s_mul_i32 s11, s21, s28
	v_ashrrev_i32_e32 v15, 31, v14
	v_add_u32_e32 v16, s11, v3
	v_lshlrev_b64 v[14:15], 2, v[14:15]
	v_ashrrev_i32_e32 v17, 31, v16
	v_add_co_u32_e32 v14, vcc, s6, v14
	v_lshlrev_b64 v[16:17], 2, v[16:17]
	v_addc_co_u32_e32 v15, vcc, v12, v15, vcc
	v_add_co_u32_e32 v16, vcc, s6, v16
	v_addc_co_u32_e32 v17, vcc, v12, v17, vcc
	global_load_dword v18, v[14:15], off
	global_load_dword v19, v[16:17], off
	s_ashr_i32 s11, s10, 31
	s_lshl_b64 s[30:31], s[10:11], 2
	s_add_u32 s30, s16, s30
	s_addc_u32 s31, s17, s31
	s_load_dwordx2 s[30:31], s[30:31], 0x0
	v_ashrrev_i32_e32 v11, 31, v10
	v_lshlrev_b64 v[14:15], 2, v[10:11]
	v_add_co_u32_e32 v16, vcc, s12, v14
	v_addc_co_u32_e32 v17, vcc, v9, v15, vcc
	s_add_i32 s21, s21, 2
	s_add_i32 s20, s20, 2
	s_add_i32 s29, s29, -2
	s_add_i32 s10, s10, 2
	s_waitcnt lgkmcnt(0)
	s_sub_i32 s11, s30, s22
	s_sub_i32 s19, s31, s27
	v_add_u32_e32 v10, 2, v10
	v_add_co_u32_e32 v14, vcc, s2, v14
	v_add_u32_e32 v21, s19, v1
	v_add_u32_e32 v20, s11, v0
	s_cmp_lg_u32 s29, 0
	v_addc_co_u32_e32 v15, vcc, v13, v15, vcc
	global_store_dwordx2 v[16:17], v[20:21], off
	s_waitcnt vmcnt(1)
	global_store_dwordx2 v[14:15], v[18:19], off
	s_cbranch_scc1 .LBB32_7
; %bb.8:
	s_add_i32 s19, s18, s26
	s_cmp_lg_u32 s25, s26
	s_cselect_b64 s[10:11], -1, 0
	v_mov_b32_e32 v8, s19
	s_orn2_b64 s[10:11], s[10:11], exec
.LBB32_9:
	s_or_b64 exec, exec, s[4:5]
.LBB32_10:
	v_mov_b32_e32 v7, v5
	s_and_b64 exec, exec, s[10:11]
	s_cbranch_execnz .LBB32_13
	s_branch .LBB32_15
.LBB32_11:
	s_mov_b64 s[10:11], 0
                                        ; implicit-def: $vgpr8
                                        ; implicit-def: $sgpr15
                                        ; implicit-def: $vgpr5
	s_cbranch_execz .LBB32_10
; %bb.12:
	s_mul_i32 s15, s8, s18
	v_mov_b32_e32 v8, s18
	s_or_b64 s[10:11], s[10:11], exec
	s_and_b64 exec, exec, s[10:11]
	s_cbranch_execz .LBB32_15
.LBB32_13:
	v_cndmask_b32_e64 v4, v4, v6, s[0:1]
	v_mul_lo_u32 v1, v8, s9
	v_mad_u64_u32 v[4:5], s[0:1], v1, s8, v[4:5]
	s_add_i32 s0, s15, s22
	v_add3_u32 v1, s0, v8, v7
	v_ashrrev_i32_e32 v9, 31, v8
	v_subrev_u32_e32 v1, s14, v1
	v_lshlrev_b64 v[6:7], 2, v[8:9]
	v_mad_u64_u32 v[2:3], s[0:1], s9, v1, v[2:3]
	v_mov_b32_e32 v1, s17
	v_add_co_u32_e32 v6, vcc, s16, v6
	v_addc_co_u32_e32 v7, vcc, v1, v7, vcc
	s_mov_b64 s[4:5], 0
	v_mov_b32_e32 v1, s13
	v_mov_b32_e32 v9, s7
	;; [unrolled: 1-line block ×3, first 2 shown]
.LBB32_14:                              ; =>This Inner Loop Header: Depth=1
	v_ashrrev_i32_e32 v5, 31, v4
	global_load_dword v11, v[6:7], off
	v_lshlrev_b64 v[12:13], 2, v[4:5]
	v_add_co_u32_e32 v12, vcc, s6, v12
	v_addc_co_u32_e32 v13, vcc, v9, v13, vcc
	global_load_dword v5, v[12:13], off
	v_ashrrev_i32_e32 v3, 31, v2
	v_lshlrev_b64 v[12:13], 2, v[2:3]
	v_add_co_u32_e32 v6, vcc, 4, v6
	v_add_co_u32_e64 v14, s[0:1], s12, v12
	v_add_u32_e32 v8, 1, v8
	v_addc_co_u32_e32 v7, vcc, 0, v7, vcc
	v_addc_co_u32_e64 v15, s[0:1], v1, v13, s[0:1]
	v_cmp_le_i32_e32 vcc, s24, v8
	v_add_co_u32_e64 v12, s[0:1], s2, v12
	v_add_u32_e32 v4, s23, v4
	v_add_u32_e32 v2, s9, v2
	v_addc_co_u32_e64 v13, s[0:1], v10, v13, s[0:1]
	s_or_b64 s[4:5], vcc, s[4:5]
	s_waitcnt vmcnt(1)
	v_subrev_u32_e32 v3, s22, v11
	v_mad_u64_u32 v[16:17], s[0:1], v3, s9, v[0:1]
	global_store_dword v[14:15], v16, off
	s_waitcnt vmcnt(1)
	global_store_dword v[12:13], v5, off
	s_andn2_b64 exec, exec, s[4:5]
	s_cbranch_execnz .LBB32_14
.LBB32_15:
	s_endpgm
	.section	.rodata,"a",@progbits
	.p2align	6, 0x0
	.amdhsa_kernel _ZN9rocsparseL35gebsr2csr_block_per_row_1_32_kernelILi1024ELi32ELi32EfEEv20rocsparse_direction_ii21rocsparse_index_base_PKT2_PKiS7_iiS2_PS3_PiS9_
		.amdhsa_group_segment_fixed_size 0
		.amdhsa_private_segment_fixed_size 0
		.amdhsa_kernarg_size 80
		.amdhsa_user_sgpr_count 6
		.amdhsa_user_sgpr_private_segment_buffer 1
		.amdhsa_user_sgpr_dispatch_ptr 0
		.amdhsa_user_sgpr_queue_ptr 0
		.amdhsa_user_sgpr_kernarg_segment_ptr 1
		.amdhsa_user_sgpr_dispatch_id 0
		.amdhsa_user_sgpr_flat_scratch_init 0
		.amdhsa_user_sgpr_kernarg_preload_length 0
		.amdhsa_user_sgpr_kernarg_preload_offset 0
		.amdhsa_user_sgpr_private_segment_size 0
		.amdhsa_uses_dynamic_stack 0
		.amdhsa_system_sgpr_private_segment_wavefront_offset 0
		.amdhsa_system_sgpr_workgroup_id_x 1
		.amdhsa_system_sgpr_workgroup_id_y 0
		.amdhsa_system_sgpr_workgroup_id_z 0
		.amdhsa_system_sgpr_workgroup_info 0
		.amdhsa_system_vgpr_workitem_id 0
		.amdhsa_next_free_vgpr 22
		.amdhsa_next_free_sgpr 32
		.amdhsa_accum_offset 24
		.amdhsa_reserve_vcc 1
		.amdhsa_reserve_flat_scratch 0
		.amdhsa_float_round_mode_32 0
		.amdhsa_float_round_mode_16_64 0
		.amdhsa_float_denorm_mode_32 3
		.amdhsa_float_denorm_mode_16_64 3
		.amdhsa_dx10_clamp 1
		.amdhsa_ieee_mode 1
		.amdhsa_fp16_overflow 0
		.amdhsa_tg_split 0
		.amdhsa_exception_fp_ieee_invalid_op 0
		.amdhsa_exception_fp_denorm_src 0
		.amdhsa_exception_fp_ieee_div_zero 0
		.amdhsa_exception_fp_ieee_overflow 0
		.amdhsa_exception_fp_ieee_underflow 0
		.amdhsa_exception_fp_ieee_inexact 0
		.amdhsa_exception_int_div_zero 0
	.end_amdhsa_kernel
	.section	.text._ZN9rocsparseL35gebsr2csr_block_per_row_1_32_kernelILi1024ELi32ELi32EfEEv20rocsparse_direction_ii21rocsparse_index_base_PKT2_PKiS7_iiS2_PS3_PiS9_,"axG",@progbits,_ZN9rocsparseL35gebsr2csr_block_per_row_1_32_kernelILi1024ELi32ELi32EfEEv20rocsparse_direction_ii21rocsparse_index_base_PKT2_PKiS7_iiS2_PS3_PiS9_,comdat
.Lfunc_end32:
	.size	_ZN9rocsparseL35gebsr2csr_block_per_row_1_32_kernelILi1024ELi32ELi32EfEEv20rocsparse_direction_ii21rocsparse_index_base_PKT2_PKiS7_iiS2_PS3_PiS9_, .Lfunc_end32-_ZN9rocsparseL35gebsr2csr_block_per_row_1_32_kernelILi1024ELi32ELi32EfEEv20rocsparse_direction_ii21rocsparse_index_base_PKT2_PKiS7_iiS2_PS3_PiS9_
                                        ; -- End function
	.section	.AMDGPU.csdata,"",@progbits
; Kernel info:
; codeLenInByte = 956
; NumSgprs: 36
; NumVgprs: 22
; NumAgprs: 0
; TotalNumVgprs: 22
; ScratchSize: 0
; MemoryBound: 0
; FloatMode: 240
; IeeeMode: 1
; LDSByteSize: 0 bytes/workgroup (compile time only)
; SGPRBlocks: 4
; VGPRBlocks: 2
; NumSGPRsForWavesPerEU: 36
; NumVGPRsForWavesPerEU: 22
; AccumOffset: 24
; Occupancy: 8
; WaveLimiterHint : 0
; COMPUTE_PGM_RSRC2:SCRATCH_EN: 0
; COMPUTE_PGM_RSRC2:USER_SGPR: 6
; COMPUTE_PGM_RSRC2:TRAP_HANDLER: 0
; COMPUTE_PGM_RSRC2:TGID_X_EN: 1
; COMPUTE_PGM_RSRC2:TGID_Y_EN: 0
; COMPUTE_PGM_RSRC2:TGID_Z_EN: 0
; COMPUTE_PGM_RSRC2:TIDIG_COMP_CNT: 0
; COMPUTE_PGM_RSRC3_GFX90A:ACCUM_OFFSET: 5
; COMPUTE_PGM_RSRC3_GFX90A:TG_SPLIT: 0
	.section	.text._ZN9rocsparseL37gebsr2csr_block_per_row_33_128_kernelILi1024ELi32ELi64ELi32ELi32EfEEv20rocsparse_direction_ii21rocsparse_index_base_PKT4_PKiS7_iiS2_PS3_PiS9_,"axG",@progbits,_ZN9rocsparseL37gebsr2csr_block_per_row_33_128_kernelILi1024ELi32ELi64ELi32ELi32EfEEv20rocsparse_direction_ii21rocsparse_index_base_PKT4_PKiS7_iiS2_PS3_PiS9_,comdat
	.globl	_ZN9rocsparseL37gebsr2csr_block_per_row_33_128_kernelILi1024ELi32ELi64ELi32ELi32EfEEv20rocsparse_direction_ii21rocsparse_index_base_PKT4_PKiS7_iiS2_PS3_PiS9_ ; -- Begin function _ZN9rocsparseL37gebsr2csr_block_per_row_33_128_kernelILi1024ELi32ELi64ELi32ELi32EfEEv20rocsparse_direction_ii21rocsparse_index_base_PKT4_PKiS7_iiS2_PS3_PiS9_
	.p2align	8
	.type	_ZN9rocsparseL37gebsr2csr_block_per_row_33_128_kernelILi1024ELi32ELi64ELi32ELi32EfEEv20rocsparse_direction_ii21rocsparse_index_base_PKT4_PKiS7_iiS2_PS3_PiS9_,@function
_ZN9rocsparseL37gebsr2csr_block_per_row_33_128_kernelILi1024ELi32ELi64ELi32ELi32EfEEv20rocsparse_direction_ii21rocsparse_index_base_PKT4_PKiS7_iiS2_PS3_PiS9_: ; @_ZN9rocsparseL37gebsr2csr_block_per_row_33_128_kernelILi1024ELi32ELi64ELi32ELi32EfEEv20rocsparse_direction_ii21rocsparse_index_base_PKT4_PKiS7_iiS2_PS3_PiS9_
; %bb.0:
	s_load_dwordx2 s[0:1], s[4:5], 0x18
	s_load_dwordx4 s[8:11], s[4:5], 0x28
	s_load_dwordx2 s[2:3], s[4:5], 0x40
	s_ashr_i32 s7, s6, 31
	s_lshl_b64 s[12:13], s[6:7], 2
	s_waitcnt lgkmcnt(0)
	s_add_u32 s0, s0, s12
	s_addc_u32 s1, s1, s13
	s_load_dwordx2 s[14:15], s[0:1], 0x0
	v_or_b32_e32 v1, s6, v0
	v_cmp_eq_u32_e32 vcc, 0, v1
	s_and_saveexec_b64 s[0:1], vcc
	s_cbranch_execz .LBB33_2
; %bb.1:
	v_mov_b32_e32 v1, 0
	v_mov_b32_e32 v2, s10
	global_store_dword v1, v2, s[2:3]
.LBB33_2:
	s_or_b64 exec, exec, s[0:1]
	s_load_dword s11, s[4:5], 0xc
	v_lshrrev_b32_e32 v4, 5, v0
	v_cmp_gt_i32_e64 s[0:1], s8, v4
	s_mul_i32 s23, s9, s8
	s_waitcnt lgkmcnt(0)
	s_sub_i32 s12, s14, s11
	s_sub_i32 s22, s15, s11
	s_and_saveexec_b64 s[16:17], s[0:1]
	s_cbranch_execz .LBB33_4
; %bb.3:
	s_mul_i32 s6, s6, s8
	v_add_u32_e32 v2, s6, v4
	s_mul_i32 s7, s23, s12
	s_sub_i32 s13, s22, s12
	v_ashrrev_i32_e32 v3, 31, v2
	s_mul_i32 s13, s13, s9
	s_add_i32 s7, s7, s10
	v_lshlrev_b64 v[2:3], 2, v[2:3]
	v_mul_lo_u32 v1, s13, v4
	s_add_i32 s7, s7, s13
	v_mov_b32_e32 v5, s3
	v_add_co_u32_e32 v2, vcc, s2, v2
	v_add_u32_e32 v1, s7, v1
	v_addc_co_u32_e32 v3, vcc, v5, v3, vcc
	global_store_dword v[2:3], v1, off offset:4
.LBB33_4:
	s_or_b64 exec, exec, s[16:17]
	s_cmp_ge_i32 s14, s15
	s_cbranch_scc1 .LBB33_11
; %bb.5:
	s_load_dwordx2 s[18:19], s[4:5], 0x20
	s_load_dwordx2 s[6:7], s[4:5], 0x38
	;; [unrolled: 1-line block ×4, first 2 shown]
	s_load_dword s2, s[4:5], 0x0
	s_mul_i32 s13, s8, s12
	v_and_b32_e32 v0, 31, v0
	v_add_u32_e32 v1, s13, v4
	v_mad_u64_u32 v[2:3], s[4:5], s9, v1, v[0:1]
	s_mul_i32 s4, s9, s12
	s_sub_i32 s3, s22, s12
	v_add_u32_e32 v3, s4, v0
	v_mul_lo_u32 v6, s3, v4
	s_waitcnt lgkmcnt(0)
	s_cmp_eq_u32 s2, 0
	v_cmp_gt_i32_e64 s[2:3], s9, v0
	v_mad_u64_u32 v[8:9], s[4:5], s8, v3, v[4:5]
	v_or_b32_e32 v1, 32, v0
	s_cselect_b64 vcc, -1, 0
	s_and_b64 s[4:5], s[0:1], s[2:3]
	v_cmp_gt_i32_e64 s[2:3], s9, v1
	v_add_u32_e32 v3, 32, v3
	s_and_b64 s[2:3], s[0:1], s[2:3]
	v_mad_u64_u32 v[4:5], s[0:1], s8, v3, v[4:5]
	v_add_u32_e32 v3, s13, v6
	v_mad_u64_u32 v[6:7], s[0:1], s9, v3, v[0:1]
	s_ashr_i32 s13, s12, 31
	s_lshl_b64 s[0:1], s[12:13], 2
	s_add_u32 s18, s18, s0
	s_mov_b32 s24, 0
	s_addc_u32 s19, s19, s1
	v_cndmask_b32_e32 v3, v8, v2, vcc
	s_branch .LBB33_7
.LBB33_6:                               ;   in Loop: Header=BB33_7 Depth=1
	s_or_b64 exec, exec, s[20:21]
	s_add_i32 s12, s12, 1
	s_add_i32 s24, s24, s23
	s_add_u32 s18, s18, 4
	s_addc_u32 s19, s19, 0
	s_cmp_ge_i32 s12, s22
	v_add_u32_e32 v6, s9, v6
	s_cbranch_scc1 .LBB33_11
.LBB33_7:                               ; =>This Inner Loop Header: Depth=1
	s_load_dword s0, s[18:19], 0x0
	s_waitcnt lgkmcnt(0)
	s_sub_i32 s0, s0, s11
	s_mul_i32 s8, s0, s9
	s_add_i32 s8, s8, s10
	s_and_saveexec_b64 s[20:21], s[4:5]
	s_cbranch_execz .LBB33_9
; %bb.8:                                ;   in Loop: Header=BB33_7 Depth=1
	v_add_u32_e32 v8, s24, v3
	v_ashrrev_i32_e32 v9, 31, v8
	v_lshlrev_b64 v[8:9], 2, v[8:9]
	v_mov_b32_e32 v5, s17
	v_add_co_u32_e64 v8, s[0:1], s16, v8
	v_addc_co_u32_e64 v9, s[0:1], v5, v9, s[0:1]
	global_load_dword v5, v[8:9], off
	v_ashrrev_i32_e32 v7, 31, v6
	v_lshlrev_b64 v[8:9], 2, v[6:7]
	v_mov_b32_e32 v7, s15
	v_add_co_u32_e64 v10, s[0:1], s14, v8
	v_addc_co_u32_e64 v11, s[0:1], v7, v9, s[0:1]
	v_mov_b32_e32 v7, s7
	v_add_co_u32_e64 v8, s[0:1], s6, v8
	v_add_u32_e32 v12, s8, v0
	v_addc_co_u32_e64 v9, s[0:1], v7, v9, s[0:1]
	global_store_dword v[10:11], v12, off
	s_waitcnt vmcnt(1)
	global_store_dword v[8:9], v5, off
.LBB33_9:                               ;   in Loop: Header=BB33_7 Depth=1
	s_or_b64 exec, exec, s[20:21]
	s_and_saveexec_b64 s[20:21], s[2:3]
	s_cbranch_execz .LBB33_6
; %bb.10:                               ;   in Loop: Header=BB33_7 Depth=1
	v_add3_u32 v5, v2, s24, 32
	v_add_u32_e32 v7, s24, v4
	v_cndmask_b32_e32 v8, v7, v5, vcc
	v_ashrrev_i32_e32 v9, 31, v8
	v_lshlrev_b64 v[8:9], 2, v[8:9]
	v_mov_b32_e32 v5, s17
	v_add_co_u32_e64 v8, s[0:1], s16, v8
	v_addc_co_u32_e64 v9, s[0:1], v5, v9, s[0:1]
	global_load_dword v5, v[8:9], off
	v_add_u32_e32 v8, 32, v6
	v_ashrrev_i32_e32 v9, 31, v8
	v_lshlrev_b64 v[8:9], 2, v[8:9]
	v_mov_b32_e32 v11, s15
	v_add_co_u32_e64 v10, s[0:1], s14, v8
	v_add_u32_e32 v7, s8, v1
	v_addc_co_u32_e64 v11, s[0:1], v11, v9, s[0:1]
	global_store_dword v[10:11], v7, off
	v_mov_b32_e32 v7, s7
	v_add_co_u32_e64 v8, s[0:1], s6, v8
	v_addc_co_u32_e64 v9, s[0:1], v7, v9, s[0:1]
	s_waitcnt vmcnt(1)
	global_store_dword v[8:9], v5, off
	s_branch .LBB33_6
.LBB33_11:
	s_endpgm
	.section	.rodata,"a",@progbits
	.p2align	6, 0x0
	.amdhsa_kernel _ZN9rocsparseL37gebsr2csr_block_per_row_33_128_kernelILi1024ELi32ELi64ELi32ELi32EfEEv20rocsparse_direction_ii21rocsparse_index_base_PKT4_PKiS7_iiS2_PS3_PiS9_
		.amdhsa_group_segment_fixed_size 0
		.amdhsa_private_segment_fixed_size 0
		.amdhsa_kernarg_size 80
		.amdhsa_user_sgpr_count 6
		.amdhsa_user_sgpr_private_segment_buffer 1
		.amdhsa_user_sgpr_dispatch_ptr 0
		.amdhsa_user_sgpr_queue_ptr 0
		.amdhsa_user_sgpr_kernarg_segment_ptr 1
		.amdhsa_user_sgpr_dispatch_id 0
		.amdhsa_user_sgpr_flat_scratch_init 0
		.amdhsa_user_sgpr_kernarg_preload_length 0
		.amdhsa_user_sgpr_kernarg_preload_offset 0
		.amdhsa_user_sgpr_private_segment_size 0
		.amdhsa_uses_dynamic_stack 0
		.amdhsa_system_sgpr_private_segment_wavefront_offset 0
		.amdhsa_system_sgpr_workgroup_id_x 1
		.amdhsa_system_sgpr_workgroup_id_y 0
		.amdhsa_system_sgpr_workgroup_id_z 0
		.amdhsa_system_sgpr_workgroup_info 0
		.amdhsa_system_vgpr_workitem_id 0
		.amdhsa_next_free_vgpr 13
		.amdhsa_next_free_sgpr 25
		.amdhsa_accum_offset 16
		.amdhsa_reserve_vcc 1
		.amdhsa_reserve_flat_scratch 0
		.amdhsa_float_round_mode_32 0
		.amdhsa_float_round_mode_16_64 0
		.amdhsa_float_denorm_mode_32 3
		.amdhsa_float_denorm_mode_16_64 3
		.amdhsa_dx10_clamp 1
		.amdhsa_ieee_mode 1
		.amdhsa_fp16_overflow 0
		.amdhsa_tg_split 0
		.amdhsa_exception_fp_ieee_invalid_op 0
		.amdhsa_exception_fp_denorm_src 0
		.amdhsa_exception_fp_ieee_div_zero 0
		.amdhsa_exception_fp_ieee_overflow 0
		.amdhsa_exception_fp_ieee_underflow 0
		.amdhsa_exception_fp_ieee_inexact 0
		.amdhsa_exception_int_div_zero 0
	.end_amdhsa_kernel
	.section	.text._ZN9rocsparseL37gebsr2csr_block_per_row_33_128_kernelILi1024ELi32ELi64ELi32ELi32EfEEv20rocsparse_direction_ii21rocsparse_index_base_PKT4_PKiS7_iiS2_PS3_PiS9_,"axG",@progbits,_ZN9rocsparseL37gebsr2csr_block_per_row_33_128_kernelILi1024ELi32ELi64ELi32ELi32EfEEv20rocsparse_direction_ii21rocsparse_index_base_PKT4_PKiS7_iiS2_PS3_PiS9_,comdat
.Lfunc_end33:
	.size	_ZN9rocsparseL37gebsr2csr_block_per_row_33_128_kernelILi1024ELi32ELi64ELi32ELi32EfEEv20rocsparse_direction_ii21rocsparse_index_base_PKT4_PKiS7_iiS2_PS3_PiS9_, .Lfunc_end33-_ZN9rocsparseL37gebsr2csr_block_per_row_33_128_kernelILi1024ELi32ELi64ELi32ELi32EfEEv20rocsparse_direction_ii21rocsparse_index_base_PKT4_PKiS7_iiS2_PS3_PiS9_
                                        ; -- End function
	.section	.AMDGPU.csdata,"",@progbits
; Kernel info:
; codeLenInByte = 736
; NumSgprs: 29
; NumVgprs: 13
; NumAgprs: 0
; TotalNumVgprs: 13
; ScratchSize: 0
; MemoryBound: 0
; FloatMode: 240
; IeeeMode: 1
; LDSByteSize: 0 bytes/workgroup (compile time only)
; SGPRBlocks: 3
; VGPRBlocks: 1
; NumSGPRsForWavesPerEU: 29
; NumVGPRsForWavesPerEU: 13
; AccumOffset: 16
; Occupancy: 8
; WaveLimiterHint : 1
; COMPUTE_PGM_RSRC2:SCRATCH_EN: 0
; COMPUTE_PGM_RSRC2:USER_SGPR: 6
; COMPUTE_PGM_RSRC2:TRAP_HANDLER: 0
; COMPUTE_PGM_RSRC2:TGID_X_EN: 1
; COMPUTE_PGM_RSRC2:TGID_Y_EN: 0
; COMPUTE_PGM_RSRC2:TGID_Z_EN: 0
; COMPUTE_PGM_RSRC2:TIDIG_COMP_CNT: 0
; COMPUTE_PGM_RSRC3_GFX90A:ACCUM_OFFSET: 3
; COMPUTE_PGM_RSRC3_GFX90A:TG_SPLIT: 0
	.section	.text._ZN9rocsparseL37gebsr2csr_block_per_row_33_128_kernelILi1024ELi32ELi128ELi32ELi32EfEEv20rocsparse_direction_ii21rocsparse_index_base_PKT4_PKiS7_iiS2_PS3_PiS9_,"axG",@progbits,_ZN9rocsparseL37gebsr2csr_block_per_row_33_128_kernelILi1024ELi32ELi128ELi32ELi32EfEEv20rocsparse_direction_ii21rocsparse_index_base_PKT4_PKiS7_iiS2_PS3_PiS9_,comdat
	.globl	_ZN9rocsparseL37gebsr2csr_block_per_row_33_128_kernelILi1024ELi32ELi128ELi32ELi32EfEEv20rocsparse_direction_ii21rocsparse_index_base_PKT4_PKiS7_iiS2_PS3_PiS9_ ; -- Begin function _ZN9rocsparseL37gebsr2csr_block_per_row_33_128_kernelILi1024ELi32ELi128ELi32ELi32EfEEv20rocsparse_direction_ii21rocsparse_index_base_PKT4_PKiS7_iiS2_PS3_PiS9_
	.p2align	8
	.type	_ZN9rocsparseL37gebsr2csr_block_per_row_33_128_kernelILi1024ELi32ELi128ELi32ELi32EfEEv20rocsparse_direction_ii21rocsparse_index_base_PKT4_PKiS7_iiS2_PS3_PiS9_,@function
_ZN9rocsparseL37gebsr2csr_block_per_row_33_128_kernelILi1024ELi32ELi128ELi32ELi32EfEEv20rocsparse_direction_ii21rocsparse_index_base_PKT4_PKiS7_iiS2_PS3_PiS9_: ; @_ZN9rocsparseL37gebsr2csr_block_per_row_33_128_kernelILi1024ELi32ELi128ELi32ELi32EfEEv20rocsparse_direction_ii21rocsparse_index_base_PKT4_PKiS7_iiS2_PS3_PiS9_
; %bb.0:
	s_load_dwordx2 s[0:1], s[4:5], 0x18
	s_load_dwordx4 s[8:11], s[4:5], 0x28
	s_load_dwordx2 s[2:3], s[4:5], 0x40
	s_ashr_i32 s7, s6, 31
	s_lshl_b64 s[12:13], s[6:7], 2
	s_waitcnt lgkmcnt(0)
	s_add_u32 s0, s0, s12
	s_addc_u32 s1, s1, s13
	s_load_dwordx2 s[14:15], s[0:1], 0x0
	v_or_b32_e32 v1, s6, v0
	v_cmp_eq_u32_e32 vcc, 0, v1
	s_and_saveexec_b64 s[0:1], vcc
	s_cbranch_execz .LBB34_2
; %bb.1:
	v_mov_b32_e32 v1, 0
	v_mov_b32_e32 v2, s10
	global_store_dword v1, v2, s[2:3]
.LBB34_2:
	s_or_b64 exec, exec, s[0:1]
	s_load_dword s11, s[4:5], 0xc
	v_lshrrev_b32_e32 v1, 5, v0
	v_cmp_gt_i32_e64 s[0:1], s8, v1
	s_mul_i32 s27, s9, s8
	s_waitcnt lgkmcnt(0)
	s_sub_i32 s12, s14, s11
	s_sub_i32 s26, s15, s11
	s_and_saveexec_b64 s[16:17], s[0:1]
	s_cbranch_execz .LBB34_4
; %bb.3:
	s_mul_i32 s7, s27, s12
	s_sub_i32 s13, s26, s12
	s_mul_i32 s13, s13, s9
	s_add_i32 s7, s7, s10
	v_mul_lo_u32 v2, s13, v1
	s_add_i32 s7, s7, s13
	s_mul_i32 s6, s6, s8
	v_add_u32_e32 v4, s7, v2
	v_add_u32_e32 v2, s6, v1
	v_ashrrev_i32_e32 v3, 31, v2
	v_lshlrev_b64 v[2:3], 2, v[2:3]
	v_mov_b32_e32 v5, s3
	v_add_co_u32_e32 v2, vcc, s2, v2
	v_addc_co_u32_e32 v3, vcc, v5, v3, vcc
	global_store_dword v[2:3], v4, off offset:4
.LBB34_4:
	s_or_b64 exec, exec, s[16:17]
	s_cmp_ge_i32 s14, s15
	s_cbranch_scc1 .LBB34_15
; %bb.5:
	s_load_dwordx2 s[22:23], s[4:5], 0x20
	s_load_dwordx2 s[6:7], s[4:5], 0x38
	;; [unrolled: 1-line block ×3, first 2 shown]
	s_load_dword s2, s[4:5], 0x0
	s_load_dwordx2 s[16:17], s[4:5], 0x48
	v_and_b32_e32 v0, 31, v0
	s_sub_i32 s3, s26, s12
	v_mul_lo_u32 v10, s3, v1
	s_waitcnt lgkmcnt(0)
	s_cmp_eq_u32 s2, 0
	v_cmp_gt_i32_e64 s[2:3], s9, v0
	v_or_b32_e32 v2, 32, v0
	s_cselect_b64 vcc, -1, 0
	s_and_b64 s[4:5], s[0:1], s[2:3]
	v_cmp_gt_i32_e64 s[2:3], s9, v2
	v_or_b32_e32 v3, 64, v0
	s_and_b64 s[18:19], s[0:1], s[2:3]
	v_cmp_gt_i32_e64 s[2:3], s9, v3
	v_or_b32_e32 v4, 0x60, v0
	s_and_b64 s[20:21], s[0:1], s[2:3]
	v_cmp_gt_i32_e64 s[2:3], s9, v4
	s_and_b64 s[2:3], s[0:1], s[2:3]
	s_mul_i32 s0, s8, s12
	s_mul_i32 s1, s9, s12
	s_ashr_i32 s13, s12, 31
	v_add_u32_e32 v5, s0, v1
	v_add_u32_e32 v9, s1, v0
	;; [unrolled: 1-line block ×3, first 2 shown]
	s_lshl_b64 s[0:1], s[12:13], 2
	v_add_u32_e32 v6, 0x60, v9
	v_add_u32_e32 v7, 64, v9
	;; [unrolled: 1-line block ×3, first 2 shown]
	s_add_u32 s22, s22, s0
	s_movk_i32 s28, 0x60
	v_mul_lo_u32 v5, s9, v5
	v_mul_lo_u32 v6, s8, v6
	;; [unrolled: 1-line block ×6, first 2 shown]
	s_addc_u32 s23, s23, s1
	s_branch .LBB34_7
.LBB34_6:                               ;   in Loop: Header=BB34_7 Depth=1
	s_or_b64 exec, exec, s[24:25]
	s_add_i32 s12, s12, 1
	s_add_u32 s22, s22, 4
	s_addc_u32 s23, s23, 0
	v_add_u32_e32 v5, s27, v5
	v_add_u32_e32 v1, s27, v1
	s_cmp_ge_i32 s12, s26
	v_add_u32_e32 v10, s9, v10
	s_cbranch_scc1 .LBB34_15
.LBB34_7:                               ; =>This Inner Loop Header: Depth=1
	s_load_dword s0, s[22:23], 0x0
	s_waitcnt lgkmcnt(0)
	s_sub_i32 s0, s0, s11
	s_mul_i32 s8, s0, s9
	s_add_i32 s8, s8, s10
	s_and_saveexec_b64 s[24:25], s[4:5]
	s_cbranch_execnz .LBB34_11
; %bb.8:                                ;   in Loop: Header=BB34_7 Depth=1
	s_or_b64 exec, exec, s[24:25]
	s_and_saveexec_b64 s[24:25], s[18:19]
	s_cbranch_execnz .LBB34_12
.LBB34_9:                               ;   in Loop: Header=BB34_7 Depth=1
	s_or_b64 exec, exec, s[24:25]
	s_and_saveexec_b64 s[24:25], s[20:21]
	s_cbranch_execnz .LBB34_13
.LBB34_10:                              ;   in Loop: Header=BB34_7 Depth=1
	s_or_b64 exec, exec, s[24:25]
	s_and_saveexec_b64 s[24:25], s[2:3]
	s_cbranch_execz .LBB34_6
	s_branch .LBB34_14
.LBB34_11:                              ;   in Loop: Header=BB34_7 Depth=1
	v_add_u32_e32 v11, v0, v5
	v_add_u32_e32 v12, v9, v1
	v_cndmask_b32_e32 v12, v12, v11, vcc
	v_ashrrev_i32_e32 v13, 31, v12
	v_lshlrev_b64 v[12:13], 2, v[12:13]
	v_mov_b32_e32 v11, s15
	v_add_co_u32_e64 v12, s[0:1], s14, v12
	v_addc_co_u32_e64 v13, s[0:1], v11, v13, s[0:1]
	global_load_dword v11, v[12:13], off
	v_add_u32_e32 v12, v0, v10
	v_ashrrev_i32_e32 v13, 31, v12
	v_lshlrev_b64 v[12:13], 2, v[12:13]
	v_mov_b32_e32 v15, s17
	v_add_co_u32_e64 v14, s[0:1], s16, v12
	v_add_u32_e32 v16, s8, v0
	v_addc_co_u32_e64 v15, s[0:1], v15, v13, s[0:1]
	global_store_dword v[14:15], v16, off
	v_mov_b32_e32 v14, s7
	v_add_co_u32_e64 v12, s[0:1], s6, v12
	v_addc_co_u32_e64 v13, s[0:1], v14, v13, s[0:1]
	s_waitcnt vmcnt(1)
	global_store_dword v[12:13], v11, off
	s_or_b64 exec, exec, s[24:25]
	s_and_saveexec_b64 s[24:25], s[18:19]
	s_cbranch_execz .LBB34_9
.LBB34_12:                              ;   in Loop: Header=BB34_7 Depth=1
	v_add3_u32 v11, v0, v5, 32
	v_add_u32_e32 v12, v8, v1
	v_cndmask_b32_e32 v12, v12, v11, vcc
	v_ashrrev_i32_e32 v13, 31, v12
	v_lshlrev_b64 v[12:13], 2, v[12:13]
	v_mov_b32_e32 v11, s15
	v_add_co_u32_e64 v12, s[0:1], s14, v12
	v_addc_co_u32_e64 v13, s[0:1], v11, v13, s[0:1]
	global_load_dword v11, v[12:13], off
	v_add3_u32 v12, v0, v10, 32
	v_ashrrev_i32_e32 v13, 31, v12
	v_lshlrev_b64 v[12:13], 2, v[12:13]
	v_mov_b32_e32 v15, s17
	v_add_co_u32_e64 v14, s[0:1], s16, v12
	v_add_u32_e32 v16, s8, v2
	v_addc_co_u32_e64 v15, s[0:1], v15, v13, s[0:1]
	global_store_dword v[14:15], v16, off
	v_mov_b32_e32 v14, s7
	v_add_co_u32_e64 v12, s[0:1], s6, v12
	v_addc_co_u32_e64 v13, s[0:1], v14, v13, s[0:1]
	s_waitcnt vmcnt(1)
	global_store_dword v[12:13], v11, off
	s_or_b64 exec, exec, s[24:25]
	s_and_saveexec_b64 s[24:25], s[20:21]
	s_cbranch_execz .LBB34_10
.LBB34_13:                              ;   in Loop: Header=BB34_7 Depth=1
	v_add3_u32 v11, v0, v5, 64
	v_add_u32_e32 v12, v7, v1
	v_cndmask_b32_e32 v12, v12, v11, vcc
	v_ashrrev_i32_e32 v13, 31, v12
	v_lshlrev_b64 v[12:13], 2, v[12:13]
	v_mov_b32_e32 v11, s15
	v_add_co_u32_e64 v12, s[0:1], s14, v12
	v_addc_co_u32_e64 v13, s[0:1], v11, v13, s[0:1]
	global_load_dword v11, v[12:13], off
	v_add3_u32 v12, v0, v10, 64
	v_ashrrev_i32_e32 v13, 31, v12
	v_lshlrev_b64 v[12:13], 2, v[12:13]
	v_mov_b32_e32 v15, s17
	v_add_co_u32_e64 v14, s[0:1], s16, v12
	v_add_u32_e32 v16, s8, v3
	v_addc_co_u32_e64 v15, s[0:1], v15, v13, s[0:1]
	global_store_dword v[14:15], v16, off
	v_mov_b32_e32 v14, s7
	v_add_co_u32_e64 v12, s[0:1], s6, v12
	v_addc_co_u32_e64 v13, s[0:1], v14, v13, s[0:1]
	s_waitcnt vmcnt(1)
	global_store_dword v[12:13], v11, off
	s_or_b64 exec, exec, s[24:25]
	s_and_saveexec_b64 s[24:25], s[2:3]
	s_cbranch_execz .LBB34_6
.LBB34_14:                              ;   in Loop: Header=BB34_7 Depth=1
	v_add3_u32 v11, v0, v5, s28
	v_add_u32_e32 v12, v6, v1
	v_cndmask_b32_e32 v12, v12, v11, vcc
	v_ashrrev_i32_e32 v13, 31, v12
	v_lshlrev_b64 v[12:13], 2, v[12:13]
	v_mov_b32_e32 v11, s15
	v_add_co_u32_e64 v12, s[0:1], s14, v12
	v_addc_co_u32_e64 v13, s[0:1], v11, v13, s[0:1]
	global_load_dword v11, v[12:13], off
	v_add3_u32 v12, v0, v10, s28
	v_ashrrev_i32_e32 v13, 31, v12
	v_lshlrev_b64 v[12:13], 2, v[12:13]
	v_mov_b32_e32 v15, s17
	v_add_co_u32_e64 v14, s[0:1], s16, v12
	v_add_u32_e32 v16, s8, v4
	v_addc_co_u32_e64 v15, s[0:1], v15, v13, s[0:1]
	global_store_dword v[14:15], v16, off
	v_mov_b32_e32 v14, s7
	v_add_co_u32_e64 v12, s[0:1], s6, v12
	v_addc_co_u32_e64 v13, s[0:1], v14, v13, s[0:1]
	s_waitcnt vmcnt(1)
	global_store_dword v[12:13], v11, off
	s_branch .LBB34_6
.LBB34_15:
	s_endpgm
	.section	.rodata,"a",@progbits
	.p2align	6, 0x0
	.amdhsa_kernel _ZN9rocsparseL37gebsr2csr_block_per_row_33_128_kernelILi1024ELi32ELi128ELi32ELi32EfEEv20rocsparse_direction_ii21rocsparse_index_base_PKT4_PKiS7_iiS2_PS3_PiS9_
		.amdhsa_group_segment_fixed_size 0
		.amdhsa_private_segment_fixed_size 0
		.amdhsa_kernarg_size 80
		.amdhsa_user_sgpr_count 6
		.amdhsa_user_sgpr_private_segment_buffer 1
		.amdhsa_user_sgpr_dispatch_ptr 0
		.amdhsa_user_sgpr_queue_ptr 0
		.amdhsa_user_sgpr_kernarg_segment_ptr 1
		.amdhsa_user_sgpr_dispatch_id 0
		.amdhsa_user_sgpr_flat_scratch_init 0
		.amdhsa_user_sgpr_kernarg_preload_length 0
		.amdhsa_user_sgpr_kernarg_preload_offset 0
		.amdhsa_user_sgpr_private_segment_size 0
		.amdhsa_uses_dynamic_stack 0
		.amdhsa_system_sgpr_private_segment_wavefront_offset 0
		.amdhsa_system_sgpr_workgroup_id_x 1
		.amdhsa_system_sgpr_workgroup_id_y 0
		.amdhsa_system_sgpr_workgroup_id_z 0
		.amdhsa_system_sgpr_workgroup_info 0
		.amdhsa_system_vgpr_workitem_id 0
		.amdhsa_next_free_vgpr 17
		.amdhsa_next_free_sgpr 29
		.amdhsa_accum_offset 20
		.amdhsa_reserve_vcc 1
		.amdhsa_reserve_flat_scratch 0
		.amdhsa_float_round_mode_32 0
		.amdhsa_float_round_mode_16_64 0
		.amdhsa_float_denorm_mode_32 3
		.amdhsa_float_denorm_mode_16_64 3
		.amdhsa_dx10_clamp 1
		.amdhsa_ieee_mode 1
		.amdhsa_fp16_overflow 0
		.amdhsa_tg_split 0
		.amdhsa_exception_fp_ieee_invalid_op 0
		.amdhsa_exception_fp_denorm_src 0
		.amdhsa_exception_fp_ieee_div_zero 0
		.amdhsa_exception_fp_ieee_overflow 0
		.amdhsa_exception_fp_ieee_underflow 0
		.amdhsa_exception_fp_ieee_inexact 0
		.amdhsa_exception_int_div_zero 0
	.end_amdhsa_kernel
	.section	.text._ZN9rocsparseL37gebsr2csr_block_per_row_33_128_kernelILi1024ELi32ELi128ELi32ELi32EfEEv20rocsparse_direction_ii21rocsparse_index_base_PKT4_PKiS7_iiS2_PS3_PiS9_,"axG",@progbits,_ZN9rocsparseL37gebsr2csr_block_per_row_33_128_kernelILi1024ELi32ELi128ELi32ELi32EfEEv20rocsparse_direction_ii21rocsparse_index_base_PKT4_PKiS7_iiS2_PS3_PiS9_,comdat
.Lfunc_end34:
	.size	_ZN9rocsparseL37gebsr2csr_block_per_row_33_128_kernelILi1024ELi32ELi128ELi32ELi32EfEEv20rocsparse_direction_ii21rocsparse_index_base_PKT4_PKiS7_iiS2_PS3_PiS9_, .Lfunc_end34-_ZN9rocsparseL37gebsr2csr_block_per_row_33_128_kernelILi1024ELi32ELi128ELi32ELi32EfEEv20rocsparse_direction_ii21rocsparse_index_base_PKT4_PKiS7_iiS2_PS3_PiS9_
                                        ; -- End function
	.section	.AMDGPU.csdata,"",@progbits
; Kernel info:
; codeLenInByte = 1160
; NumSgprs: 33
; NumVgprs: 17
; NumAgprs: 0
; TotalNumVgprs: 17
; ScratchSize: 0
; MemoryBound: 0
; FloatMode: 240
; IeeeMode: 1
; LDSByteSize: 0 bytes/workgroup (compile time only)
; SGPRBlocks: 4
; VGPRBlocks: 2
; NumSGPRsForWavesPerEU: 33
; NumVGPRsForWavesPerEU: 17
; AccumOffset: 20
; Occupancy: 8
; WaveLimiterHint : 1
; COMPUTE_PGM_RSRC2:SCRATCH_EN: 0
; COMPUTE_PGM_RSRC2:USER_SGPR: 6
; COMPUTE_PGM_RSRC2:TRAP_HANDLER: 0
; COMPUTE_PGM_RSRC2:TGID_X_EN: 1
; COMPUTE_PGM_RSRC2:TGID_Y_EN: 0
; COMPUTE_PGM_RSRC2:TGID_Z_EN: 0
; COMPUTE_PGM_RSRC2:TIDIG_COMP_CNT: 0
; COMPUTE_PGM_RSRC3_GFX90A:ACCUM_OFFSET: 4
; COMPUTE_PGM_RSRC3_GFX90A:TG_SPLIT: 0
	.section	.text._ZN9rocsparseL37gebsr2csr_block_per_row_33_128_kernelILi1024ELi64ELi2ELi32ELi2EfEEv20rocsparse_direction_ii21rocsparse_index_base_PKT4_PKiS7_iiS2_PS3_PiS9_,"axG",@progbits,_ZN9rocsparseL37gebsr2csr_block_per_row_33_128_kernelILi1024ELi64ELi2ELi32ELi2EfEEv20rocsparse_direction_ii21rocsparse_index_base_PKT4_PKiS7_iiS2_PS3_PiS9_,comdat
	.globl	_ZN9rocsparseL37gebsr2csr_block_per_row_33_128_kernelILi1024ELi64ELi2ELi32ELi2EfEEv20rocsparse_direction_ii21rocsparse_index_base_PKT4_PKiS7_iiS2_PS3_PiS9_ ; -- Begin function _ZN9rocsparseL37gebsr2csr_block_per_row_33_128_kernelILi1024ELi64ELi2ELi32ELi2EfEEv20rocsparse_direction_ii21rocsparse_index_base_PKT4_PKiS7_iiS2_PS3_PiS9_
	.p2align	8
	.type	_ZN9rocsparseL37gebsr2csr_block_per_row_33_128_kernelILi1024ELi64ELi2ELi32ELi2EfEEv20rocsparse_direction_ii21rocsparse_index_base_PKT4_PKiS7_iiS2_PS3_PiS9_,@function
_ZN9rocsparseL37gebsr2csr_block_per_row_33_128_kernelILi1024ELi64ELi2ELi32ELi2EfEEv20rocsparse_direction_ii21rocsparse_index_base_PKT4_PKiS7_iiS2_PS3_PiS9_: ; @_ZN9rocsparseL37gebsr2csr_block_per_row_33_128_kernelILi1024ELi64ELi2ELi32ELi2EfEEv20rocsparse_direction_ii21rocsparse_index_base_PKT4_PKiS7_iiS2_PS3_PiS9_
; %bb.0:
	s_load_dwordx2 s[0:1], s[4:5], 0x18
	s_load_dwordx4 s[8:11], s[4:5], 0x28
	s_load_dwordx2 s[14:15], s[4:5], 0x40
	s_ashr_i32 s7, s6, 31
	s_lshl_b64 s[2:3], s[6:7], 2
	s_waitcnt lgkmcnt(0)
	s_add_u32 s0, s0, s2
	s_addc_u32 s1, s1, s3
	s_load_dwordx2 s[18:19], s[0:1], 0x0
	v_or_b32_e32 v1, s6, v0
	v_cmp_eq_u32_e32 vcc, 0, v1
	s_and_saveexec_b64 s[0:1], vcc
	s_cbranch_execz .LBB35_2
; %bb.1:
	v_mov_b32_e32 v1, 0
	v_mov_b32_e32 v2, s10
	global_store_dword v1, v2, s[14:15]
.LBB35_2:
	s_or_b64 exec, exec, s[0:1]
	s_load_dword s20, s[4:5], 0xc
	v_lshrrev_b32_e32 v4, 1, v0
	s_mul_i32 s16, s6, s8
	s_waitcnt lgkmcnt(0)
	s_sub_i32 s12, s18, s20
	s_sub_i32 s21, s19, s20
	s_mul_i32 s11, s12, s9
	s_sub_i32 s13, s21, s12
	s_mul_i32 s0, s11, s8
	s_mul_i32 s17, s13, s9
	s_add_i32 s22, s0, s10
	s_add_i32 s22, s22, s17
	v_cmp_gt_i32_e64 s[0:1], s8, v4
	s_and_saveexec_b64 s[2:3], s[0:1]
	s_cbranch_execz .LBB35_4
; %bb.3:
	v_add_u32_e32 v2, s16, v4
	v_ashrrev_i32_e32 v3, 31, v2
	v_lshlrev_b64 v[2:3], 2, v[2:3]
	v_mul_lo_u32 v1, v4, s17
	v_mov_b32_e32 v5, s15
	v_add_co_u32_e32 v2, vcc, s14, v2
	v_add_u32_e32 v1, s22, v1
	v_addc_co_u32_e32 v3, vcc, v5, v3, vcc
	global_store_dword v[2:3], v1, off offset:4
.LBB35_4:
	s_or_b64 exec, exec, s[2:3]
	v_add_u32_e32 v1, 32, v4
	v_cmp_gt_i32_e64 s[2:3], s8, v1
	s_and_saveexec_b64 s[6:7], s[2:3]
	s_cbranch_execz .LBB35_6
; %bb.5:
	s_add_u32 s14, s14, 4
	s_addc_u32 s15, s15, 0
	v_mul_lo_u32 v1, v1, s17
	s_ashr_i32 s17, s16, 31
	v_mov_b32_e32 v3, s17
	v_add_co_u32_e32 v2, vcc, s16, v4
	v_addc_co_u32_e32 v3, vcc, 0, v3, vcc
	v_lshlrev_b64 v[2:3], 2, v[2:3]
	v_mov_b32_e32 v5, s15
	v_add_co_u32_e32 v2, vcc, s14, v2
	v_add_u32_e32 v1, s22, v1
	v_addc_co_u32_e32 v3, vcc, v5, v3, vcc
	global_store_dword v[2:3], v1, off offset:128
.LBB35_6:
	s_or_b64 exec, exec, s[6:7]
	s_cmp_lt_i32 s18, s19
	s_cbranch_scc0 .LBB35_13
; %bb.7:
	s_load_dwordx2 s[24:25], s[4:5], 0x20
	s_load_dwordx2 s[6:7], s[4:5], 0x38
	;; [unrolled: 1-line block ×4, first 2 shown]
	s_load_dword s26, s[4:5], 0x0
	v_and_b32_e32 v0, 1, v0
	s_mul_i32 s28, s8, s12
	v_add_u32_e32 v5, s28, v4
	v_add_u32_e32 v2, s11, v0
	v_add_u32_e32 v1, s10, v0
	v_mad_u64_u32 v[2:3], s[10:11], s8, v2, v[4:5]
	v_cmp_gt_i32_e64 s[4:5], s9, v0
	s_waitcnt lgkmcnt(0)
	s_cmp_eq_u32 s26, 0
	v_mul_lo_u32 v3, v4, s13
	v_add_u32_e32 v4, 32, v5
	v_mad_u64_u32 v[6:7], s[26:27], s9, v5, v[0:1]
	s_cselect_b64 vcc, -1, 0
	s_and_b64 s[10:11], s[4:5], s[0:1]
	v_mad_u64_u32 v[4:5], s[0:1], s9, v4, v[0:1]
	v_add_u32_e32 v5, s28, v3
	v_lshl_add_u32 v3, s19, 5, v5
	s_lshl_b32 s0, s18, 5
	s_ashr_i32 s13, s12, 31
	s_and_b64 s[2:3], s[4:5], s[2:3]
	v_subrev_u32_e32 v3, s0, v3
	s_lshl_b64 s[0:1], s[12:13], 2
	s_add_u32 s4, s24, s0
	s_mul_i32 s22, s9, s8
	s_mov_b32 s23, 0
	v_mul_lo_u32 v3, s9, v3
	v_mul_lo_u32 v5, s9, v5
	s_addc_u32 s5, s25, s1
	v_cndmask_b32_e32 v6, v2, v6, vcc
	s_branch .LBB35_9
.LBB35_8:                               ;   in Loop: Header=BB35_9 Depth=1
	s_or_b64 exec, exec, s[18:19]
	s_add_i32 s12, s12, 1
	s_add_i32 s23, s23, s22
	s_add_u32 s4, s4, 4
	s_addc_u32 s5, s5, 0
	s_cmp_ge_i32 s12, s21
	v_add_u32_e32 v0, s9, v0
	s_cbranch_scc1 .LBB35_13
.LBB35_9:                               ; =>This Inner Loop Header: Depth=1
	s_load_dword s0, s[4:5], 0x0
	s_waitcnt lgkmcnt(0)
	s_sub_i32 s0, s0, s20
	s_mul_i32 s0, s0, s9
	v_add_u32_e32 v7, s0, v1
	s_and_saveexec_b64 s[18:19], s[10:11]
	s_cbranch_execz .LBB35_11
; %bb.10:                               ;   in Loop: Header=BB35_9 Depth=1
	v_add_u32_e32 v8, s23, v6
	v_ashrrev_i32_e32 v9, 31, v8
	v_lshlrev_b64 v[8:9], 2, v[8:9]
	v_mov_b32_e32 v10, s17
	v_add_co_u32_e64 v8, s[0:1], s16, v8
	v_addc_co_u32_e64 v9, s[0:1], v10, v9, s[0:1]
	global_load_dword v12, v[8:9], off
	v_add_u32_e32 v8, v5, v0
	v_ashrrev_i32_e32 v9, 31, v8
	v_lshlrev_b64 v[8:9], 2, v[8:9]
	v_mov_b32_e32 v11, s15
	v_add_co_u32_e64 v10, s[0:1], s14, v8
	v_addc_co_u32_e64 v11, s[0:1], v11, v9, s[0:1]
	global_store_dword v[10:11], v7, off
	v_mov_b32_e32 v10, s7
	v_add_co_u32_e64 v8, s[0:1], s6, v8
	v_addc_co_u32_e64 v9, s[0:1], v10, v9, s[0:1]
	s_waitcnt vmcnt(1)
	global_store_dword v[8:9], v12, off
.LBB35_11:                              ;   in Loop: Header=BB35_9 Depth=1
	s_or_b64 exec, exec, s[18:19]
	s_and_saveexec_b64 s[18:19], s[2:3]
	s_cbranch_execz .LBB35_8
; %bb.12:                               ;   in Loop: Header=BB35_9 Depth=1
	v_add_u32_e32 v8, s23, v4
	v_add3_u32 v9, v2, s23, 32
	v_cndmask_b32_e32 v8, v9, v8, vcc
	v_ashrrev_i32_e32 v9, 31, v8
	v_lshlrev_b64 v[8:9], 2, v[8:9]
	v_mov_b32_e32 v10, s17
	v_add_co_u32_e64 v8, s[0:1], s16, v8
	v_addc_co_u32_e64 v9, s[0:1], v10, v9, s[0:1]
	global_load_dword v12, v[8:9], off
	v_add_u32_e32 v8, v3, v0
	v_ashrrev_i32_e32 v9, 31, v8
	v_lshlrev_b64 v[8:9], 2, v[8:9]
	v_mov_b32_e32 v11, s15
	v_add_co_u32_e64 v10, s[0:1], s14, v8
	v_addc_co_u32_e64 v11, s[0:1], v11, v9, s[0:1]
	global_store_dword v[10:11], v7, off
	v_mov_b32_e32 v7, s7
	v_add_co_u32_e64 v8, s[0:1], s6, v8
	v_addc_co_u32_e64 v9, s[0:1], v7, v9, s[0:1]
	s_waitcnt vmcnt(1)
	global_store_dword v[8:9], v12, off
	s_branch .LBB35_8
.LBB35_13:
	s_endpgm
	.section	.rodata,"a",@progbits
	.p2align	6, 0x0
	.amdhsa_kernel _ZN9rocsparseL37gebsr2csr_block_per_row_33_128_kernelILi1024ELi64ELi2ELi32ELi2EfEEv20rocsparse_direction_ii21rocsparse_index_base_PKT4_PKiS7_iiS2_PS3_PiS9_
		.amdhsa_group_segment_fixed_size 0
		.amdhsa_private_segment_fixed_size 0
		.amdhsa_kernarg_size 80
		.amdhsa_user_sgpr_count 6
		.amdhsa_user_sgpr_private_segment_buffer 1
		.amdhsa_user_sgpr_dispatch_ptr 0
		.amdhsa_user_sgpr_queue_ptr 0
		.amdhsa_user_sgpr_kernarg_segment_ptr 1
		.amdhsa_user_sgpr_dispatch_id 0
		.amdhsa_user_sgpr_flat_scratch_init 0
		.amdhsa_user_sgpr_kernarg_preload_length 0
		.amdhsa_user_sgpr_kernarg_preload_offset 0
		.amdhsa_user_sgpr_private_segment_size 0
		.amdhsa_uses_dynamic_stack 0
		.amdhsa_system_sgpr_private_segment_wavefront_offset 0
		.amdhsa_system_sgpr_workgroup_id_x 1
		.amdhsa_system_sgpr_workgroup_id_y 0
		.amdhsa_system_sgpr_workgroup_id_z 0
		.amdhsa_system_sgpr_workgroup_info 0
		.amdhsa_system_vgpr_workitem_id 0
		.amdhsa_next_free_vgpr 13
		.amdhsa_next_free_sgpr 29
		.amdhsa_accum_offset 16
		.amdhsa_reserve_vcc 1
		.amdhsa_reserve_flat_scratch 0
		.amdhsa_float_round_mode_32 0
		.amdhsa_float_round_mode_16_64 0
		.amdhsa_float_denorm_mode_32 3
		.amdhsa_float_denorm_mode_16_64 3
		.amdhsa_dx10_clamp 1
		.amdhsa_ieee_mode 1
		.amdhsa_fp16_overflow 0
		.amdhsa_tg_split 0
		.amdhsa_exception_fp_ieee_invalid_op 0
		.amdhsa_exception_fp_denorm_src 0
		.amdhsa_exception_fp_ieee_div_zero 0
		.amdhsa_exception_fp_ieee_overflow 0
		.amdhsa_exception_fp_ieee_underflow 0
		.amdhsa_exception_fp_ieee_inexact 0
		.amdhsa_exception_int_div_zero 0
	.end_amdhsa_kernel
	.section	.text._ZN9rocsparseL37gebsr2csr_block_per_row_33_128_kernelILi1024ELi64ELi2ELi32ELi2EfEEv20rocsparse_direction_ii21rocsparse_index_base_PKT4_PKiS7_iiS2_PS3_PiS9_,"axG",@progbits,_ZN9rocsparseL37gebsr2csr_block_per_row_33_128_kernelILi1024ELi64ELi2ELi32ELi2EfEEv20rocsparse_direction_ii21rocsparse_index_base_PKT4_PKiS7_iiS2_PS3_PiS9_,comdat
.Lfunc_end35:
	.size	_ZN9rocsparseL37gebsr2csr_block_per_row_33_128_kernelILi1024ELi64ELi2ELi32ELi2EfEEv20rocsparse_direction_ii21rocsparse_index_base_PKT4_PKiS7_iiS2_PS3_PiS9_, .Lfunc_end35-_ZN9rocsparseL37gebsr2csr_block_per_row_33_128_kernelILi1024ELi64ELi2ELi32ELi2EfEEv20rocsparse_direction_ii21rocsparse_index_base_PKT4_PKiS7_iiS2_PS3_PiS9_
                                        ; -- End function
	.section	.AMDGPU.csdata,"",@progbits
; Kernel info:
; codeLenInByte = 832
; NumSgprs: 33
; NumVgprs: 13
; NumAgprs: 0
; TotalNumVgprs: 13
; ScratchSize: 0
; MemoryBound: 0
; FloatMode: 240
; IeeeMode: 1
; LDSByteSize: 0 bytes/workgroup (compile time only)
; SGPRBlocks: 4
; VGPRBlocks: 1
; NumSGPRsForWavesPerEU: 33
; NumVGPRsForWavesPerEU: 13
; AccumOffset: 16
; Occupancy: 8
; WaveLimiterHint : 1
; COMPUTE_PGM_RSRC2:SCRATCH_EN: 0
; COMPUTE_PGM_RSRC2:USER_SGPR: 6
; COMPUTE_PGM_RSRC2:TRAP_HANDLER: 0
; COMPUTE_PGM_RSRC2:TGID_X_EN: 1
; COMPUTE_PGM_RSRC2:TGID_Y_EN: 0
; COMPUTE_PGM_RSRC2:TGID_Z_EN: 0
; COMPUTE_PGM_RSRC2:TIDIG_COMP_CNT: 0
; COMPUTE_PGM_RSRC3_GFX90A:ACCUM_OFFSET: 3
; COMPUTE_PGM_RSRC3_GFX90A:TG_SPLIT: 0
	.section	.text._ZN9rocsparseL37gebsr2csr_block_per_row_33_128_kernelILi1024ELi64ELi4ELi32ELi4EfEEv20rocsparse_direction_ii21rocsparse_index_base_PKT4_PKiS7_iiS2_PS3_PiS9_,"axG",@progbits,_ZN9rocsparseL37gebsr2csr_block_per_row_33_128_kernelILi1024ELi64ELi4ELi32ELi4EfEEv20rocsparse_direction_ii21rocsparse_index_base_PKT4_PKiS7_iiS2_PS3_PiS9_,comdat
	.globl	_ZN9rocsparseL37gebsr2csr_block_per_row_33_128_kernelILi1024ELi64ELi4ELi32ELi4EfEEv20rocsparse_direction_ii21rocsparse_index_base_PKT4_PKiS7_iiS2_PS3_PiS9_ ; -- Begin function _ZN9rocsparseL37gebsr2csr_block_per_row_33_128_kernelILi1024ELi64ELi4ELi32ELi4EfEEv20rocsparse_direction_ii21rocsparse_index_base_PKT4_PKiS7_iiS2_PS3_PiS9_
	.p2align	8
	.type	_ZN9rocsparseL37gebsr2csr_block_per_row_33_128_kernelILi1024ELi64ELi4ELi32ELi4EfEEv20rocsparse_direction_ii21rocsparse_index_base_PKT4_PKiS7_iiS2_PS3_PiS9_,@function
_ZN9rocsparseL37gebsr2csr_block_per_row_33_128_kernelILi1024ELi64ELi4ELi32ELi4EfEEv20rocsparse_direction_ii21rocsparse_index_base_PKT4_PKiS7_iiS2_PS3_PiS9_: ; @_ZN9rocsparseL37gebsr2csr_block_per_row_33_128_kernelILi1024ELi64ELi4ELi32ELi4EfEEv20rocsparse_direction_ii21rocsparse_index_base_PKT4_PKiS7_iiS2_PS3_PiS9_
; %bb.0:
	s_load_dwordx2 s[0:1], s[4:5], 0x18
	s_load_dwordx4 s[8:11], s[4:5], 0x28
	s_load_dwordx2 s[14:15], s[4:5], 0x40
	s_ashr_i32 s7, s6, 31
	s_lshl_b64 s[2:3], s[6:7], 2
	s_waitcnt lgkmcnt(0)
	s_add_u32 s0, s0, s2
	s_addc_u32 s1, s1, s3
	s_load_dwordx2 s[18:19], s[0:1], 0x0
	v_or_b32_e32 v1, s6, v0
	v_cmp_eq_u32_e32 vcc, 0, v1
	s_and_saveexec_b64 s[0:1], vcc
	s_cbranch_execz .LBB36_2
; %bb.1:
	v_mov_b32_e32 v1, 0
	v_mov_b32_e32 v2, s10
	global_store_dword v1, v2, s[14:15]
.LBB36_2:
	s_or_b64 exec, exec, s[0:1]
	s_load_dword s20, s[4:5], 0xc
	v_lshrrev_b32_e32 v4, 2, v0
	s_mul_i32 s16, s6, s8
	s_waitcnt lgkmcnt(0)
	s_sub_i32 s12, s18, s20
	s_sub_i32 s21, s19, s20
	s_mul_i32 s11, s12, s9
	s_sub_i32 s13, s21, s12
	s_mul_i32 s0, s11, s8
	s_mul_i32 s17, s13, s9
	s_add_i32 s22, s0, s10
	s_add_i32 s22, s22, s17
	v_cmp_gt_i32_e64 s[0:1], s8, v4
	s_and_saveexec_b64 s[2:3], s[0:1]
	s_cbranch_execz .LBB36_4
; %bb.3:
	v_add_u32_e32 v2, s16, v4
	v_ashrrev_i32_e32 v3, 31, v2
	v_lshlrev_b64 v[2:3], 2, v[2:3]
	v_mul_lo_u32 v1, v4, s17
	v_mov_b32_e32 v5, s15
	v_add_co_u32_e32 v2, vcc, s14, v2
	v_add_u32_e32 v1, s22, v1
	v_addc_co_u32_e32 v3, vcc, v5, v3, vcc
	global_store_dword v[2:3], v1, off offset:4
.LBB36_4:
	s_or_b64 exec, exec, s[2:3]
	v_add_u32_e32 v1, 32, v4
	v_cmp_gt_i32_e64 s[2:3], s8, v1
	s_and_saveexec_b64 s[6:7], s[2:3]
	s_cbranch_execz .LBB36_6
; %bb.5:
	s_add_u32 s14, s14, 4
	s_addc_u32 s15, s15, 0
	v_mul_lo_u32 v1, v1, s17
	s_ashr_i32 s17, s16, 31
	v_mov_b32_e32 v3, s17
	v_add_co_u32_e32 v2, vcc, s16, v4
	v_addc_co_u32_e32 v3, vcc, 0, v3, vcc
	v_lshlrev_b64 v[2:3], 2, v[2:3]
	v_mov_b32_e32 v5, s15
	v_add_co_u32_e32 v2, vcc, s14, v2
	v_add_u32_e32 v1, s22, v1
	v_addc_co_u32_e32 v3, vcc, v5, v3, vcc
	global_store_dword v[2:3], v1, off offset:128
.LBB36_6:
	s_or_b64 exec, exec, s[6:7]
	s_cmp_lt_i32 s18, s19
	s_cbranch_scc0 .LBB36_13
; %bb.7:
	s_load_dwordx2 s[24:25], s[4:5], 0x20
	s_load_dwordx2 s[6:7], s[4:5], 0x38
	;; [unrolled: 1-line block ×4, first 2 shown]
	s_load_dword s26, s[4:5], 0x0
	v_and_b32_e32 v0, 3, v0
	s_mul_i32 s28, s8, s12
	v_add_u32_e32 v5, s28, v4
	v_add_u32_e32 v2, s11, v0
	;; [unrolled: 1-line block ×3, first 2 shown]
	v_mad_u64_u32 v[2:3], s[10:11], s8, v2, v[4:5]
	v_cmp_gt_i32_e64 s[4:5], s9, v0
	s_waitcnt lgkmcnt(0)
	s_cmp_eq_u32 s26, 0
	v_mul_lo_u32 v3, v4, s13
	v_add_u32_e32 v4, 32, v5
	v_mad_u64_u32 v[6:7], s[26:27], s9, v5, v[0:1]
	s_cselect_b64 vcc, -1, 0
	s_and_b64 s[10:11], s[4:5], s[0:1]
	v_mad_u64_u32 v[4:5], s[0:1], s9, v4, v[0:1]
	v_add_u32_e32 v5, s28, v3
	v_lshl_add_u32 v3, s19, 5, v5
	s_lshl_b32 s0, s18, 5
	s_ashr_i32 s13, s12, 31
	s_and_b64 s[2:3], s[4:5], s[2:3]
	v_subrev_u32_e32 v3, s0, v3
	s_lshl_b64 s[0:1], s[12:13], 2
	s_add_u32 s4, s24, s0
	s_mul_i32 s22, s9, s8
	s_mov_b32 s23, 0
	v_mul_lo_u32 v3, s9, v3
	v_mul_lo_u32 v5, s9, v5
	s_addc_u32 s5, s25, s1
	v_cndmask_b32_e32 v6, v2, v6, vcc
	s_branch .LBB36_9
.LBB36_8:                               ;   in Loop: Header=BB36_9 Depth=1
	s_or_b64 exec, exec, s[18:19]
	s_add_i32 s12, s12, 1
	s_add_i32 s23, s23, s22
	s_add_u32 s4, s4, 4
	s_addc_u32 s5, s5, 0
	s_cmp_ge_i32 s12, s21
	v_add_u32_e32 v0, s9, v0
	s_cbranch_scc1 .LBB36_13
.LBB36_9:                               ; =>This Inner Loop Header: Depth=1
	s_load_dword s0, s[4:5], 0x0
	s_waitcnt lgkmcnt(0)
	s_sub_i32 s0, s0, s20
	s_mul_i32 s0, s0, s9
	v_add_u32_e32 v7, s0, v1
	s_and_saveexec_b64 s[18:19], s[10:11]
	s_cbranch_execz .LBB36_11
; %bb.10:                               ;   in Loop: Header=BB36_9 Depth=1
	v_add_u32_e32 v8, s23, v6
	v_ashrrev_i32_e32 v9, 31, v8
	v_lshlrev_b64 v[8:9], 2, v[8:9]
	v_mov_b32_e32 v10, s17
	v_add_co_u32_e64 v8, s[0:1], s16, v8
	v_addc_co_u32_e64 v9, s[0:1], v10, v9, s[0:1]
	global_load_dword v12, v[8:9], off
	v_add_u32_e32 v8, v5, v0
	v_ashrrev_i32_e32 v9, 31, v8
	v_lshlrev_b64 v[8:9], 2, v[8:9]
	v_mov_b32_e32 v11, s15
	v_add_co_u32_e64 v10, s[0:1], s14, v8
	v_addc_co_u32_e64 v11, s[0:1], v11, v9, s[0:1]
	global_store_dword v[10:11], v7, off
	v_mov_b32_e32 v10, s7
	v_add_co_u32_e64 v8, s[0:1], s6, v8
	v_addc_co_u32_e64 v9, s[0:1], v10, v9, s[0:1]
	s_waitcnt vmcnt(1)
	global_store_dword v[8:9], v12, off
.LBB36_11:                              ;   in Loop: Header=BB36_9 Depth=1
	s_or_b64 exec, exec, s[18:19]
	s_and_saveexec_b64 s[18:19], s[2:3]
	s_cbranch_execz .LBB36_8
; %bb.12:                               ;   in Loop: Header=BB36_9 Depth=1
	v_add_u32_e32 v8, s23, v4
	v_add3_u32 v9, v2, s23, 32
	v_cndmask_b32_e32 v8, v9, v8, vcc
	v_ashrrev_i32_e32 v9, 31, v8
	v_lshlrev_b64 v[8:9], 2, v[8:9]
	v_mov_b32_e32 v10, s17
	v_add_co_u32_e64 v8, s[0:1], s16, v8
	v_addc_co_u32_e64 v9, s[0:1], v10, v9, s[0:1]
	global_load_dword v12, v[8:9], off
	v_add_u32_e32 v8, v3, v0
	v_ashrrev_i32_e32 v9, 31, v8
	v_lshlrev_b64 v[8:9], 2, v[8:9]
	v_mov_b32_e32 v11, s15
	v_add_co_u32_e64 v10, s[0:1], s14, v8
	v_addc_co_u32_e64 v11, s[0:1], v11, v9, s[0:1]
	global_store_dword v[10:11], v7, off
	v_mov_b32_e32 v7, s7
	v_add_co_u32_e64 v8, s[0:1], s6, v8
	v_addc_co_u32_e64 v9, s[0:1], v7, v9, s[0:1]
	s_waitcnt vmcnt(1)
	global_store_dword v[8:9], v12, off
	s_branch .LBB36_8
.LBB36_13:
	s_endpgm
	.section	.rodata,"a",@progbits
	.p2align	6, 0x0
	.amdhsa_kernel _ZN9rocsparseL37gebsr2csr_block_per_row_33_128_kernelILi1024ELi64ELi4ELi32ELi4EfEEv20rocsparse_direction_ii21rocsparse_index_base_PKT4_PKiS7_iiS2_PS3_PiS9_
		.amdhsa_group_segment_fixed_size 0
		.amdhsa_private_segment_fixed_size 0
		.amdhsa_kernarg_size 80
		.amdhsa_user_sgpr_count 6
		.amdhsa_user_sgpr_private_segment_buffer 1
		.amdhsa_user_sgpr_dispatch_ptr 0
		.amdhsa_user_sgpr_queue_ptr 0
		.amdhsa_user_sgpr_kernarg_segment_ptr 1
		.amdhsa_user_sgpr_dispatch_id 0
		.amdhsa_user_sgpr_flat_scratch_init 0
		.amdhsa_user_sgpr_kernarg_preload_length 0
		.amdhsa_user_sgpr_kernarg_preload_offset 0
		.amdhsa_user_sgpr_private_segment_size 0
		.amdhsa_uses_dynamic_stack 0
		.amdhsa_system_sgpr_private_segment_wavefront_offset 0
		.amdhsa_system_sgpr_workgroup_id_x 1
		.amdhsa_system_sgpr_workgroup_id_y 0
		.amdhsa_system_sgpr_workgroup_id_z 0
		.amdhsa_system_sgpr_workgroup_info 0
		.amdhsa_system_vgpr_workitem_id 0
		.amdhsa_next_free_vgpr 13
		.amdhsa_next_free_sgpr 29
		.amdhsa_accum_offset 16
		.amdhsa_reserve_vcc 1
		.amdhsa_reserve_flat_scratch 0
		.amdhsa_float_round_mode_32 0
		.amdhsa_float_round_mode_16_64 0
		.amdhsa_float_denorm_mode_32 3
		.amdhsa_float_denorm_mode_16_64 3
		.amdhsa_dx10_clamp 1
		.amdhsa_ieee_mode 1
		.amdhsa_fp16_overflow 0
		.amdhsa_tg_split 0
		.amdhsa_exception_fp_ieee_invalid_op 0
		.amdhsa_exception_fp_denorm_src 0
		.amdhsa_exception_fp_ieee_div_zero 0
		.amdhsa_exception_fp_ieee_overflow 0
		.amdhsa_exception_fp_ieee_underflow 0
		.amdhsa_exception_fp_ieee_inexact 0
		.amdhsa_exception_int_div_zero 0
	.end_amdhsa_kernel
	.section	.text._ZN9rocsparseL37gebsr2csr_block_per_row_33_128_kernelILi1024ELi64ELi4ELi32ELi4EfEEv20rocsparse_direction_ii21rocsparse_index_base_PKT4_PKiS7_iiS2_PS3_PiS9_,"axG",@progbits,_ZN9rocsparseL37gebsr2csr_block_per_row_33_128_kernelILi1024ELi64ELi4ELi32ELi4EfEEv20rocsparse_direction_ii21rocsparse_index_base_PKT4_PKiS7_iiS2_PS3_PiS9_,comdat
.Lfunc_end36:
	.size	_ZN9rocsparseL37gebsr2csr_block_per_row_33_128_kernelILi1024ELi64ELi4ELi32ELi4EfEEv20rocsparse_direction_ii21rocsparse_index_base_PKT4_PKiS7_iiS2_PS3_PiS9_, .Lfunc_end36-_ZN9rocsparseL37gebsr2csr_block_per_row_33_128_kernelILi1024ELi64ELi4ELi32ELi4EfEEv20rocsparse_direction_ii21rocsparse_index_base_PKT4_PKiS7_iiS2_PS3_PiS9_
                                        ; -- End function
	.section	.AMDGPU.csdata,"",@progbits
; Kernel info:
; codeLenInByte = 832
; NumSgprs: 33
; NumVgprs: 13
; NumAgprs: 0
; TotalNumVgprs: 13
; ScratchSize: 0
; MemoryBound: 0
; FloatMode: 240
; IeeeMode: 1
; LDSByteSize: 0 bytes/workgroup (compile time only)
; SGPRBlocks: 4
; VGPRBlocks: 1
; NumSGPRsForWavesPerEU: 33
; NumVGPRsForWavesPerEU: 13
; AccumOffset: 16
; Occupancy: 8
; WaveLimiterHint : 1
; COMPUTE_PGM_RSRC2:SCRATCH_EN: 0
; COMPUTE_PGM_RSRC2:USER_SGPR: 6
; COMPUTE_PGM_RSRC2:TRAP_HANDLER: 0
; COMPUTE_PGM_RSRC2:TGID_X_EN: 1
; COMPUTE_PGM_RSRC2:TGID_Y_EN: 0
; COMPUTE_PGM_RSRC2:TGID_Z_EN: 0
; COMPUTE_PGM_RSRC2:TIDIG_COMP_CNT: 0
; COMPUTE_PGM_RSRC3_GFX90A:ACCUM_OFFSET: 3
; COMPUTE_PGM_RSRC3_GFX90A:TG_SPLIT: 0
	.section	.text._ZN9rocsparseL37gebsr2csr_block_per_row_33_128_kernelILi1024ELi64ELi8ELi32ELi8EfEEv20rocsparse_direction_ii21rocsparse_index_base_PKT4_PKiS7_iiS2_PS3_PiS9_,"axG",@progbits,_ZN9rocsparseL37gebsr2csr_block_per_row_33_128_kernelILi1024ELi64ELi8ELi32ELi8EfEEv20rocsparse_direction_ii21rocsparse_index_base_PKT4_PKiS7_iiS2_PS3_PiS9_,comdat
	.globl	_ZN9rocsparseL37gebsr2csr_block_per_row_33_128_kernelILi1024ELi64ELi8ELi32ELi8EfEEv20rocsparse_direction_ii21rocsparse_index_base_PKT4_PKiS7_iiS2_PS3_PiS9_ ; -- Begin function _ZN9rocsparseL37gebsr2csr_block_per_row_33_128_kernelILi1024ELi64ELi8ELi32ELi8EfEEv20rocsparse_direction_ii21rocsparse_index_base_PKT4_PKiS7_iiS2_PS3_PiS9_
	.p2align	8
	.type	_ZN9rocsparseL37gebsr2csr_block_per_row_33_128_kernelILi1024ELi64ELi8ELi32ELi8EfEEv20rocsparse_direction_ii21rocsparse_index_base_PKT4_PKiS7_iiS2_PS3_PiS9_,@function
_ZN9rocsparseL37gebsr2csr_block_per_row_33_128_kernelILi1024ELi64ELi8ELi32ELi8EfEEv20rocsparse_direction_ii21rocsparse_index_base_PKT4_PKiS7_iiS2_PS3_PiS9_: ; @_ZN9rocsparseL37gebsr2csr_block_per_row_33_128_kernelILi1024ELi64ELi8ELi32ELi8EfEEv20rocsparse_direction_ii21rocsparse_index_base_PKT4_PKiS7_iiS2_PS3_PiS9_
; %bb.0:
	s_load_dwordx2 s[0:1], s[4:5], 0x18
	s_load_dwordx4 s[8:11], s[4:5], 0x28
	s_load_dwordx2 s[14:15], s[4:5], 0x40
	s_ashr_i32 s7, s6, 31
	s_lshl_b64 s[2:3], s[6:7], 2
	s_waitcnt lgkmcnt(0)
	s_add_u32 s0, s0, s2
	s_addc_u32 s1, s1, s3
	s_load_dwordx2 s[18:19], s[0:1], 0x0
	v_or_b32_e32 v1, s6, v0
	v_cmp_eq_u32_e32 vcc, 0, v1
	s_and_saveexec_b64 s[0:1], vcc
	s_cbranch_execz .LBB37_2
; %bb.1:
	v_mov_b32_e32 v1, 0
	v_mov_b32_e32 v2, s10
	global_store_dword v1, v2, s[14:15]
.LBB37_2:
	s_or_b64 exec, exec, s[0:1]
	s_load_dword s20, s[4:5], 0xc
	v_lshrrev_b32_e32 v4, 3, v0
	s_mul_i32 s16, s6, s8
	s_waitcnt lgkmcnt(0)
	s_sub_i32 s12, s18, s20
	s_sub_i32 s21, s19, s20
	s_mul_i32 s11, s12, s9
	s_sub_i32 s13, s21, s12
	s_mul_i32 s0, s11, s8
	s_mul_i32 s17, s13, s9
	s_add_i32 s22, s0, s10
	s_add_i32 s22, s22, s17
	v_cmp_gt_i32_e64 s[0:1], s8, v4
	s_and_saveexec_b64 s[2:3], s[0:1]
	s_cbranch_execz .LBB37_4
; %bb.3:
	v_add_u32_e32 v2, s16, v4
	v_ashrrev_i32_e32 v3, 31, v2
	v_lshlrev_b64 v[2:3], 2, v[2:3]
	v_mul_lo_u32 v1, v4, s17
	v_mov_b32_e32 v5, s15
	v_add_co_u32_e32 v2, vcc, s14, v2
	v_add_u32_e32 v1, s22, v1
	v_addc_co_u32_e32 v3, vcc, v5, v3, vcc
	global_store_dword v[2:3], v1, off offset:4
.LBB37_4:
	s_or_b64 exec, exec, s[2:3]
	v_add_u32_e32 v1, 32, v4
	v_cmp_gt_i32_e64 s[2:3], s8, v1
	s_and_saveexec_b64 s[6:7], s[2:3]
	s_cbranch_execz .LBB37_6
; %bb.5:
	s_add_u32 s14, s14, 4
	s_addc_u32 s15, s15, 0
	v_mul_lo_u32 v1, v1, s17
	s_ashr_i32 s17, s16, 31
	v_mov_b32_e32 v3, s17
	v_add_co_u32_e32 v2, vcc, s16, v4
	v_addc_co_u32_e32 v3, vcc, 0, v3, vcc
	v_lshlrev_b64 v[2:3], 2, v[2:3]
	v_mov_b32_e32 v5, s15
	v_add_co_u32_e32 v2, vcc, s14, v2
	v_add_u32_e32 v1, s22, v1
	v_addc_co_u32_e32 v3, vcc, v5, v3, vcc
	global_store_dword v[2:3], v1, off offset:128
.LBB37_6:
	s_or_b64 exec, exec, s[6:7]
	s_cmp_lt_i32 s18, s19
	s_cbranch_scc0 .LBB37_13
; %bb.7:
	s_load_dwordx2 s[24:25], s[4:5], 0x20
	s_load_dwordx2 s[6:7], s[4:5], 0x38
	;; [unrolled: 1-line block ×4, first 2 shown]
	s_load_dword s26, s[4:5], 0x0
	v_and_b32_e32 v0, 7, v0
	s_mul_i32 s28, s8, s12
	v_add_u32_e32 v5, s28, v4
	v_add_u32_e32 v2, s11, v0
	;; [unrolled: 1-line block ×3, first 2 shown]
	v_mad_u64_u32 v[2:3], s[10:11], s8, v2, v[4:5]
	v_cmp_gt_i32_e64 s[4:5], s9, v0
	s_waitcnt lgkmcnt(0)
	s_cmp_eq_u32 s26, 0
	v_mul_lo_u32 v3, v4, s13
	v_add_u32_e32 v4, 32, v5
	v_mad_u64_u32 v[6:7], s[26:27], s9, v5, v[0:1]
	s_cselect_b64 vcc, -1, 0
	s_and_b64 s[10:11], s[4:5], s[0:1]
	v_mad_u64_u32 v[4:5], s[0:1], s9, v4, v[0:1]
	v_add_u32_e32 v5, s28, v3
	v_lshl_add_u32 v3, s19, 5, v5
	s_lshl_b32 s0, s18, 5
	s_ashr_i32 s13, s12, 31
	s_and_b64 s[2:3], s[4:5], s[2:3]
	v_subrev_u32_e32 v3, s0, v3
	s_lshl_b64 s[0:1], s[12:13], 2
	s_add_u32 s4, s24, s0
	s_mul_i32 s22, s9, s8
	s_mov_b32 s23, 0
	v_mul_lo_u32 v3, s9, v3
	v_mul_lo_u32 v5, s9, v5
	s_addc_u32 s5, s25, s1
	v_cndmask_b32_e32 v6, v2, v6, vcc
	s_branch .LBB37_9
.LBB37_8:                               ;   in Loop: Header=BB37_9 Depth=1
	s_or_b64 exec, exec, s[18:19]
	s_add_i32 s12, s12, 1
	s_add_i32 s23, s23, s22
	s_add_u32 s4, s4, 4
	s_addc_u32 s5, s5, 0
	s_cmp_ge_i32 s12, s21
	v_add_u32_e32 v0, s9, v0
	s_cbranch_scc1 .LBB37_13
.LBB37_9:                               ; =>This Inner Loop Header: Depth=1
	s_load_dword s0, s[4:5], 0x0
	s_waitcnt lgkmcnt(0)
	s_sub_i32 s0, s0, s20
	s_mul_i32 s0, s0, s9
	v_add_u32_e32 v7, s0, v1
	s_and_saveexec_b64 s[18:19], s[10:11]
	s_cbranch_execz .LBB37_11
; %bb.10:                               ;   in Loop: Header=BB37_9 Depth=1
	v_add_u32_e32 v8, s23, v6
	v_ashrrev_i32_e32 v9, 31, v8
	v_lshlrev_b64 v[8:9], 2, v[8:9]
	v_mov_b32_e32 v10, s17
	v_add_co_u32_e64 v8, s[0:1], s16, v8
	v_addc_co_u32_e64 v9, s[0:1], v10, v9, s[0:1]
	global_load_dword v12, v[8:9], off
	v_add_u32_e32 v8, v5, v0
	v_ashrrev_i32_e32 v9, 31, v8
	v_lshlrev_b64 v[8:9], 2, v[8:9]
	v_mov_b32_e32 v11, s15
	v_add_co_u32_e64 v10, s[0:1], s14, v8
	v_addc_co_u32_e64 v11, s[0:1], v11, v9, s[0:1]
	global_store_dword v[10:11], v7, off
	v_mov_b32_e32 v10, s7
	v_add_co_u32_e64 v8, s[0:1], s6, v8
	v_addc_co_u32_e64 v9, s[0:1], v10, v9, s[0:1]
	s_waitcnt vmcnt(1)
	global_store_dword v[8:9], v12, off
.LBB37_11:                              ;   in Loop: Header=BB37_9 Depth=1
	s_or_b64 exec, exec, s[18:19]
	s_and_saveexec_b64 s[18:19], s[2:3]
	s_cbranch_execz .LBB37_8
; %bb.12:                               ;   in Loop: Header=BB37_9 Depth=1
	v_add_u32_e32 v8, s23, v4
	v_add3_u32 v9, v2, s23, 32
	v_cndmask_b32_e32 v8, v9, v8, vcc
	v_ashrrev_i32_e32 v9, 31, v8
	v_lshlrev_b64 v[8:9], 2, v[8:9]
	v_mov_b32_e32 v10, s17
	v_add_co_u32_e64 v8, s[0:1], s16, v8
	v_addc_co_u32_e64 v9, s[0:1], v10, v9, s[0:1]
	global_load_dword v12, v[8:9], off
	v_add_u32_e32 v8, v3, v0
	v_ashrrev_i32_e32 v9, 31, v8
	v_lshlrev_b64 v[8:9], 2, v[8:9]
	v_mov_b32_e32 v11, s15
	v_add_co_u32_e64 v10, s[0:1], s14, v8
	v_addc_co_u32_e64 v11, s[0:1], v11, v9, s[0:1]
	global_store_dword v[10:11], v7, off
	v_mov_b32_e32 v7, s7
	v_add_co_u32_e64 v8, s[0:1], s6, v8
	v_addc_co_u32_e64 v9, s[0:1], v7, v9, s[0:1]
	s_waitcnt vmcnt(1)
	global_store_dword v[8:9], v12, off
	s_branch .LBB37_8
.LBB37_13:
	s_endpgm
	.section	.rodata,"a",@progbits
	.p2align	6, 0x0
	.amdhsa_kernel _ZN9rocsparseL37gebsr2csr_block_per_row_33_128_kernelILi1024ELi64ELi8ELi32ELi8EfEEv20rocsparse_direction_ii21rocsparse_index_base_PKT4_PKiS7_iiS2_PS3_PiS9_
		.amdhsa_group_segment_fixed_size 0
		.amdhsa_private_segment_fixed_size 0
		.amdhsa_kernarg_size 80
		.amdhsa_user_sgpr_count 6
		.amdhsa_user_sgpr_private_segment_buffer 1
		.amdhsa_user_sgpr_dispatch_ptr 0
		.amdhsa_user_sgpr_queue_ptr 0
		.amdhsa_user_sgpr_kernarg_segment_ptr 1
		.amdhsa_user_sgpr_dispatch_id 0
		.amdhsa_user_sgpr_flat_scratch_init 0
		.amdhsa_user_sgpr_kernarg_preload_length 0
		.amdhsa_user_sgpr_kernarg_preload_offset 0
		.amdhsa_user_sgpr_private_segment_size 0
		.amdhsa_uses_dynamic_stack 0
		.amdhsa_system_sgpr_private_segment_wavefront_offset 0
		.amdhsa_system_sgpr_workgroup_id_x 1
		.amdhsa_system_sgpr_workgroup_id_y 0
		.amdhsa_system_sgpr_workgroup_id_z 0
		.amdhsa_system_sgpr_workgroup_info 0
		.amdhsa_system_vgpr_workitem_id 0
		.amdhsa_next_free_vgpr 13
		.amdhsa_next_free_sgpr 29
		.amdhsa_accum_offset 16
		.amdhsa_reserve_vcc 1
		.amdhsa_reserve_flat_scratch 0
		.amdhsa_float_round_mode_32 0
		.amdhsa_float_round_mode_16_64 0
		.amdhsa_float_denorm_mode_32 3
		.amdhsa_float_denorm_mode_16_64 3
		.amdhsa_dx10_clamp 1
		.amdhsa_ieee_mode 1
		.amdhsa_fp16_overflow 0
		.amdhsa_tg_split 0
		.amdhsa_exception_fp_ieee_invalid_op 0
		.amdhsa_exception_fp_denorm_src 0
		.amdhsa_exception_fp_ieee_div_zero 0
		.amdhsa_exception_fp_ieee_overflow 0
		.amdhsa_exception_fp_ieee_underflow 0
		.amdhsa_exception_fp_ieee_inexact 0
		.amdhsa_exception_int_div_zero 0
	.end_amdhsa_kernel
	.section	.text._ZN9rocsparseL37gebsr2csr_block_per_row_33_128_kernelILi1024ELi64ELi8ELi32ELi8EfEEv20rocsparse_direction_ii21rocsparse_index_base_PKT4_PKiS7_iiS2_PS3_PiS9_,"axG",@progbits,_ZN9rocsparseL37gebsr2csr_block_per_row_33_128_kernelILi1024ELi64ELi8ELi32ELi8EfEEv20rocsparse_direction_ii21rocsparse_index_base_PKT4_PKiS7_iiS2_PS3_PiS9_,comdat
.Lfunc_end37:
	.size	_ZN9rocsparseL37gebsr2csr_block_per_row_33_128_kernelILi1024ELi64ELi8ELi32ELi8EfEEv20rocsparse_direction_ii21rocsparse_index_base_PKT4_PKiS7_iiS2_PS3_PiS9_, .Lfunc_end37-_ZN9rocsparseL37gebsr2csr_block_per_row_33_128_kernelILi1024ELi64ELi8ELi32ELi8EfEEv20rocsparse_direction_ii21rocsparse_index_base_PKT4_PKiS7_iiS2_PS3_PiS9_
                                        ; -- End function
	.section	.AMDGPU.csdata,"",@progbits
; Kernel info:
; codeLenInByte = 832
; NumSgprs: 33
; NumVgprs: 13
; NumAgprs: 0
; TotalNumVgprs: 13
; ScratchSize: 0
; MemoryBound: 0
; FloatMode: 240
; IeeeMode: 1
; LDSByteSize: 0 bytes/workgroup (compile time only)
; SGPRBlocks: 4
; VGPRBlocks: 1
; NumSGPRsForWavesPerEU: 33
; NumVGPRsForWavesPerEU: 13
; AccumOffset: 16
; Occupancy: 8
; WaveLimiterHint : 1
; COMPUTE_PGM_RSRC2:SCRATCH_EN: 0
; COMPUTE_PGM_RSRC2:USER_SGPR: 6
; COMPUTE_PGM_RSRC2:TRAP_HANDLER: 0
; COMPUTE_PGM_RSRC2:TGID_X_EN: 1
; COMPUTE_PGM_RSRC2:TGID_Y_EN: 0
; COMPUTE_PGM_RSRC2:TGID_Z_EN: 0
; COMPUTE_PGM_RSRC2:TIDIG_COMP_CNT: 0
; COMPUTE_PGM_RSRC3_GFX90A:ACCUM_OFFSET: 3
; COMPUTE_PGM_RSRC3_GFX90A:TG_SPLIT: 0
	.section	.text._ZN9rocsparseL37gebsr2csr_block_per_row_33_128_kernelILi1024ELi64ELi16ELi32ELi16EfEEv20rocsparse_direction_ii21rocsparse_index_base_PKT4_PKiS7_iiS2_PS3_PiS9_,"axG",@progbits,_ZN9rocsparseL37gebsr2csr_block_per_row_33_128_kernelILi1024ELi64ELi16ELi32ELi16EfEEv20rocsparse_direction_ii21rocsparse_index_base_PKT4_PKiS7_iiS2_PS3_PiS9_,comdat
	.globl	_ZN9rocsparseL37gebsr2csr_block_per_row_33_128_kernelILi1024ELi64ELi16ELi32ELi16EfEEv20rocsparse_direction_ii21rocsparse_index_base_PKT4_PKiS7_iiS2_PS3_PiS9_ ; -- Begin function _ZN9rocsparseL37gebsr2csr_block_per_row_33_128_kernelILi1024ELi64ELi16ELi32ELi16EfEEv20rocsparse_direction_ii21rocsparse_index_base_PKT4_PKiS7_iiS2_PS3_PiS9_
	.p2align	8
	.type	_ZN9rocsparseL37gebsr2csr_block_per_row_33_128_kernelILi1024ELi64ELi16ELi32ELi16EfEEv20rocsparse_direction_ii21rocsparse_index_base_PKT4_PKiS7_iiS2_PS3_PiS9_,@function
_ZN9rocsparseL37gebsr2csr_block_per_row_33_128_kernelILi1024ELi64ELi16ELi32ELi16EfEEv20rocsparse_direction_ii21rocsparse_index_base_PKT4_PKiS7_iiS2_PS3_PiS9_: ; @_ZN9rocsparseL37gebsr2csr_block_per_row_33_128_kernelILi1024ELi64ELi16ELi32ELi16EfEEv20rocsparse_direction_ii21rocsparse_index_base_PKT4_PKiS7_iiS2_PS3_PiS9_
; %bb.0:
	s_load_dwordx2 s[0:1], s[4:5], 0x18
	s_load_dwordx4 s[8:11], s[4:5], 0x28
	s_load_dwordx2 s[14:15], s[4:5], 0x40
	s_ashr_i32 s7, s6, 31
	s_lshl_b64 s[2:3], s[6:7], 2
	s_waitcnt lgkmcnt(0)
	s_add_u32 s0, s0, s2
	s_addc_u32 s1, s1, s3
	s_load_dwordx2 s[18:19], s[0:1], 0x0
	v_or_b32_e32 v1, s6, v0
	v_cmp_eq_u32_e32 vcc, 0, v1
	s_and_saveexec_b64 s[0:1], vcc
	s_cbranch_execz .LBB38_2
; %bb.1:
	v_mov_b32_e32 v1, 0
	v_mov_b32_e32 v2, s10
	global_store_dword v1, v2, s[14:15]
.LBB38_2:
	s_or_b64 exec, exec, s[0:1]
	s_load_dword s20, s[4:5], 0xc
	v_lshrrev_b32_e32 v4, 4, v0
	s_mul_i32 s16, s6, s8
	s_waitcnt lgkmcnt(0)
	s_sub_i32 s12, s18, s20
	s_sub_i32 s21, s19, s20
	s_mul_i32 s11, s12, s9
	s_sub_i32 s13, s21, s12
	s_mul_i32 s0, s11, s8
	s_mul_i32 s17, s13, s9
	s_add_i32 s22, s0, s10
	s_add_i32 s22, s22, s17
	v_cmp_gt_i32_e64 s[0:1], s8, v4
	s_and_saveexec_b64 s[2:3], s[0:1]
	s_cbranch_execz .LBB38_4
; %bb.3:
	v_add_u32_e32 v2, s16, v4
	v_ashrrev_i32_e32 v3, 31, v2
	v_lshlrev_b64 v[2:3], 2, v[2:3]
	v_mul_lo_u32 v1, v4, s17
	v_mov_b32_e32 v5, s15
	v_add_co_u32_e32 v2, vcc, s14, v2
	v_add_u32_e32 v1, s22, v1
	v_addc_co_u32_e32 v3, vcc, v5, v3, vcc
	global_store_dword v[2:3], v1, off offset:4
.LBB38_4:
	s_or_b64 exec, exec, s[2:3]
	v_add_u32_e32 v1, 32, v4
	v_cmp_gt_i32_e64 s[2:3], s8, v1
	s_and_saveexec_b64 s[6:7], s[2:3]
	s_cbranch_execz .LBB38_6
; %bb.5:
	s_add_u32 s14, s14, 4
	s_addc_u32 s15, s15, 0
	v_mul_lo_u32 v1, v1, s17
	s_ashr_i32 s17, s16, 31
	v_mov_b32_e32 v3, s17
	v_add_co_u32_e32 v2, vcc, s16, v4
	v_addc_co_u32_e32 v3, vcc, 0, v3, vcc
	v_lshlrev_b64 v[2:3], 2, v[2:3]
	v_mov_b32_e32 v5, s15
	v_add_co_u32_e32 v2, vcc, s14, v2
	v_add_u32_e32 v1, s22, v1
	v_addc_co_u32_e32 v3, vcc, v5, v3, vcc
	global_store_dword v[2:3], v1, off offset:128
.LBB38_6:
	s_or_b64 exec, exec, s[6:7]
	s_cmp_lt_i32 s18, s19
	s_cbranch_scc0 .LBB38_13
; %bb.7:
	s_load_dwordx2 s[24:25], s[4:5], 0x20
	s_load_dwordx2 s[6:7], s[4:5], 0x38
	;; [unrolled: 1-line block ×4, first 2 shown]
	s_load_dword s26, s[4:5], 0x0
	v_and_b32_e32 v0, 15, v0
	s_mul_i32 s28, s8, s12
	v_add_u32_e32 v5, s28, v4
	v_add_u32_e32 v2, s11, v0
	;; [unrolled: 1-line block ×3, first 2 shown]
	v_mad_u64_u32 v[2:3], s[10:11], s8, v2, v[4:5]
	v_cmp_gt_i32_e64 s[4:5], s9, v0
	s_waitcnt lgkmcnt(0)
	s_cmp_eq_u32 s26, 0
	v_mul_lo_u32 v3, v4, s13
	v_add_u32_e32 v4, 32, v5
	v_mad_u64_u32 v[6:7], s[26:27], s9, v5, v[0:1]
	s_cselect_b64 vcc, -1, 0
	s_and_b64 s[10:11], s[4:5], s[0:1]
	v_mad_u64_u32 v[4:5], s[0:1], s9, v4, v[0:1]
	v_add_u32_e32 v5, s28, v3
	v_lshl_add_u32 v3, s19, 5, v5
	s_lshl_b32 s0, s18, 5
	s_ashr_i32 s13, s12, 31
	s_and_b64 s[2:3], s[4:5], s[2:3]
	v_subrev_u32_e32 v3, s0, v3
	s_lshl_b64 s[0:1], s[12:13], 2
	s_add_u32 s4, s24, s0
	s_mul_i32 s22, s9, s8
	s_mov_b32 s23, 0
	v_mul_lo_u32 v3, s9, v3
	v_mul_lo_u32 v5, s9, v5
	s_addc_u32 s5, s25, s1
	v_cndmask_b32_e32 v6, v2, v6, vcc
	s_branch .LBB38_9
.LBB38_8:                               ;   in Loop: Header=BB38_9 Depth=1
	s_or_b64 exec, exec, s[18:19]
	s_add_i32 s12, s12, 1
	s_add_i32 s23, s23, s22
	s_add_u32 s4, s4, 4
	s_addc_u32 s5, s5, 0
	s_cmp_ge_i32 s12, s21
	v_add_u32_e32 v0, s9, v0
	s_cbranch_scc1 .LBB38_13
.LBB38_9:                               ; =>This Inner Loop Header: Depth=1
	s_load_dword s0, s[4:5], 0x0
	s_waitcnt lgkmcnt(0)
	s_sub_i32 s0, s0, s20
	s_mul_i32 s0, s0, s9
	v_add_u32_e32 v7, s0, v1
	s_and_saveexec_b64 s[18:19], s[10:11]
	s_cbranch_execz .LBB38_11
; %bb.10:                               ;   in Loop: Header=BB38_9 Depth=1
	v_add_u32_e32 v8, s23, v6
	v_ashrrev_i32_e32 v9, 31, v8
	v_lshlrev_b64 v[8:9], 2, v[8:9]
	v_mov_b32_e32 v10, s17
	v_add_co_u32_e64 v8, s[0:1], s16, v8
	v_addc_co_u32_e64 v9, s[0:1], v10, v9, s[0:1]
	global_load_dword v12, v[8:9], off
	v_add_u32_e32 v8, v5, v0
	v_ashrrev_i32_e32 v9, 31, v8
	v_lshlrev_b64 v[8:9], 2, v[8:9]
	v_mov_b32_e32 v11, s15
	v_add_co_u32_e64 v10, s[0:1], s14, v8
	v_addc_co_u32_e64 v11, s[0:1], v11, v9, s[0:1]
	global_store_dword v[10:11], v7, off
	v_mov_b32_e32 v10, s7
	v_add_co_u32_e64 v8, s[0:1], s6, v8
	v_addc_co_u32_e64 v9, s[0:1], v10, v9, s[0:1]
	s_waitcnt vmcnt(1)
	global_store_dword v[8:9], v12, off
.LBB38_11:                              ;   in Loop: Header=BB38_9 Depth=1
	s_or_b64 exec, exec, s[18:19]
	s_and_saveexec_b64 s[18:19], s[2:3]
	s_cbranch_execz .LBB38_8
; %bb.12:                               ;   in Loop: Header=BB38_9 Depth=1
	v_add_u32_e32 v8, s23, v4
	v_add3_u32 v9, v2, s23, 32
	v_cndmask_b32_e32 v8, v9, v8, vcc
	v_ashrrev_i32_e32 v9, 31, v8
	v_lshlrev_b64 v[8:9], 2, v[8:9]
	v_mov_b32_e32 v10, s17
	v_add_co_u32_e64 v8, s[0:1], s16, v8
	v_addc_co_u32_e64 v9, s[0:1], v10, v9, s[0:1]
	global_load_dword v12, v[8:9], off
	v_add_u32_e32 v8, v3, v0
	v_ashrrev_i32_e32 v9, 31, v8
	v_lshlrev_b64 v[8:9], 2, v[8:9]
	v_mov_b32_e32 v11, s15
	v_add_co_u32_e64 v10, s[0:1], s14, v8
	v_addc_co_u32_e64 v11, s[0:1], v11, v9, s[0:1]
	global_store_dword v[10:11], v7, off
	v_mov_b32_e32 v7, s7
	v_add_co_u32_e64 v8, s[0:1], s6, v8
	v_addc_co_u32_e64 v9, s[0:1], v7, v9, s[0:1]
	s_waitcnt vmcnt(1)
	global_store_dword v[8:9], v12, off
	s_branch .LBB38_8
.LBB38_13:
	s_endpgm
	.section	.rodata,"a",@progbits
	.p2align	6, 0x0
	.amdhsa_kernel _ZN9rocsparseL37gebsr2csr_block_per_row_33_128_kernelILi1024ELi64ELi16ELi32ELi16EfEEv20rocsparse_direction_ii21rocsparse_index_base_PKT4_PKiS7_iiS2_PS3_PiS9_
		.amdhsa_group_segment_fixed_size 0
		.amdhsa_private_segment_fixed_size 0
		.amdhsa_kernarg_size 80
		.amdhsa_user_sgpr_count 6
		.amdhsa_user_sgpr_private_segment_buffer 1
		.amdhsa_user_sgpr_dispatch_ptr 0
		.amdhsa_user_sgpr_queue_ptr 0
		.amdhsa_user_sgpr_kernarg_segment_ptr 1
		.amdhsa_user_sgpr_dispatch_id 0
		.amdhsa_user_sgpr_flat_scratch_init 0
		.amdhsa_user_sgpr_kernarg_preload_length 0
		.amdhsa_user_sgpr_kernarg_preload_offset 0
		.amdhsa_user_sgpr_private_segment_size 0
		.amdhsa_uses_dynamic_stack 0
		.amdhsa_system_sgpr_private_segment_wavefront_offset 0
		.amdhsa_system_sgpr_workgroup_id_x 1
		.amdhsa_system_sgpr_workgroup_id_y 0
		.amdhsa_system_sgpr_workgroup_id_z 0
		.amdhsa_system_sgpr_workgroup_info 0
		.amdhsa_system_vgpr_workitem_id 0
		.amdhsa_next_free_vgpr 13
		.amdhsa_next_free_sgpr 29
		.amdhsa_accum_offset 16
		.amdhsa_reserve_vcc 1
		.amdhsa_reserve_flat_scratch 0
		.amdhsa_float_round_mode_32 0
		.amdhsa_float_round_mode_16_64 0
		.amdhsa_float_denorm_mode_32 3
		.amdhsa_float_denorm_mode_16_64 3
		.amdhsa_dx10_clamp 1
		.amdhsa_ieee_mode 1
		.amdhsa_fp16_overflow 0
		.amdhsa_tg_split 0
		.amdhsa_exception_fp_ieee_invalid_op 0
		.amdhsa_exception_fp_denorm_src 0
		.amdhsa_exception_fp_ieee_div_zero 0
		.amdhsa_exception_fp_ieee_overflow 0
		.amdhsa_exception_fp_ieee_underflow 0
		.amdhsa_exception_fp_ieee_inexact 0
		.amdhsa_exception_int_div_zero 0
	.end_amdhsa_kernel
	.section	.text._ZN9rocsparseL37gebsr2csr_block_per_row_33_128_kernelILi1024ELi64ELi16ELi32ELi16EfEEv20rocsparse_direction_ii21rocsparse_index_base_PKT4_PKiS7_iiS2_PS3_PiS9_,"axG",@progbits,_ZN9rocsparseL37gebsr2csr_block_per_row_33_128_kernelILi1024ELi64ELi16ELi32ELi16EfEEv20rocsparse_direction_ii21rocsparse_index_base_PKT4_PKiS7_iiS2_PS3_PiS9_,comdat
.Lfunc_end38:
	.size	_ZN9rocsparseL37gebsr2csr_block_per_row_33_128_kernelILi1024ELi64ELi16ELi32ELi16EfEEv20rocsparse_direction_ii21rocsparse_index_base_PKT4_PKiS7_iiS2_PS3_PiS9_, .Lfunc_end38-_ZN9rocsparseL37gebsr2csr_block_per_row_33_128_kernelILi1024ELi64ELi16ELi32ELi16EfEEv20rocsparse_direction_ii21rocsparse_index_base_PKT4_PKiS7_iiS2_PS3_PiS9_
                                        ; -- End function
	.section	.AMDGPU.csdata,"",@progbits
; Kernel info:
; codeLenInByte = 832
; NumSgprs: 33
; NumVgprs: 13
; NumAgprs: 0
; TotalNumVgprs: 13
; ScratchSize: 0
; MemoryBound: 0
; FloatMode: 240
; IeeeMode: 1
; LDSByteSize: 0 bytes/workgroup (compile time only)
; SGPRBlocks: 4
; VGPRBlocks: 1
; NumSGPRsForWavesPerEU: 33
; NumVGPRsForWavesPerEU: 13
; AccumOffset: 16
; Occupancy: 8
; WaveLimiterHint : 1
; COMPUTE_PGM_RSRC2:SCRATCH_EN: 0
; COMPUTE_PGM_RSRC2:USER_SGPR: 6
; COMPUTE_PGM_RSRC2:TRAP_HANDLER: 0
; COMPUTE_PGM_RSRC2:TGID_X_EN: 1
; COMPUTE_PGM_RSRC2:TGID_Y_EN: 0
; COMPUTE_PGM_RSRC2:TGID_Z_EN: 0
; COMPUTE_PGM_RSRC2:TIDIG_COMP_CNT: 0
; COMPUTE_PGM_RSRC3_GFX90A:ACCUM_OFFSET: 3
; COMPUTE_PGM_RSRC3_GFX90A:TG_SPLIT: 0
	.section	.text._ZN9rocsparseL37gebsr2csr_block_per_row_33_128_kernelILi1024ELi64ELi32ELi32ELi32EfEEv20rocsparse_direction_ii21rocsparse_index_base_PKT4_PKiS7_iiS2_PS3_PiS9_,"axG",@progbits,_ZN9rocsparseL37gebsr2csr_block_per_row_33_128_kernelILi1024ELi64ELi32ELi32ELi32EfEEv20rocsparse_direction_ii21rocsparse_index_base_PKT4_PKiS7_iiS2_PS3_PiS9_,comdat
	.globl	_ZN9rocsparseL37gebsr2csr_block_per_row_33_128_kernelILi1024ELi64ELi32ELi32ELi32EfEEv20rocsparse_direction_ii21rocsparse_index_base_PKT4_PKiS7_iiS2_PS3_PiS9_ ; -- Begin function _ZN9rocsparseL37gebsr2csr_block_per_row_33_128_kernelILi1024ELi64ELi32ELi32ELi32EfEEv20rocsparse_direction_ii21rocsparse_index_base_PKT4_PKiS7_iiS2_PS3_PiS9_
	.p2align	8
	.type	_ZN9rocsparseL37gebsr2csr_block_per_row_33_128_kernelILi1024ELi64ELi32ELi32ELi32EfEEv20rocsparse_direction_ii21rocsparse_index_base_PKT4_PKiS7_iiS2_PS3_PiS9_,@function
_ZN9rocsparseL37gebsr2csr_block_per_row_33_128_kernelILi1024ELi64ELi32ELi32ELi32EfEEv20rocsparse_direction_ii21rocsparse_index_base_PKT4_PKiS7_iiS2_PS3_PiS9_: ; @_ZN9rocsparseL37gebsr2csr_block_per_row_33_128_kernelILi1024ELi64ELi32ELi32ELi32EfEEv20rocsparse_direction_ii21rocsparse_index_base_PKT4_PKiS7_iiS2_PS3_PiS9_
; %bb.0:
	s_load_dwordx2 s[0:1], s[4:5], 0x18
	s_load_dwordx4 s[8:11], s[4:5], 0x28
	s_load_dwordx2 s[14:15], s[4:5], 0x40
	s_ashr_i32 s7, s6, 31
	s_lshl_b64 s[2:3], s[6:7], 2
	s_waitcnt lgkmcnt(0)
	s_add_u32 s0, s0, s2
	s_addc_u32 s1, s1, s3
	s_load_dwordx2 s[18:19], s[0:1], 0x0
	v_or_b32_e32 v1, s6, v0
	v_cmp_eq_u32_e32 vcc, 0, v1
	s_and_saveexec_b64 s[0:1], vcc
	s_cbranch_execz .LBB39_2
; %bb.1:
	v_mov_b32_e32 v1, 0
	v_mov_b32_e32 v2, s10
	global_store_dword v1, v2, s[14:15]
.LBB39_2:
	s_or_b64 exec, exec, s[0:1]
	s_load_dword s20, s[4:5], 0xc
	v_lshrrev_b32_e32 v4, 5, v0
	s_mul_i32 s16, s6, s8
	s_waitcnt lgkmcnt(0)
	s_sub_i32 s12, s18, s20
	s_sub_i32 s21, s19, s20
	s_mul_i32 s11, s12, s9
	s_sub_i32 s13, s21, s12
	s_mul_i32 s0, s11, s8
	s_mul_i32 s17, s13, s9
	s_add_i32 s22, s0, s10
	s_add_i32 s22, s22, s17
	v_cmp_gt_i32_e64 s[0:1], s8, v4
	s_and_saveexec_b64 s[2:3], s[0:1]
	s_cbranch_execz .LBB39_4
; %bb.3:
	v_add_u32_e32 v2, s16, v4
	v_ashrrev_i32_e32 v3, 31, v2
	v_lshlrev_b64 v[2:3], 2, v[2:3]
	v_mul_lo_u32 v1, v4, s17
	v_mov_b32_e32 v5, s15
	v_add_co_u32_e32 v2, vcc, s14, v2
	v_add_u32_e32 v1, s22, v1
	v_addc_co_u32_e32 v3, vcc, v5, v3, vcc
	global_store_dword v[2:3], v1, off offset:4
.LBB39_4:
	s_or_b64 exec, exec, s[2:3]
	v_or_b32_e32 v1, 32, v4
	v_cmp_gt_i32_e64 s[2:3], s8, v1
	s_and_saveexec_b64 s[6:7], s[2:3]
	s_cbranch_execz .LBB39_6
; %bb.5:
	s_add_u32 s14, s14, 4
	s_addc_u32 s15, s15, 0
	v_mul_lo_u32 v1, v1, s17
	s_ashr_i32 s17, s16, 31
	v_mov_b32_e32 v3, s17
	v_add_co_u32_e32 v2, vcc, s16, v4
	v_addc_co_u32_e32 v3, vcc, 0, v3, vcc
	v_lshlrev_b64 v[2:3], 2, v[2:3]
	v_mov_b32_e32 v5, s15
	v_add_co_u32_e32 v2, vcc, s14, v2
	v_add_u32_e32 v1, s22, v1
	v_addc_co_u32_e32 v3, vcc, v5, v3, vcc
	global_store_dword v[2:3], v1, off offset:128
.LBB39_6:
	s_or_b64 exec, exec, s[6:7]
	s_cmp_lt_i32 s18, s19
	s_cbranch_scc0 .LBB39_13
; %bb.7:
	s_load_dwordx2 s[24:25], s[4:5], 0x20
	s_load_dwordx2 s[6:7], s[4:5], 0x38
	;; [unrolled: 1-line block ×4, first 2 shown]
	s_load_dword s26, s[4:5], 0x0
	v_and_b32_e32 v0, 31, v0
	s_mul_i32 s28, s8, s12
	v_add_u32_e32 v5, s28, v4
	v_add_u32_e32 v2, s11, v0
	v_add_u32_e32 v1, s10, v0
	v_mad_u64_u32 v[2:3], s[10:11], s8, v2, v[4:5]
	v_cmp_gt_i32_e64 s[4:5], s9, v0
	s_waitcnt lgkmcnt(0)
	s_cmp_eq_u32 s26, 0
	v_mul_lo_u32 v3, v4, s13
	v_add_u32_e32 v4, 32, v5
	v_mad_u64_u32 v[6:7], s[26:27], s9, v5, v[0:1]
	s_cselect_b64 vcc, -1, 0
	s_and_b64 s[10:11], s[4:5], s[0:1]
	v_mad_u64_u32 v[4:5], s[0:1], s9, v4, v[0:1]
	v_add_u32_e32 v5, s28, v3
	v_lshl_add_u32 v3, s19, 5, v5
	s_lshl_b32 s0, s18, 5
	s_ashr_i32 s13, s12, 31
	s_and_b64 s[2:3], s[4:5], s[2:3]
	v_subrev_u32_e32 v3, s0, v3
	s_lshl_b64 s[0:1], s[12:13], 2
	s_add_u32 s4, s24, s0
	s_mul_i32 s22, s9, s8
	s_mov_b32 s23, 0
	v_mul_lo_u32 v3, s9, v3
	v_mul_lo_u32 v5, s9, v5
	s_addc_u32 s5, s25, s1
	v_cndmask_b32_e32 v6, v2, v6, vcc
	s_branch .LBB39_9
.LBB39_8:                               ;   in Loop: Header=BB39_9 Depth=1
	s_or_b64 exec, exec, s[18:19]
	s_add_i32 s12, s12, 1
	s_add_i32 s23, s23, s22
	s_add_u32 s4, s4, 4
	s_addc_u32 s5, s5, 0
	s_cmp_ge_i32 s12, s21
	v_add_u32_e32 v0, s9, v0
	s_cbranch_scc1 .LBB39_13
.LBB39_9:                               ; =>This Inner Loop Header: Depth=1
	s_load_dword s0, s[4:5], 0x0
	s_waitcnt lgkmcnt(0)
	s_sub_i32 s0, s0, s20
	s_mul_i32 s0, s0, s9
	v_add_u32_e32 v7, s0, v1
	s_and_saveexec_b64 s[18:19], s[10:11]
	s_cbranch_execz .LBB39_11
; %bb.10:                               ;   in Loop: Header=BB39_9 Depth=1
	v_add_u32_e32 v8, s23, v6
	v_ashrrev_i32_e32 v9, 31, v8
	v_lshlrev_b64 v[8:9], 2, v[8:9]
	v_mov_b32_e32 v10, s17
	v_add_co_u32_e64 v8, s[0:1], s16, v8
	v_addc_co_u32_e64 v9, s[0:1], v10, v9, s[0:1]
	global_load_dword v12, v[8:9], off
	v_add_u32_e32 v8, v5, v0
	v_ashrrev_i32_e32 v9, 31, v8
	v_lshlrev_b64 v[8:9], 2, v[8:9]
	v_mov_b32_e32 v11, s15
	v_add_co_u32_e64 v10, s[0:1], s14, v8
	v_addc_co_u32_e64 v11, s[0:1], v11, v9, s[0:1]
	global_store_dword v[10:11], v7, off
	v_mov_b32_e32 v10, s7
	v_add_co_u32_e64 v8, s[0:1], s6, v8
	v_addc_co_u32_e64 v9, s[0:1], v10, v9, s[0:1]
	s_waitcnt vmcnt(1)
	global_store_dword v[8:9], v12, off
.LBB39_11:                              ;   in Loop: Header=BB39_9 Depth=1
	s_or_b64 exec, exec, s[18:19]
	s_and_saveexec_b64 s[18:19], s[2:3]
	s_cbranch_execz .LBB39_8
; %bb.12:                               ;   in Loop: Header=BB39_9 Depth=1
	v_add_u32_e32 v8, s23, v4
	v_add3_u32 v9, v2, s23, 32
	v_cndmask_b32_e32 v8, v9, v8, vcc
	v_ashrrev_i32_e32 v9, 31, v8
	v_lshlrev_b64 v[8:9], 2, v[8:9]
	v_mov_b32_e32 v10, s17
	v_add_co_u32_e64 v8, s[0:1], s16, v8
	v_addc_co_u32_e64 v9, s[0:1], v10, v9, s[0:1]
	global_load_dword v12, v[8:9], off
	v_add_u32_e32 v8, v3, v0
	v_ashrrev_i32_e32 v9, 31, v8
	v_lshlrev_b64 v[8:9], 2, v[8:9]
	v_mov_b32_e32 v11, s15
	v_add_co_u32_e64 v10, s[0:1], s14, v8
	v_addc_co_u32_e64 v11, s[0:1], v11, v9, s[0:1]
	global_store_dword v[10:11], v7, off
	v_mov_b32_e32 v7, s7
	v_add_co_u32_e64 v8, s[0:1], s6, v8
	v_addc_co_u32_e64 v9, s[0:1], v7, v9, s[0:1]
	s_waitcnt vmcnt(1)
	global_store_dword v[8:9], v12, off
	s_branch .LBB39_8
.LBB39_13:
	s_endpgm
	.section	.rodata,"a",@progbits
	.p2align	6, 0x0
	.amdhsa_kernel _ZN9rocsparseL37gebsr2csr_block_per_row_33_128_kernelILi1024ELi64ELi32ELi32ELi32EfEEv20rocsparse_direction_ii21rocsparse_index_base_PKT4_PKiS7_iiS2_PS3_PiS9_
		.amdhsa_group_segment_fixed_size 0
		.amdhsa_private_segment_fixed_size 0
		.amdhsa_kernarg_size 80
		.amdhsa_user_sgpr_count 6
		.amdhsa_user_sgpr_private_segment_buffer 1
		.amdhsa_user_sgpr_dispatch_ptr 0
		.amdhsa_user_sgpr_queue_ptr 0
		.amdhsa_user_sgpr_kernarg_segment_ptr 1
		.amdhsa_user_sgpr_dispatch_id 0
		.amdhsa_user_sgpr_flat_scratch_init 0
		.amdhsa_user_sgpr_kernarg_preload_length 0
		.amdhsa_user_sgpr_kernarg_preload_offset 0
		.amdhsa_user_sgpr_private_segment_size 0
		.amdhsa_uses_dynamic_stack 0
		.amdhsa_system_sgpr_private_segment_wavefront_offset 0
		.amdhsa_system_sgpr_workgroup_id_x 1
		.amdhsa_system_sgpr_workgroup_id_y 0
		.amdhsa_system_sgpr_workgroup_id_z 0
		.amdhsa_system_sgpr_workgroup_info 0
		.amdhsa_system_vgpr_workitem_id 0
		.amdhsa_next_free_vgpr 13
		.amdhsa_next_free_sgpr 29
		.amdhsa_accum_offset 16
		.amdhsa_reserve_vcc 1
		.amdhsa_reserve_flat_scratch 0
		.amdhsa_float_round_mode_32 0
		.amdhsa_float_round_mode_16_64 0
		.amdhsa_float_denorm_mode_32 3
		.amdhsa_float_denorm_mode_16_64 3
		.amdhsa_dx10_clamp 1
		.amdhsa_ieee_mode 1
		.amdhsa_fp16_overflow 0
		.amdhsa_tg_split 0
		.amdhsa_exception_fp_ieee_invalid_op 0
		.amdhsa_exception_fp_denorm_src 0
		.amdhsa_exception_fp_ieee_div_zero 0
		.amdhsa_exception_fp_ieee_overflow 0
		.amdhsa_exception_fp_ieee_underflow 0
		.amdhsa_exception_fp_ieee_inexact 0
		.amdhsa_exception_int_div_zero 0
	.end_amdhsa_kernel
	.section	.text._ZN9rocsparseL37gebsr2csr_block_per_row_33_128_kernelILi1024ELi64ELi32ELi32ELi32EfEEv20rocsparse_direction_ii21rocsparse_index_base_PKT4_PKiS7_iiS2_PS3_PiS9_,"axG",@progbits,_ZN9rocsparseL37gebsr2csr_block_per_row_33_128_kernelILi1024ELi64ELi32ELi32ELi32EfEEv20rocsparse_direction_ii21rocsparse_index_base_PKT4_PKiS7_iiS2_PS3_PiS9_,comdat
.Lfunc_end39:
	.size	_ZN9rocsparseL37gebsr2csr_block_per_row_33_128_kernelILi1024ELi64ELi32ELi32ELi32EfEEv20rocsparse_direction_ii21rocsparse_index_base_PKT4_PKiS7_iiS2_PS3_PiS9_, .Lfunc_end39-_ZN9rocsparseL37gebsr2csr_block_per_row_33_128_kernelILi1024ELi64ELi32ELi32ELi32EfEEv20rocsparse_direction_ii21rocsparse_index_base_PKT4_PKiS7_iiS2_PS3_PiS9_
                                        ; -- End function
	.section	.AMDGPU.csdata,"",@progbits
; Kernel info:
; codeLenInByte = 832
; NumSgprs: 33
; NumVgprs: 13
; NumAgprs: 0
; TotalNumVgprs: 13
; ScratchSize: 0
; MemoryBound: 0
; FloatMode: 240
; IeeeMode: 1
; LDSByteSize: 0 bytes/workgroup (compile time only)
; SGPRBlocks: 4
; VGPRBlocks: 1
; NumSGPRsForWavesPerEU: 33
; NumVGPRsForWavesPerEU: 13
; AccumOffset: 16
; Occupancy: 8
; WaveLimiterHint : 1
; COMPUTE_PGM_RSRC2:SCRATCH_EN: 0
; COMPUTE_PGM_RSRC2:USER_SGPR: 6
; COMPUTE_PGM_RSRC2:TRAP_HANDLER: 0
; COMPUTE_PGM_RSRC2:TGID_X_EN: 1
; COMPUTE_PGM_RSRC2:TGID_Y_EN: 0
; COMPUTE_PGM_RSRC2:TGID_Z_EN: 0
; COMPUTE_PGM_RSRC2:TIDIG_COMP_CNT: 0
; COMPUTE_PGM_RSRC3_GFX90A:ACCUM_OFFSET: 3
; COMPUTE_PGM_RSRC3_GFX90A:TG_SPLIT: 0
	.section	.text._ZN9rocsparseL37gebsr2csr_block_per_row_33_128_kernelILi1024ELi64ELi64ELi32ELi32EfEEv20rocsparse_direction_ii21rocsparse_index_base_PKT4_PKiS7_iiS2_PS3_PiS9_,"axG",@progbits,_ZN9rocsparseL37gebsr2csr_block_per_row_33_128_kernelILi1024ELi64ELi64ELi32ELi32EfEEv20rocsparse_direction_ii21rocsparse_index_base_PKT4_PKiS7_iiS2_PS3_PiS9_,comdat
	.globl	_ZN9rocsparseL37gebsr2csr_block_per_row_33_128_kernelILi1024ELi64ELi64ELi32ELi32EfEEv20rocsparse_direction_ii21rocsparse_index_base_PKT4_PKiS7_iiS2_PS3_PiS9_ ; -- Begin function _ZN9rocsparseL37gebsr2csr_block_per_row_33_128_kernelILi1024ELi64ELi64ELi32ELi32EfEEv20rocsparse_direction_ii21rocsparse_index_base_PKT4_PKiS7_iiS2_PS3_PiS9_
	.p2align	8
	.type	_ZN9rocsparseL37gebsr2csr_block_per_row_33_128_kernelILi1024ELi64ELi64ELi32ELi32EfEEv20rocsparse_direction_ii21rocsparse_index_base_PKT4_PKiS7_iiS2_PS3_PiS9_,@function
_ZN9rocsparseL37gebsr2csr_block_per_row_33_128_kernelILi1024ELi64ELi64ELi32ELi32EfEEv20rocsparse_direction_ii21rocsparse_index_base_PKT4_PKiS7_iiS2_PS3_PiS9_: ; @_ZN9rocsparseL37gebsr2csr_block_per_row_33_128_kernelILi1024ELi64ELi64ELi32ELi32EfEEv20rocsparse_direction_ii21rocsparse_index_base_PKT4_PKiS7_iiS2_PS3_PiS9_
; %bb.0:
	s_load_dwordx2 s[0:1], s[4:5], 0x18
	s_load_dwordx4 s[8:11], s[4:5], 0x28
	s_load_dwordx2 s[14:15], s[4:5], 0x40
	s_ashr_i32 s7, s6, 31
	s_lshl_b64 s[2:3], s[6:7], 2
	s_waitcnt lgkmcnt(0)
	s_add_u32 s0, s0, s2
	s_addc_u32 s1, s1, s3
	s_load_dwordx2 s[24:25], s[0:1], 0x0
	v_or_b32_e32 v1, s6, v0
	v_cmp_eq_u32_e32 vcc, 0, v1
	s_and_saveexec_b64 s[0:1], vcc
	s_cbranch_execz .LBB40_2
; %bb.1:
	v_mov_b32_e32 v1, 0
	v_mov_b32_e32 v2, s10
	global_store_dword v1, v2, s[14:15]
.LBB40_2:
	s_or_b64 exec, exec, s[0:1]
	s_load_dword s11, s[4:5], 0xc
	v_lshrrev_b32_e32 v1, 5, v0
	s_mul_i32 s16, s6, s8
	s_waitcnt lgkmcnt(0)
	s_sub_i32 s12, s24, s11
	s_sub_i32 s26, s25, s11
	s_mul_i32 s13, s12, s9
	s_sub_i32 s20, s26, s12
	s_mul_i32 s0, s13, s8
	s_mul_i32 s17, s20, s9
	s_add_i32 s18, s0, s10
	s_add_i32 s18, s18, s17
	v_cmp_gt_i32_e64 s[0:1], s8, v1
	s_and_saveexec_b64 s[2:3], s[0:1]
	s_cbranch_execz .LBB40_4
; %bb.3:
	v_mul_lo_u32 v2, v1, s17
	v_add_u32_e32 v4, s18, v2
	v_add_u32_e32 v2, s16, v1
	v_ashrrev_i32_e32 v3, 31, v2
	v_lshlrev_b64 v[2:3], 2, v[2:3]
	v_mov_b32_e32 v5, s15
	v_add_co_u32_e32 v2, vcc, s14, v2
	v_addc_co_u32_e32 v3, vcc, v5, v3, vcc
	global_store_dword v[2:3], v4, off offset:4
.LBB40_4:
	s_or_b64 exec, exec, s[2:3]
	v_or_b32_e32 v2, 32, v1
	v_cmp_gt_i32_e64 s[2:3], s8, v2
	s_and_saveexec_b64 s[6:7], s[2:3]
	s_cbranch_execz .LBB40_6
; %bb.5:
	s_add_u32 s14, s14, 4
	s_addc_u32 s15, s15, 0
	v_mul_lo_u32 v2, v2, s17
	s_ashr_i32 s17, s16, 31
	v_add_u32_e32 v4, s18, v2
	v_mov_b32_e32 v3, s17
	v_add_co_u32_e32 v2, vcc, s16, v1
	v_addc_co_u32_e32 v3, vcc, 0, v3, vcc
	v_lshlrev_b64 v[2:3], 2, v[2:3]
	v_mov_b32_e32 v5, s15
	v_add_co_u32_e32 v2, vcc, s14, v2
	v_addc_co_u32_e32 v3, vcc, v5, v3, vcc
	global_store_dword v[2:3], v4, off offset:128
.LBB40_6:
	s_or_b64 exec, exec, s[6:7]
	s_cmp_lt_i32 s24, s25
	s_cbranch_scc0 .LBB40_17
; %bb.7:
	s_load_dwordx2 s[28:29], s[4:5], 0x20
	s_load_dwordx2 s[14:15], s[4:5], 0x38
	s_load_dword s6, s[4:5], 0x0
	s_load_dwordx2 s[16:17], s[4:5], 0x10
	s_load_dwordx2 s[18:19], s[4:5], 0x48
	v_and_b32_e32 v0, 31, v0
	v_or_b32_e32 v2, 32, v0
	s_waitcnt lgkmcnt(0)
	s_cmp_eq_u32 s6, 0
	v_cmp_gt_i32_e64 s[4:5], s9, v0
	v_cmp_gt_i32_e64 s[6:7], s9, v2
	s_cselect_b64 vcc, -1, 0
	v_mul_lo_u32 v7, v1, s20
	s_and_b64 s[20:21], s[0:1], s[4:5]
	s_and_b64 s[22:23], s[0:1], s[6:7]
	s_mul_i32 s0, s8, s12
	v_add_u32_e32 v8, s0, v7
	v_add_u32_e32 v4, s0, v1
	;; [unrolled: 1-line block ×3, first 2 shown]
	v_lshl_add_u32 v7, s25, 5, v8
	s_lshl_b32 s0, s24, 5
	s_ashr_i32 s13, s12, 31
	s_and_b64 s[4:5], s[2:3], s[4:5]
	s_and_b64 s[2:3], s[2:3], s[6:7]
	v_subrev_u32_e32 v7, s0, v7
	s_lshl_b64 s[0:1], s[12:13], 2
	v_add_u32_e32 v3, 32, v4
	v_add_u32_e32 v5, 32, v6
	s_add_u32 s6, s28, s0
	s_mul_i32 s27, s9, s8
	v_mul_lo_u32 v3, s9, v3
	v_mul_lo_u32 v4, s9, v4
	;; [unrolled: 1-line block ×6, first 2 shown]
	s_addc_u32 s7, s29, s1
	s_branch .LBB40_9
.LBB40_8:                               ;   in Loop: Header=BB40_9 Depth=1
	s_or_b64 exec, exec, s[24:25]
	s_add_i32 s12, s12, 1
	s_add_u32 s6, s6, 4
	s_addc_u32 s7, s7, 0
	v_add_u32_e32 v3, s27, v3
	v_add_u32_e32 v4, s27, v4
	;; [unrolled: 1-line block ×4, first 2 shown]
	s_cmp_ge_i32 s12, s26
	v_add_u32_e32 v8, s9, v8
	s_cbranch_scc1 .LBB40_17
.LBB40_9:                               ; =>This Inner Loop Header: Depth=1
	s_load_dword s0, s[6:7], 0x0
	s_waitcnt lgkmcnt(0)
	s_sub_i32 s0, s0, s11
	s_mul_i32 s8, s0, s9
	s_add_i32 s8, s8, s10
	v_add_u32_e32 v9, s8, v0
	s_and_saveexec_b64 s[24:25], s[20:21]
	s_cbranch_execz .LBB40_11
; %bb.10:                               ;   in Loop: Header=BB40_9 Depth=1
	v_add_u32_e32 v10, v0, v4
	v_add_u32_e32 v11, v6, v1
	v_cndmask_b32_e32 v10, v11, v10, vcc
	v_ashrrev_i32_e32 v11, 31, v10
	v_lshlrev_b64 v[10:11], 2, v[10:11]
	v_mov_b32_e32 v12, s17
	v_add_co_u32_e64 v10, s[0:1], s16, v10
	v_addc_co_u32_e64 v11, s[0:1], v12, v11, s[0:1]
	global_load_dword v14, v[10:11], off
	v_add_u32_e32 v10, v0, v8
	v_ashrrev_i32_e32 v11, 31, v10
	v_lshlrev_b64 v[10:11], 2, v[10:11]
	v_mov_b32_e32 v13, s19
	v_add_co_u32_e64 v12, s[0:1], s18, v10
	v_addc_co_u32_e64 v13, s[0:1], v13, v11, s[0:1]
	global_store_dword v[12:13], v9, off
	v_mov_b32_e32 v12, s15
	v_add_co_u32_e64 v10, s[0:1], s14, v10
	v_addc_co_u32_e64 v11, s[0:1], v12, v11, s[0:1]
	s_waitcnt vmcnt(1)
	global_store_dword v[10:11], v14, off
.LBB40_11:                              ;   in Loop: Header=BB40_9 Depth=1
	s_or_b64 exec, exec, s[24:25]
	v_add_u32_e32 v10, s8, v2
	v_add_u32_e32 v11, v5, v1
	s_and_saveexec_b64 s[24:25], s[22:23]
	s_cbranch_execnz .LBB40_14
; %bb.12:                               ;   in Loop: Header=BB40_9 Depth=1
	s_or_b64 exec, exec, s[24:25]
	v_add_u32_e32 v12, v0, v3
	s_and_saveexec_b64 s[24:25], s[4:5]
	s_cbranch_execnz .LBB40_15
.LBB40_13:                              ;   in Loop: Header=BB40_9 Depth=1
	s_or_b64 exec, exec, s[24:25]
	s_and_saveexec_b64 s[24:25], s[2:3]
	s_cbranch_execz .LBB40_8
	s_branch .LBB40_16
.LBB40_14:                              ;   in Loop: Header=BB40_9 Depth=1
	v_add3_u32 v12, v0, v4, 32
	v_cndmask_b32_e32 v12, v11, v12, vcc
	v_ashrrev_i32_e32 v13, 31, v12
	v_lshlrev_b64 v[12:13], 2, v[12:13]
	v_mov_b32_e32 v14, s17
	v_add_co_u32_e64 v12, s[0:1], s16, v12
	v_addc_co_u32_e64 v13, s[0:1], v14, v13, s[0:1]
	global_load_dword v16, v[12:13], off
	v_add3_u32 v12, v0, v8, 32
	v_ashrrev_i32_e32 v13, 31, v12
	v_lshlrev_b64 v[12:13], 2, v[12:13]
	v_mov_b32_e32 v15, s19
	v_add_co_u32_e64 v14, s[0:1], s18, v12
	v_addc_co_u32_e64 v15, s[0:1], v15, v13, s[0:1]
	global_store_dword v[14:15], v10, off
	v_mov_b32_e32 v14, s15
	v_add_co_u32_e64 v12, s[0:1], s14, v12
	v_addc_co_u32_e64 v13, s[0:1], v14, v13, s[0:1]
	s_waitcnt vmcnt(1)
	global_store_dword v[12:13], v16, off
	s_or_b64 exec, exec, s[24:25]
	v_add_u32_e32 v12, v0, v3
	s_and_saveexec_b64 s[24:25], s[4:5]
	s_cbranch_execz .LBB40_13
.LBB40_15:                              ;   in Loop: Header=BB40_9 Depth=1
	v_add3_u32 v13, v6, v1, 32
	v_cndmask_b32_e32 v14, v13, v12, vcc
	v_ashrrev_i32_e32 v15, 31, v14
	v_lshlrev_b64 v[14:15], 2, v[14:15]
	v_mov_b32_e32 v13, s17
	v_add_co_u32_e64 v14, s[0:1], s16, v14
	v_addc_co_u32_e64 v15, s[0:1], v13, v15, s[0:1]
	global_load_dword v13, v[14:15], off
	v_add_u32_e32 v14, v0, v7
	v_ashrrev_i32_e32 v15, 31, v14
	v_lshlrev_b64 v[14:15], 2, v[14:15]
	v_mov_b32_e32 v17, s19
	v_add_co_u32_e64 v16, s[0:1], s18, v14
	v_addc_co_u32_e64 v17, s[0:1], v17, v15, s[0:1]
	global_store_dword v[16:17], v9, off
	v_mov_b32_e32 v9, s15
	v_add_co_u32_e64 v14, s[0:1], s14, v14
	v_addc_co_u32_e64 v15, s[0:1], v9, v15, s[0:1]
	s_waitcnt vmcnt(1)
	global_store_dword v[14:15], v13, off
	s_or_b64 exec, exec, s[24:25]
	s_and_saveexec_b64 s[24:25], s[2:3]
	s_cbranch_execz .LBB40_8
.LBB40_16:                              ;   in Loop: Header=BB40_9 Depth=1
	v_cndmask_b32_e32 v9, v11, v12, vcc
	v_add_u32_e32 v12, 32, v9
	v_ashrrev_i32_e32 v13, 31, v12
	v_lshlrev_b64 v[12:13], 2, v[12:13]
	v_mov_b32_e32 v9, s17
	v_add_co_u32_e64 v12, s[0:1], s16, v12
	v_addc_co_u32_e64 v13, s[0:1], v9, v13, s[0:1]
	global_load_dword v9, v[12:13], off
	v_add3_u32 v12, v0, v7, 32
	v_ashrrev_i32_e32 v13, 31, v12
	v_lshlrev_b64 v[12:13], 2, v[12:13]
	v_mov_b32_e32 v11, s19
	v_add_co_u32_e64 v14, s[0:1], s18, v12
	v_addc_co_u32_e64 v15, s[0:1], v11, v13, s[0:1]
	global_store_dword v[14:15], v10, off
	v_mov_b32_e32 v11, s15
	v_add_co_u32_e64 v10, s[0:1], s14, v12
	v_addc_co_u32_e64 v11, s[0:1], v11, v13, s[0:1]
	s_waitcnt vmcnt(1)
	global_store_dword v[10:11], v9, off
	s_branch .LBB40_8
.LBB40_17:
	s_endpgm
	.section	.rodata,"a",@progbits
	.p2align	6, 0x0
	.amdhsa_kernel _ZN9rocsparseL37gebsr2csr_block_per_row_33_128_kernelILi1024ELi64ELi64ELi32ELi32EfEEv20rocsparse_direction_ii21rocsparse_index_base_PKT4_PKiS7_iiS2_PS3_PiS9_
		.amdhsa_group_segment_fixed_size 0
		.amdhsa_private_segment_fixed_size 0
		.amdhsa_kernarg_size 80
		.amdhsa_user_sgpr_count 6
		.amdhsa_user_sgpr_private_segment_buffer 1
		.amdhsa_user_sgpr_dispatch_ptr 0
		.amdhsa_user_sgpr_queue_ptr 0
		.amdhsa_user_sgpr_kernarg_segment_ptr 1
		.amdhsa_user_sgpr_dispatch_id 0
		.amdhsa_user_sgpr_flat_scratch_init 0
		.amdhsa_user_sgpr_kernarg_preload_length 0
		.amdhsa_user_sgpr_kernarg_preload_offset 0
		.amdhsa_user_sgpr_private_segment_size 0
		.amdhsa_uses_dynamic_stack 0
		.amdhsa_system_sgpr_private_segment_wavefront_offset 0
		.amdhsa_system_sgpr_workgroup_id_x 1
		.amdhsa_system_sgpr_workgroup_id_y 0
		.amdhsa_system_sgpr_workgroup_id_z 0
		.amdhsa_system_sgpr_workgroup_info 0
		.amdhsa_system_vgpr_workitem_id 0
		.amdhsa_next_free_vgpr 18
		.amdhsa_next_free_sgpr 30
		.amdhsa_accum_offset 20
		.amdhsa_reserve_vcc 1
		.amdhsa_reserve_flat_scratch 0
		.amdhsa_float_round_mode_32 0
		.amdhsa_float_round_mode_16_64 0
		.amdhsa_float_denorm_mode_32 3
		.amdhsa_float_denorm_mode_16_64 3
		.amdhsa_dx10_clamp 1
		.amdhsa_ieee_mode 1
		.amdhsa_fp16_overflow 0
		.amdhsa_tg_split 0
		.amdhsa_exception_fp_ieee_invalid_op 0
		.amdhsa_exception_fp_denorm_src 0
		.amdhsa_exception_fp_ieee_div_zero 0
		.amdhsa_exception_fp_ieee_overflow 0
		.amdhsa_exception_fp_ieee_underflow 0
		.amdhsa_exception_fp_ieee_inexact 0
		.amdhsa_exception_int_div_zero 0
	.end_amdhsa_kernel
	.section	.text._ZN9rocsparseL37gebsr2csr_block_per_row_33_128_kernelILi1024ELi64ELi64ELi32ELi32EfEEv20rocsparse_direction_ii21rocsparse_index_base_PKT4_PKiS7_iiS2_PS3_PiS9_,"axG",@progbits,_ZN9rocsparseL37gebsr2csr_block_per_row_33_128_kernelILi1024ELi64ELi64ELi32ELi32EfEEv20rocsparse_direction_ii21rocsparse_index_base_PKT4_PKiS7_iiS2_PS3_PiS9_,comdat
.Lfunc_end40:
	.size	_ZN9rocsparseL37gebsr2csr_block_per_row_33_128_kernelILi1024ELi64ELi64ELi32ELi32EfEEv20rocsparse_direction_ii21rocsparse_index_base_PKT4_PKiS7_iiS2_PS3_PiS9_, .Lfunc_end40-_ZN9rocsparseL37gebsr2csr_block_per_row_33_128_kernelILi1024ELi64ELi64ELi32ELi32EfEEv20rocsparse_direction_ii21rocsparse_index_base_PKT4_PKiS7_iiS2_PS3_PiS9_
                                        ; -- End function
	.section	.AMDGPU.csdata,"",@progbits
; Kernel info:
; codeLenInByte = 1200
; NumSgprs: 34
; NumVgprs: 18
; NumAgprs: 0
; TotalNumVgprs: 18
; ScratchSize: 0
; MemoryBound: 0
; FloatMode: 240
; IeeeMode: 1
; LDSByteSize: 0 bytes/workgroup (compile time only)
; SGPRBlocks: 4
; VGPRBlocks: 2
; NumSGPRsForWavesPerEU: 34
; NumVGPRsForWavesPerEU: 18
; AccumOffset: 20
; Occupancy: 8
; WaveLimiterHint : 1
; COMPUTE_PGM_RSRC2:SCRATCH_EN: 0
; COMPUTE_PGM_RSRC2:USER_SGPR: 6
; COMPUTE_PGM_RSRC2:TRAP_HANDLER: 0
; COMPUTE_PGM_RSRC2:TGID_X_EN: 1
; COMPUTE_PGM_RSRC2:TGID_Y_EN: 0
; COMPUTE_PGM_RSRC2:TGID_Z_EN: 0
; COMPUTE_PGM_RSRC2:TIDIG_COMP_CNT: 0
; COMPUTE_PGM_RSRC3_GFX90A:ACCUM_OFFSET: 4
; COMPUTE_PGM_RSRC3_GFX90A:TG_SPLIT: 0
	.section	.text._ZN9rocsparseL37gebsr2csr_block_per_row_33_128_kernelILi1024ELi64ELi128ELi32ELi32EfEEv20rocsparse_direction_ii21rocsparse_index_base_PKT4_PKiS7_iiS2_PS3_PiS9_,"axG",@progbits,_ZN9rocsparseL37gebsr2csr_block_per_row_33_128_kernelILi1024ELi64ELi128ELi32ELi32EfEEv20rocsparse_direction_ii21rocsparse_index_base_PKT4_PKiS7_iiS2_PS3_PiS9_,comdat
	.globl	_ZN9rocsparseL37gebsr2csr_block_per_row_33_128_kernelILi1024ELi64ELi128ELi32ELi32EfEEv20rocsparse_direction_ii21rocsparse_index_base_PKT4_PKiS7_iiS2_PS3_PiS9_ ; -- Begin function _ZN9rocsparseL37gebsr2csr_block_per_row_33_128_kernelILi1024ELi64ELi128ELi32ELi32EfEEv20rocsparse_direction_ii21rocsparse_index_base_PKT4_PKiS7_iiS2_PS3_PiS9_
	.p2align	8
	.type	_ZN9rocsparseL37gebsr2csr_block_per_row_33_128_kernelILi1024ELi64ELi128ELi32ELi32EfEEv20rocsparse_direction_ii21rocsparse_index_base_PKT4_PKiS7_iiS2_PS3_PiS9_,@function
_ZN9rocsparseL37gebsr2csr_block_per_row_33_128_kernelILi1024ELi64ELi128ELi32ELi32EfEEv20rocsparse_direction_ii21rocsparse_index_base_PKT4_PKiS7_iiS2_PS3_PiS9_: ; @_ZN9rocsparseL37gebsr2csr_block_per_row_33_128_kernelILi1024ELi64ELi128ELi32ELi32EfEEv20rocsparse_direction_ii21rocsparse_index_base_PKT4_PKiS7_iiS2_PS3_PiS9_
; %bb.0:
	s_load_dwordx2 s[0:1], s[4:5], 0x18
	s_load_dwordx4 s[12:15], s[4:5], 0x28
	s_load_dwordx2 s[8:9], s[4:5], 0x40
	s_ashr_i32 s7, s6, 31
	s_lshl_b64 s[2:3], s[6:7], 2
	s_waitcnt lgkmcnt(0)
	s_add_u32 s0, s0, s2
	s_addc_u32 s1, s1, s3
	s_load_dwordx2 s[34:35], s[0:1], 0x0
	v_or_b32_e32 v1, s6, v0
	v_cmp_eq_u32_e32 vcc, 0, v1
	s_and_saveexec_b64 s[0:1], vcc
	s_cbranch_execz .LBB41_2
; %bb.1:
	v_mov_b32_e32 v1, 0
	v_mov_b32_e32 v2, s14
	global_store_dword v1, v2, s[8:9]
.LBB41_2:
	s_or_b64 exec, exec, s[0:1]
	s_load_dword s15, s[4:5], 0xc
	v_lshrrev_b32_e32 v6, 5, v0
	s_mul_i32 s11, s6, s12
	s_waitcnt lgkmcnt(0)
	s_sub_i32 s16, s34, s15
	s_sub_i32 s33, s35, s15
	s_mul_i32 s17, s16, s13
	s_sub_i32 s10, s33, s16
	s_mul_i32 s0, s17, s12
	s_mul_i32 s18, s10, s13
	s_add_i32 s19, s0, s14
	s_add_i32 s19, s19, s18
	v_cmp_gt_i32_e64 s[0:1], s12, v6
	s_and_saveexec_b64 s[2:3], s[0:1]
	s_cbranch_execz .LBB41_4
; %bb.3:
	v_add_u32_e32 v2, s11, v6
	v_ashrrev_i32_e32 v3, 31, v2
	v_lshlrev_b64 v[2:3], 2, v[2:3]
	v_mul_lo_u32 v1, v6, s18
	v_mov_b32_e32 v4, s9
	v_add_co_u32_e32 v2, vcc, s8, v2
	v_add_u32_e32 v1, s19, v1
	v_addc_co_u32_e32 v3, vcc, v4, v3, vcc
	global_store_dword v[2:3], v1, off offset:4
.LBB41_4:
	s_or_b64 exec, exec, s[2:3]
	v_or_b32_e32 v1, 32, v6
	v_cmp_gt_i32_e64 s[2:3], s12, v1
	s_and_saveexec_b64 s[6:7], s[2:3]
	s_cbranch_execz .LBB41_6
; %bb.5:
	s_add_u32 s8, s8, 4
	s_addc_u32 s9, s9, 0
	v_mul_lo_u32 v1, v1, s18
	s_ashr_i32 s18, s11, 31
	v_mov_b32_e32 v3, s18
	v_add_co_u32_e32 v2, vcc, s11, v6
	v_addc_co_u32_e32 v3, vcc, 0, v3, vcc
	v_lshlrev_b64 v[2:3], 2, v[2:3]
	v_mov_b32_e32 v4, s9
	v_add_co_u32_e32 v2, vcc, s8, v2
	v_add_u32_e32 v1, s19, v1
	v_addc_co_u32_e32 v3, vcc, v4, v3, vcc
	global_store_dword v[2:3], v1, off offset:128
.LBB41_6:
	s_or_b64 exec, exec, s[6:7]
	s_cmp_lt_i32 s34, s35
	s_cbranch_scc0 .LBB41_25
; %bb.7:
	s_load_dwordx2 s[40:41], s[4:5], 0x20
	s_load_dwordx2 s[18:19], s[4:5], 0x38
	;; [unrolled: 1-line block ×3, first 2 shown]
	s_load_dword s6, s[4:5], 0x0
	s_load_dwordx2 s[22:23], s[4:5], 0x48
	v_and_b32_e32 v8, 31, v0
	v_or_b32_e32 v9, 32, v8
	v_or_b32_e32 v10, 64, v8
	v_or_b32_e32 v11, 0x60, v8
	s_waitcnt lgkmcnt(0)
	s_cmp_eq_u32 s6, 0
	v_mul_lo_u32 v14, v6, s10
	v_cmp_gt_i32_e64 s[4:5], s13, v8
	v_cmp_gt_i32_e64 s[6:7], s13, v9
	;; [unrolled: 1-line block ×4, first 2 shown]
	s_cselect_b64 vcc, -1, 0
	s_and_b64 s[24:25], s[0:1], s[4:5]
	s_and_b64 s[26:27], s[0:1], s[6:7]
	;; [unrolled: 1-line block ×8, first 2 shown]
	s_mul_i32 s10, s12, s16
	v_add_u32_e32 v0, s10, v6
	v_add_u32_e32 v7, s17, v8
	;; [unrolled: 1-line block ×3, first 2 shown]
	v_mul_lo_u32 v13, s13, v0
	v_add_u32_e32 v0, 0x60, v7
	v_mul_lo_u32 v12, s13, v1
	v_mad_u64_u32 v[0:1], s[0:1], s12, v0, v[6:7]
	v_add_u32_e32 v1, 64, v7
	v_mad_u64_u32 v[2:3], s[0:1], s12, v1, v[6:7]
	v_add_u32_e32 v1, 32, v7
	v_mad_u64_u32 v[4:5], s[0:1], s12, v1, v[6:7]
	v_mad_u64_u32 v[6:7], s[0:1], s12, v7, v[6:7]
	v_add_u32_e32 v3, s10, v14
	v_lshl_add_u32 v1, s35, 5, v3
	s_lshl_b32 s0, s34, 5
	s_ashr_i32 s17, s16, 31
	v_subrev_u32_e32 v1, s0, v1
	s_lshl_b64 s[0:1], s[16:17], 2
	s_add_u32 s10, s40, s0
	s_mul_i32 s36, s13, s12
	s_mov_b32 s37, 0
	s_movk_i32 s38, 0x60
	v_mul_lo_u32 v1, s13, v1
	v_mul_lo_u32 v3, s13, v3
	s_addc_u32 s11, s41, s1
	s_branch .LBB41_9
.LBB41_8:                               ;   in Loop: Header=BB41_9 Depth=1
	s_or_b64 exec, exec, s[34:35]
	s_add_i32 s16, s16, 1
	s_add_i32 s37, s37, s36
	s_add_u32 s10, s10, 4
	s_addc_u32 s11, s11, 0
	v_add_u32_e32 v12, s36, v12
	v_add_u32_e32 v13, s36, v13
	;; [unrolled: 1-line block ×3, first 2 shown]
	s_cmp_ge_i32 s16, s33
	v_add_u32_e32 v3, s13, v3
	s_cbranch_scc1 .LBB41_25
.LBB41_9:                               ; =>This Inner Loop Header: Depth=1
	s_load_dword s0, s[10:11], 0x0
	s_waitcnt lgkmcnt(0)
	s_sub_i32 s0, s0, s15
	s_mul_i32 s12, s0, s13
	s_add_i32 s12, s12, s14
	v_add_u32_e32 v5, s12, v8
	s_and_saveexec_b64 s[34:35], s[24:25]
	s_cbranch_execz .LBB41_11
; %bb.10:                               ;   in Loop: Header=BB41_9 Depth=1
	v_add_u32_e32 v7, v8, v13
	v_add_u32_e32 v14, s37, v6
	v_cndmask_b32_e32 v14, v14, v7, vcc
	v_ashrrev_i32_e32 v15, 31, v14
	v_lshlrev_b64 v[14:15], 2, v[14:15]
	v_mov_b32_e32 v7, s21
	v_add_co_u32_e64 v14, s[0:1], s20, v14
	v_addc_co_u32_e64 v15, s[0:1], v7, v15, s[0:1]
	global_load_dword v7, v[14:15], off
	v_add_u32_e32 v14, v8, v3
	v_ashrrev_i32_e32 v15, 31, v14
	v_lshlrev_b64 v[14:15], 2, v[14:15]
	v_mov_b32_e32 v17, s23
	v_add_co_u32_e64 v16, s[0:1], s22, v14
	v_addc_co_u32_e64 v17, s[0:1], v17, v15, s[0:1]
	global_store_dword v[16:17], v5, off
	v_mov_b32_e32 v16, s19
	v_add_co_u32_e64 v14, s[0:1], s18, v14
	v_addc_co_u32_e64 v15, s[0:1], v16, v15, s[0:1]
	s_waitcnt vmcnt(1)
	global_store_dword v[14:15], v7, off
.LBB41_11:                              ;   in Loop: Header=BB41_9 Depth=1
	s_or_b64 exec, exec, s[34:35]
	v_add_u32_e32 v7, s12, v9
	v_add_u32_e32 v16, s37, v4
	s_and_saveexec_b64 s[34:35], s[26:27]
	s_cbranch_execnz .LBB41_18
; %bb.12:                               ;   in Loop: Header=BB41_9 Depth=1
	s_or_b64 exec, exec, s[34:35]
	v_add_u32_e32 v14, s12, v10
	s_and_saveexec_b64 s[34:35], s[28:29]
	s_cbranch_execnz .LBB41_19
.LBB41_13:                              ;   in Loop: Header=BB41_9 Depth=1
	s_or_b64 exec, exec, s[34:35]
	v_add_u32_e32 v15, s12, v11
	s_and_saveexec_b64 s[34:35], s[30:31]
	s_cbranch_execnz .LBB41_20
.LBB41_14:                              ;   in Loop: Header=BB41_9 Depth=1
	s_or_b64 exec, exec, s[34:35]
	v_add_u32_e32 v17, v8, v12
	s_and_saveexec_b64 s[34:35], s[4:5]
	s_cbranch_execnz .LBB41_21
.LBB41_15:                              ;   in Loop: Header=BB41_9 Depth=1
	s_or_b64 exec, exec, s[34:35]
	s_and_saveexec_b64 s[34:35], s[6:7]
	s_cbranch_execnz .LBB41_22
.LBB41_16:                              ;   in Loop: Header=BB41_9 Depth=1
	s_or_b64 exec, exec, s[34:35]
	s_and_saveexec_b64 s[34:35], s[8:9]
	s_cbranch_execnz .LBB41_23
.LBB41_17:                              ;   in Loop: Header=BB41_9 Depth=1
	s_or_b64 exec, exec, s[34:35]
	s_and_saveexec_b64 s[34:35], s[2:3]
	s_cbranch_execz .LBB41_8
	s_branch .LBB41_24
.LBB41_18:                              ;   in Loop: Header=BB41_9 Depth=1
	v_add3_u32 v14, v8, v13, 32
	v_cndmask_b32_e32 v14, v16, v14, vcc
	v_ashrrev_i32_e32 v15, 31, v14
	v_lshlrev_b64 v[14:15], 2, v[14:15]
	v_mov_b32_e32 v17, s21
	v_add_co_u32_e64 v14, s[0:1], s20, v14
	v_addc_co_u32_e64 v15, s[0:1], v17, v15, s[0:1]
	global_load_dword v17, v[14:15], off
	v_add3_u32 v14, v8, v3, 32
	v_ashrrev_i32_e32 v15, 31, v14
	v_lshlrev_b64 v[14:15], 2, v[14:15]
	v_mov_b32_e32 v19, s23
	v_add_co_u32_e64 v18, s[0:1], s22, v14
	v_addc_co_u32_e64 v19, s[0:1], v19, v15, s[0:1]
	global_store_dword v[18:19], v7, off
	v_mov_b32_e32 v18, s19
	v_add_co_u32_e64 v14, s[0:1], s18, v14
	v_addc_co_u32_e64 v15, s[0:1], v18, v15, s[0:1]
	s_waitcnt vmcnt(1)
	global_store_dword v[14:15], v17, off
	s_or_b64 exec, exec, s[34:35]
	v_add_u32_e32 v14, s12, v10
	s_and_saveexec_b64 s[34:35], s[28:29]
	s_cbranch_execz .LBB41_13
.LBB41_19:                              ;   in Loop: Header=BB41_9 Depth=1
	v_add3_u32 v15, v8, v13, 64
	v_add_u32_e32 v17, s37, v2
	v_cndmask_b32_e32 v18, v17, v15, vcc
	v_ashrrev_i32_e32 v19, 31, v18
	v_lshlrev_b64 v[18:19], 2, v[18:19]
	v_mov_b32_e32 v15, s21
	v_add_co_u32_e64 v18, s[0:1], s20, v18
	v_addc_co_u32_e64 v19, s[0:1], v15, v19, s[0:1]
	global_load_dword v15, v[18:19], off
	v_add3_u32 v18, v8, v3, 64
	v_ashrrev_i32_e32 v19, 31, v18
	v_lshlrev_b64 v[18:19], 2, v[18:19]
	v_mov_b32_e32 v17, s23
	v_add_co_u32_e64 v20, s[0:1], s22, v18
	v_addc_co_u32_e64 v21, s[0:1], v17, v19, s[0:1]
	v_mov_b32_e32 v17, s19
	v_add_co_u32_e64 v18, s[0:1], s18, v18
	v_addc_co_u32_e64 v19, s[0:1], v17, v19, s[0:1]
	global_store_dword v[20:21], v14, off
	s_waitcnt vmcnt(1)
	global_store_dword v[18:19], v15, off
	s_or_b64 exec, exec, s[34:35]
	v_add_u32_e32 v15, s12, v11
	s_and_saveexec_b64 s[34:35], s[30:31]
	s_cbranch_execz .LBB41_14
.LBB41_20:                              ;   in Loop: Header=BB41_9 Depth=1
	v_add3_u32 v17, v8, v13, s38
	v_add_u32_e32 v18, s37, v0
	v_cndmask_b32_e32 v18, v18, v17, vcc
	v_ashrrev_i32_e32 v19, 31, v18
	v_lshlrev_b64 v[18:19], 2, v[18:19]
	v_mov_b32_e32 v17, s21
	v_add_co_u32_e64 v18, s[0:1], s20, v18
	v_addc_co_u32_e64 v19, s[0:1], v17, v19, s[0:1]
	global_load_dword v17, v[18:19], off
	v_add3_u32 v18, v8, v3, s38
	v_ashrrev_i32_e32 v19, 31, v18
	v_lshlrev_b64 v[18:19], 2, v[18:19]
	v_mov_b32_e32 v21, s23
	v_add_co_u32_e64 v20, s[0:1], s22, v18
	v_addc_co_u32_e64 v21, s[0:1], v21, v19, s[0:1]
	global_store_dword v[20:21], v15, off
	v_mov_b32_e32 v20, s19
	v_add_co_u32_e64 v18, s[0:1], s18, v18
	v_addc_co_u32_e64 v19, s[0:1], v20, v19, s[0:1]
	s_waitcnt vmcnt(1)
	global_store_dword v[18:19], v17, off
	s_or_b64 exec, exec, s[34:35]
	v_add_u32_e32 v17, v8, v12
	s_and_saveexec_b64 s[34:35], s[4:5]
	s_cbranch_execz .LBB41_15
.LBB41_21:                              ;   in Loop: Header=BB41_9 Depth=1
	v_add3_u32 v18, v6, s37, 32
	v_cndmask_b32_e32 v18, v18, v17, vcc
	v_ashrrev_i32_e32 v19, 31, v18
	v_lshlrev_b64 v[18:19], 2, v[18:19]
	v_mov_b32_e32 v20, s21
	v_add_co_u32_e64 v18, s[0:1], s20, v18
	v_addc_co_u32_e64 v19, s[0:1], v20, v19, s[0:1]
	global_load_dword v22, v[18:19], off
	v_add_u32_e32 v18, v8, v1
	v_ashrrev_i32_e32 v19, 31, v18
	v_lshlrev_b64 v[18:19], 2, v[18:19]
	v_mov_b32_e32 v21, s23
	v_add_co_u32_e64 v20, s[0:1], s22, v18
	v_addc_co_u32_e64 v21, s[0:1], v21, v19, s[0:1]
	global_store_dword v[20:21], v5, off
	v_mov_b32_e32 v5, s19
	v_add_co_u32_e64 v18, s[0:1], s18, v18
	v_addc_co_u32_e64 v19, s[0:1], v5, v19, s[0:1]
	s_waitcnt vmcnt(1)
	global_store_dword v[18:19], v22, off
	s_or_b64 exec, exec, s[34:35]
	s_and_saveexec_b64 s[34:35], s[6:7]
	s_cbranch_execz .LBB41_16
.LBB41_22:                              ;   in Loop: Header=BB41_9 Depth=1
	v_cndmask_b32_e32 v5, v16, v17, vcc
	v_add_u32_e32 v16, 32, v5
	v_ashrrev_i32_e32 v17, 31, v16
	v_lshlrev_b64 v[16:17], 2, v[16:17]
	v_mov_b32_e32 v5, s21
	v_add_co_u32_e64 v16, s[0:1], s20, v16
	v_addc_co_u32_e64 v17, s[0:1], v5, v17, s[0:1]
	global_load_dword v5, v[16:17], off
	v_add3_u32 v16, v8, v1, 32
	v_ashrrev_i32_e32 v17, 31, v16
	v_lshlrev_b64 v[16:17], 2, v[16:17]
	v_mov_b32_e32 v19, s23
	v_add_co_u32_e64 v18, s[0:1], s22, v16
	v_addc_co_u32_e64 v19, s[0:1], v19, v17, s[0:1]
	global_store_dword v[18:19], v7, off
	v_mov_b32_e32 v7, s19
	v_add_co_u32_e64 v16, s[0:1], s18, v16
	v_addc_co_u32_e64 v17, s[0:1], v7, v17, s[0:1]
	s_waitcnt vmcnt(1)
	global_store_dword v[16:17], v5, off
	s_or_b64 exec, exec, s[34:35]
	s_and_saveexec_b64 s[34:35], s[8:9]
	s_cbranch_execz .LBB41_17
.LBB41_23:                              ;   in Loop: Header=BB41_9 Depth=1
	v_add3_u32 v5, v8, v12, 64
	v_add3_u32 v7, v2, s37, 32
	v_cndmask_b32_e32 v16, v7, v5, vcc
	v_ashrrev_i32_e32 v17, 31, v16
	v_lshlrev_b64 v[16:17], 2, v[16:17]
	v_mov_b32_e32 v5, s21
	v_add_co_u32_e64 v16, s[0:1], s20, v16
	v_addc_co_u32_e64 v17, s[0:1], v5, v17, s[0:1]
	global_load_dword v5, v[16:17], off
	v_add3_u32 v16, v8, v1, 64
	v_ashrrev_i32_e32 v17, 31, v16
	v_lshlrev_b64 v[16:17], 2, v[16:17]
	v_mov_b32_e32 v7, s23
	v_add_co_u32_e64 v18, s[0:1], s22, v16
	v_addc_co_u32_e64 v19, s[0:1], v7, v17, s[0:1]
	v_mov_b32_e32 v7, s19
	v_add_co_u32_e64 v16, s[0:1], s18, v16
	v_addc_co_u32_e64 v17, s[0:1], v7, v17, s[0:1]
	global_store_dword v[18:19], v14, off
	s_waitcnt vmcnt(1)
	global_store_dword v[16:17], v5, off
	s_or_b64 exec, exec, s[34:35]
	s_and_saveexec_b64 s[34:35], s[2:3]
	s_cbranch_execz .LBB41_8
.LBB41_24:                              ;   in Loop: Header=BB41_9 Depth=1
	v_add3_u32 v5, v8, v12, s38
	v_add3_u32 v7, v0, s37, 32
	v_cndmask_b32_e32 v16, v7, v5, vcc
	v_ashrrev_i32_e32 v17, 31, v16
	v_lshlrev_b64 v[16:17], 2, v[16:17]
	v_mov_b32_e32 v5, s21
	v_add_co_u32_e64 v16, s[0:1], s20, v16
	v_addc_co_u32_e64 v17, s[0:1], v5, v17, s[0:1]
	global_load_dword v5, v[16:17], off
	v_add3_u32 v16, v8, v1, s38
	v_ashrrev_i32_e32 v17, 31, v16
	v_lshlrev_b64 v[16:17], 2, v[16:17]
	v_mov_b32_e32 v7, s23
	v_add_co_u32_e64 v18, s[0:1], s22, v16
	v_addc_co_u32_e64 v19, s[0:1], v7, v17, s[0:1]
	v_mov_b32_e32 v7, s19
	v_add_co_u32_e64 v14, s[0:1], s18, v16
	global_store_dword v[18:19], v15, off
	v_addc_co_u32_e64 v15, s[0:1], v7, v17, s[0:1]
	s_waitcnt vmcnt(1)
	global_store_dword v[14:15], v5, off
	s_branch .LBB41_8
.LBB41_25:
	s_endpgm
	.section	.rodata,"a",@progbits
	.p2align	6, 0x0
	.amdhsa_kernel _ZN9rocsparseL37gebsr2csr_block_per_row_33_128_kernelILi1024ELi64ELi128ELi32ELi32EfEEv20rocsparse_direction_ii21rocsparse_index_base_PKT4_PKiS7_iiS2_PS3_PiS9_
		.amdhsa_group_segment_fixed_size 0
		.amdhsa_private_segment_fixed_size 0
		.amdhsa_kernarg_size 80
		.amdhsa_user_sgpr_count 6
		.amdhsa_user_sgpr_private_segment_buffer 1
		.amdhsa_user_sgpr_dispatch_ptr 0
		.amdhsa_user_sgpr_queue_ptr 0
		.amdhsa_user_sgpr_kernarg_segment_ptr 1
		.amdhsa_user_sgpr_dispatch_id 0
		.amdhsa_user_sgpr_flat_scratch_init 0
		.amdhsa_user_sgpr_kernarg_preload_length 0
		.amdhsa_user_sgpr_kernarg_preload_offset 0
		.amdhsa_user_sgpr_private_segment_size 0
		.amdhsa_uses_dynamic_stack 0
		.amdhsa_system_sgpr_private_segment_wavefront_offset 0
		.amdhsa_system_sgpr_workgroup_id_x 1
		.amdhsa_system_sgpr_workgroup_id_y 0
		.amdhsa_system_sgpr_workgroup_id_z 0
		.amdhsa_system_sgpr_workgroup_info 0
		.amdhsa_system_vgpr_workitem_id 0
		.amdhsa_next_free_vgpr 23
		.amdhsa_next_free_sgpr 42
		.amdhsa_accum_offset 24
		.amdhsa_reserve_vcc 1
		.amdhsa_reserve_flat_scratch 0
		.amdhsa_float_round_mode_32 0
		.amdhsa_float_round_mode_16_64 0
		.amdhsa_float_denorm_mode_32 3
		.amdhsa_float_denorm_mode_16_64 3
		.amdhsa_dx10_clamp 1
		.amdhsa_ieee_mode 1
		.amdhsa_fp16_overflow 0
		.amdhsa_tg_split 0
		.amdhsa_exception_fp_ieee_invalid_op 0
		.amdhsa_exception_fp_denorm_src 0
		.amdhsa_exception_fp_ieee_div_zero 0
		.amdhsa_exception_fp_ieee_overflow 0
		.amdhsa_exception_fp_ieee_underflow 0
		.amdhsa_exception_fp_ieee_inexact 0
		.amdhsa_exception_int_div_zero 0
	.end_amdhsa_kernel
	.section	.text._ZN9rocsparseL37gebsr2csr_block_per_row_33_128_kernelILi1024ELi64ELi128ELi32ELi32EfEEv20rocsparse_direction_ii21rocsparse_index_base_PKT4_PKiS7_iiS2_PS3_PiS9_,"axG",@progbits,_ZN9rocsparseL37gebsr2csr_block_per_row_33_128_kernelILi1024ELi64ELi128ELi32ELi32EfEEv20rocsparse_direction_ii21rocsparse_index_base_PKT4_PKiS7_iiS2_PS3_PiS9_,comdat
.Lfunc_end41:
	.size	_ZN9rocsparseL37gebsr2csr_block_per_row_33_128_kernelILi1024ELi64ELi128ELi32ELi32EfEEv20rocsparse_direction_ii21rocsparse_index_base_PKT4_PKiS7_iiS2_PS3_PiS9_, .Lfunc_end41-_ZN9rocsparseL37gebsr2csr_block_per_row_33_128_kernelILi1024ELi64ELi128ELi32ELi32EfEEv20rocsparse_direction_ii21rocsparse_index_base_PKT4_PKiS7_iiS2_PS3_PiS9_
                                        ; -- End function
	.section	.AMDGPU.csdata,"",@progbits
; Kernel info:
; codeLenInByte = 1944
; NumSgprs: 46
; NumVgprs: 23
; NumAgprs: 0
; TotalNumVgprs: 23
; ScratchSize: 0
; MemoryBound: 0
; FloatMode: 240
; IeeeMode: 1
; LDSByteSize: 0 bytes/workgroup (compile time only)
; SGPRBlocks: 5
; VGPRBlocks: 2
; NumSGPRsForWavesPerEU: 46
; NumVGPRsForWavesPerEU: 23
; AccumOffset: 24
; Occupancy: 8
; WaveLimiterHint : 1
; COMPUTE_PGM_RSRC2:SCRATCH_EN: 0
; COMPUTE_PGM_RSRC2:USER_SGPR: 6
; COMPUTE_PGM_RSRC2:TRAP_HANDLER: 0
; COMPUTE_PGM_RSRC2:TGID_X_EN: 1
; COMPUTE_PGM_RSRC2:TGID_Y_EN: 0
; COMPUTE_PGM_RSRC2:TGID_Z_EN: 0
; COMPUTE_PGM_RSRC2:TIDIG_COMP_CNT: 0
; COMPUTE_PGM_RSRC3_GFX90A:ACCUM_OFFSET: 5
; COMPUTE_PGM_RSRC3_GFX90A:TG_SPLIT: 0
	.section	.text._ZN9rocsparseL37gebsr2csr_block_per_row_33_128_kernelILi1024ELi128ELi2ELi32ELi2EfEEv20rocsparse_direction_ii21rocsparse_index_base_PKT4_PKiS7_iiS2_PS3_PiS9_,"axG",@progbits,_ZN9rocsparseL37gebsr2csr_block_per_row_33_128_kernelILi1024ELi128ELi2ELi32ELi2EfEEv20rocsparse_direction_ii21rocsparse_index_base_PKT4_PKiS7_iiS2_PS3_PiS9_,comdat
	.globl	_ZN9rocsparseL37gebsr2csr_block_per_row_33_128_kernelILi1024ELi128ELi2ELi32ELi2EfEEv20rocsparse_direction_ii21rocsparse_index_base_PKT4_PKiS7_iiS2_PS3_PiS9_ ; -- Begin function _ZN9rocsparseL37gebsr2csr_block_per_row_33_128_kernelILi1024ELi128ELi2ELi32ELi2EfEEv20rocsparse_direction_ii21rocsparse_index_base_PKT4_PKiS7_iiS2_PS3_PiS9_
	.p2align	8
	.type	_ZN9rocsparseL37gebsr2csr_block_per_row_33_128_kernelILi1024ELi128ELi2ELi32ELi2EfEEv20rocsparse_direction_ii21rocsparse_index_base_PKT4_PKiS7_iiS2_PS3_PiS9_,@function
_ZN9rocsparseL37gebsr2csr_block_per_row_33_128_kernelILi1024ELi128ELi2ELi32ELi2EfEEv20rocsparse_direction_ii21rocsparse_index_base_PKT4_PKiS7_iiS2_PS3_PiS9_: ; @_ZN9rocsparseL37gebsr2csr_block_per_row_33_128_kernelILi1024ELi128ELi2ELi32ELi2EfEEv20rocsparse_direction_ii21rocsparse_index_base_PKT4_PKiS7_iiS2_PS3_PiS9_
; %bb.0:
	s_load_dwordx2 s[0:1], s[4:5], 0x18
	s_load_dwordx4 s[12:15], s[4:5], 0x28
	s_load_dwordx2 s[2:3], s[4:5], 0x40
	s_ashr_i32 s7, s6, 31
	s_lshl_b64 s[8:9], s[6:7], 2
	s_waitcnt lgkmcnt(0)
	s_add_u32 s0, s0, s8
	s_addc_u32 s1, s1, s9
	s_load_dwordx2 s[22:23], s[0:1], 0x0
	v_or_b32_e32 v1, s6, v0
	v_cmp_eq_u32_e32 vcc, 0, v1
	s_and_saveexec_b64 s[0:1], vcc
	s_cbranch_execz .LBB42_2
; %bb.1:
	v_mov_b32_e32 v1, 0
	v_mov_b32_e32 v2, s14
	global_store_dword v1, v2, s[2:3]
.LBB42_2:
	s_or_b64 exec, exec, s[0:1]
	s_load_dword s24, s[4:5], 0xc
	v_lshrrev_b32_e32 v2, 1, v0
	s_mul_i32 s15, s6, s12
	s_waitcnt lgkmcnt(0)
	s_sub_i32 s10, s22, s24
	s_sub_i32 s25, s23, s24
	s_mul_i32 s11, s10, s13
	s_sub_i32 s27, s25, s10
	s_mul_i32 s0, s11, s12
	s_mul_i32 s18, s27, s13
	s_add_i32 s19, s0, s14
	s_add_i32 s19, s19, s18
	v_cmp_gt_i32_e64 s[0:1], s12, v2
	s_and_saveexec_b64 s[6:7], s[0:1]
	s_cbranch_execz .LBB42_4
; %bb.3:
	v_add_u32_e32 v4, s15, v2
	v_ashrrev_i32_e32 v5, 31, v4
	v_lshlrev_b64 v[4:5], 2, v[4:5]
	v_mul_lo_u32 v1, v2, s18
	v_mov_b32_e32 v3, s3
	v_add_co_u32_e32 v4, vcc, s2, v4
	v_add_u32_e32 v1, s19, v1
	v_addc_co_u32_e32 v5, vcc, v3, v5, vcc
	global_store_dword v[4:5], v1, off offset:4
.LBB42_4:
	s_or_b64 exec, exec, s[6:7]
	s_add_u32 s20, s2, 4
	v_add_u32_e32 v1, 32, v2
	s_addc_u32 s21, s3, 0
	v_cmp_gt_i32_e64 s[2:3], s12, v1
	s_and_saveexec_b64 s[6:7], s[2:3]
	s_cbranch_execz .LBB42_6
; %bb.5:
	s_ashr_i32 s8, s15, 31
	v_mov_b32_e32 v3, s8
	v_add_co_u32_e32 v4, vcc, s15, v2
	v_addc_co_u32_e32 v5, vcc, 0, v3, vcc
	v_lshlrev_b64 v[4:5], 2, v[4:5]
	v_mul_lo_u32 v1, v1, s18
	v_mov_b32_e32 v3, s21
	v_add_co_u32_e32 v4, vcc, s20, v4
	v_add_u32_e32 v1, s19, v1
	v_addc_co_u32_e32 v5, vcc, v3, v5, vcc
	global_store_dword v[4:5], v1, off offset:128
.LBB42_6:
	s_or_b64 exec, exec, s[6:7]
	v_add_u32_e32 v1, 64, v2
	v_cmp_gt_i32_e64 s[6:7], s12, v1
	s_and_saveexec_b64 s[8:9], s[6:7]
	s_cbranch_execz .LBB42_8
; %bb.7:
	s_ashr_i32 s16, s15, 31
	v_mov_b32_e32 v3, s16
	v_add_co_u32_e32 v4, vcc, s15, v2
	v_addc_co_u32_e32 v5, vcc, 0, v3, vcc
	v_lshlrev_b64 v[4:5], 2, v[4:5]
	v_mul_lo_u32 v1, v1, s18
	v_mov_b32_e32 v3, s21
	v_add_co_u32_e32 v4, vcc, s20, v4
	v_add_u32_e32 v1, s19, v1
	v_addc_co_u32_e32 v5, vcc, v3, v5, vcc
	global_store_dword v[4:5], v1, off offset:256
.LBB42_8:
	s_or_b64 exec, exec, s[8:9]
	v_add_u32_e32 v1, 0x60, v2
	v_cmp_gt_i32_e64 s[8:9], s12, v1
	s_and_saveexec_b64 s[16:17], s[8:9]
	s_cbranch_execz .LBB42_10
; %bb.9:
	v_mul_lo_u32 v1, v1, s18
	s_ashr_i32 s18, s15, 31
	v_mov_b32_e32 v3, s18
	v_add_co_u32_e32 v4, vcc, s15, v2
	v_addc_co_u32_e32 v5, vcc, 0, v3, vcc
	v_lshlrev_b64 v[4:5], 2, v[4:5]
	v_mov_b32_e32 v3, s21
	v_add_co_u32_e32 v4, vcc, s20, v4
	v_add_u32_e32 v1, s19, v1
	v_addc_co_u32_e32 v5, vcc, v3, v5, vcc
	global_store_dword v[4:5], v1, off offset:384
.LBB42_10:
	s_or_b64 exec, exec, s[16:17]
	s_cmp_lt_i32 s22, s23
	s_cbranch_scc0 .LBB42_21
; %bb.11:
	s_load_dwordx2 s[28:29], s[4:5], 0x20
	s_load_dwordx2 s[16:17], s[4:5], 0x38
	s_load_dwordx2 s[18:19], s[4:5], 0x48
	s_load_dwordx2 s[20:21], s[4:5], 0x10
	s_load_dword s15, s[4:5], 0x0
	v_and_b32_e32 v3, 1, v0
	v_cmp_gt_i32_e64 s[4:5], s13, v3
	v_add_u32_e32 v4, s14, v3
	v_mul_lo_u32 v9, v2, s27
	s_waitcnt lgkmcnt(0)
	s_cmp_eq_u32 s15, 0
	s_cselect_b64 vcc, -1, 0
	s_and_b64 s[14:15], s[4:5], s[0:1]
	s_and_b64 s[2:3], s[4:5], s[2:3]
	;; [unrolled: 1-line block ×4, first 2 shown]
	s_mul_i32 s8, s12, s10
	v_add_u32_e32 v0, s8, v2
	v_add_u32_e32 v1, 0x60, v0
	v_mul_lo_u32 v5, s13, v1
	v_add_u32_e32 v1, 64, v0
	v_mul_lo_u32 v6, s13, v1
	;; [unrolled: 2-line block ×4, first 2 shown]
	v_mad_u64_u32 v[0:1], s[0:1], s12, v0, v[2:3]
	v_add_u32_e32 v10, s8, v9
	s_mul_i32 s0, s23, 0x60
	v_add_u32_e32 v1, s0, v10
	s_mul_i32 s0, s22, 0x60
	v_subrev_u32_e32 v1, s0, v1
	v_lshl_add_u32 v2, s23, 6, v10
	s_lshl_b32 s0, s22, 6
	v_subrev_u32_e32 v2, s0, v2
	v_lshl_add_u32 v9, s23, 5, v10
	s_lshl_b32 s0, s22, 5
	s_ashr_i32 s11, s10, 31
	v_subrev_u32_e32 v9, s0, v9
	s_lshl_b64 s[0:1], s[10:11], 2
	s_add_u32 s8, s28, s0
	s_mul_i32 s26, s13, s12
	v_mul_lo_u32 v1, s13, v1
	v_mul_lo_u32 v2, s13, v2
	;; [unrolled: 1-line block ×4, first 2 shown]
	s_addc_u32 s9, s29, s1
	s_branch .LBB42_13
.LBB42_12:                              ;   in Loop: Header=BB42_13 Depth=1
	s_or_b64 exec, exec, s[22:23]
	s_add_i32 s10, s10, 1
	s_add_u32 s8, s8, 4
	s_addc_u32 s9, s9, 0
	v_add_u32_e32 v5, s26, v5
	v_add_u32_e32 v6, s26, v6
	v_add_u32_e32 v7, s26, v7
	v_add_u32_e32 v8, s26, v8
	v_add_u32_e32 v0, s26, v0
	v_add_u32_e32 v1, s13, v1
	v_add_u32_e32 v2, s13, v2
	v_add_u32_e32 v9, s13, v9
	s_cmp_ge_i32 s10, s25
	v_add_u32_e32 v10, s13, v10
	s_cbranch_scc1 .LBB42_21
.LBB42_13:                              ; =>This Inner Loop Header: Depth=1
	s_load_dword s0, s[8:9], 0x0
	s_waitcnt lgkmcnt(0)
	s_sub_i32 s0, s0, s24
	s_mul_i32 s0, s0, s13
	v_add_u32_e32 v11, s0, v4
	s_and_saveexec_b64 s[22:23], s[14:15]
	s_cbranch_execnz .LBB42_17
; %bb.14:                               ;   in Loop: Header=BB42_13 Depth=1
	s_or_b64 exec, exec, s[22:23]
	s_and_saveexec_b64 s[22:23], s[2:3]
	s_cbranch_execnz .LBB42_18
.LBB42_15:                              ;   in Loop: Header=BB42_13 Depth=1
	s_or_b64 exec, exec, s[22:23]
	s_and_saveexec_b64 s[22:23], s[6:7]
	s_cbranch_execnz .LBB42_19
.LBB42_16:                              ;   in Loop: Header=BB42_13 Depth=1
	s_or_b64 exec, exec, s[22:23]
	s_and_saveexec_b64 s[22:23], s[4:5]
	s_cbranch_execz .LBB42_12
	s_branch .LBB42_20
.LBB42_17:                              ;   in Loop: Header=BB42_13 Depth=1
	v_add_u32_e32 v12, v3, v8
	v_cndmask_b32_e32 v12, v0, v12, vcc
	v_ashrrev_i32_e32 v13, 31, v12
	v_lshlrev_b64 v[12:13], 2, v[12:13]
	v_mov_b32_e32 v14, s21
	v_add_co_u32_e64 v12, s[0:1], s20, v12
	v_addc_co_u32_e64 v13, s[0:1], v14, v13, s[0:1]
	global_load_dword v16, v[12:13], off
	v_add_u32_e32 v12, v3, v10
	v_ashrrev_i32_e32 v13, 31, v12
	v_lshlrev_b64 v[12:13], 2, v[12:13]
	v_mov_b32_e32 v15, s19
	v_add_co_u32_e64 v14, s[0:1], s18, v12
	v_addc_co_u32_e64 v15, s[0:1], v15, v13, s[0:1]
	global_store_dword v[14:15], v11, off
	v_mov_b32_e32 v14, s17
	v_add_co_u32_e64 v12, s[0:1], s16, v12
	v_addc_co_u32_e64 v13, s[0:1], v14, v13, s[0:1]
	s_waitcnt vmcnt(1)
	global_store_dword v[12:13], v16, off
	s_or_b64 exec, exec, s[22:23]
	s_and_saveexec_b64 s[22:23], s[2:3]
	s_cbranch_execz .LBB42_15
.LBB42_18:                              ;   in Loop: Header=BB42_13 Depth=1
	v_add_u32_e32 v12, v3, v7
	v_add_u32_e32 v13, 32, v0
	v_cndmask_b32_e32 v12, v13, v12, vcc
	v_ashrrev_i32_e32 v13, 31, v12
	v_lshlrev_b64 v[12:13], 2, v[12:13]
	v_mov_b32_e32 v14, s21
	v_add_co_u32_e64 v12, s[0:1], s20, v12
	v_addc_co_u32_e64 v13, s[0:1], v14, v13, s[0:1]
	global_load_dword v16, v[12:13], off
	v_add_u32_e32 v12, v3, v9
	v_ashrrev_i32_e32 v13, 31, v12
	v_lshlrev_b64 v[12:13], 2, v[12:13]
	v_mov_b32_e32 v15, s19
	v_add_co_u32_e64 v14, s[0:1], s18, v12
	v_addc_co_u32_e64 v15, s[0:1], v15, v13, s[0:1]
	global_store_dword v[14:15], v11, off
	v_mov_b32_e32 v14, s17
	v_add_co_u32_e64 v12, s[0:1], s16, v12
	v_addc_co_u32_e64 v13, s[0:1], v14, v13, s[0:1]
	s_waitcnt vmcnt(1)
	global_store_dword v[12:13], v16, off
	s_or_b64 exec, exec, s[22:23]
	s_and_saveexec_b64 s[22:23], s[6:7]
	s_cbranch_execz .LBB42_16
.LBB42_19:                              ;   in Loop: Header=BB42_13 Depth=1
	v_add_u32_e32 v12, v3, v6
	v_add_u32_e32 v13, 64, v0
	v_cndmask_b32_e32 v12, v13, v12, vcc
	v_ashrrev_i32_e32 v13, 31, v12
	v_lshlrev_b64 v[12:13], 2, v[12:13]
	v_mov_b32_e32 v14, s21
	v_add_co_u32_e64 v12, s[0:1], s20, v12
	v_addc_co_u32_e64 v13, s[0:1], v14, v13, s[0:1]
	global_load_dword v16, v[12:13], off
	v_add_u32_e32 v12, v3, v2
	v_ashrrev_i32_e32 v13, 31, v12
	v_lshlrev_b64 v[12:13], 2, v[12:13]
	v_mov_b32_e32 v15, s19
	v_add_co_u32_e64 v14, s[0:1], s18, v12
	v_addc_co_u32_e64 v15, s[0:1], v15, v13, s[0:1]
	global_store_dword v[14:15], v11, off
	v_mov_b32_e32 v14, s17
	v_add_co_u32_e64 v12, s[0:1], s16, v12
	v_addc_co_u32_e64 v13, s[0:1], v14, v13, s[0:1]
	s_waitcnt vmcnt(1)
	global_store_dword v[12:13], v16, off
	s_or_b64 exec, exec, s[22:23]
	s_and_saveexec_b64 s[22:23], s[4:5]
	s_cbranch_execz .LBB42_12
.LBB42_20:                              ;   in Loop: Header=BB42_13 Depth=1
	v_add_u32_e32 v12, v3, v5
	v_add_u32_e32 v13, 0x60, v0
	v_cndmask_b32_e32 v12, v13, v12, vcc
	v_ashrrev_i32_e32 v13, 31, v12
	v_lshlrev_b64 v[12:13], 2, v[12:13]
	v_mov_b32_e32 v14, s21
	v_add_co_u32_e64 v12, s[0:1], s20, v12
	v_addc_co_u32_e64 v13, s[0:1], v14, v13, s[0:1]
	global_load_dword v16, v[12:13], off
	v_add_u32_e32 v12, v3, v1
	v_ashrrev_i32_e32 v13, 31, v12
	v_lshlrev_b64 v[12:13], 2, v[12:13]
	v_mov_b32_e32 v15, s19
	v_add_co_u32_e64 v14, s[0:1], s18, v12
	v_addc_co_u32_e64 v15, s[0:1], v15, v13, s[0:1]
	global_store_dword v[14:15], v11, off
	v_mov_b32_e32 v11, s17
	v_add_co_u32_e64 v12, s[0:1], s16, v12
	v_addc_co_u32_e64 v13, s[0:1], v11, v13, s[0:1]
	s_waitcnt vmcnt(1)
	global_store_dword v[12:13], v16, off
	s_branch .LBB42_12
.LBB42_21:
	s_endpgm
	.section	.rodata,"a",@progbits
	.p2align	6, 0x0
	.amdhsa_kernel _ZN9rocsparseL37gebsr2csr_block_per_row_33_128_kernelILi1024ELi128ELi2ELi32ELi2EfEEv20rocsparse_direction_ii21rocsparse_index_base_PKT4_PKiS7_iiS2_PS3_PiS9_
		.amdhsa_group_segment_fixed_size 0
		.amdhsa_private_segment_fixed_size 0
		.amdhsa_kernarg_size 80
		.amdhsa_user_sgpr_count 6
		.amdhsa_user_sgpr_private_segment_buffer 1
		.amdhsa_user_sgpr_dispatch_ptr 0
		.amdhsa_user_sgpr_queue_ptr 0
		.amdhsa_user_sgpr_kernarg_segment_ptr 1
		.amdhsa_user_sgpr_dispatch_id 0
		.amdhsa_user_sgpr_flat_scratch_init 0
		.amdhsa_user_sgpr_kernarg_preload_length 0
		.amdhsa_user_sgpr_kernarg_preload_offset 0
		.amdhsa_user_sgpr_private_segment_size 0
		.amdhsa_uses_dynamic_stack 0
		.amdhsa_system_sgpr_private_segment_wavefront_offset 0
		.amdhsa_system_sgpr_workgroup_id_x 1
		.amdhsa_system_sgpr_workgroup_id_y 0
		.amdhsa_system_sgpr_workgroup_id_z 0
		.amdhsa_system_sgpr_workgroup_info 0
		.amdhsa_system_vgpr_workitem_id 0
		.amdhsa_next_free_vgpr 17
		.amdhsa_next_free_sgpr 30
		.amdhsa_accum_offset 20
		.amdhsa_reserve_vcc 1
		.amdhsa_reserve_flat_scratch 0
		.amdhsa_float_round_mode_32 0
		.amdhsa_float_round_mode_16_64 0
		.amdhsa_float_denorm_mode_32 3
		.amdhsa_float_denorm_mode_16_64 3
		.amdhsa_dx10_clamp 1
		.amdhsa_ieee_mode 1
		.amdhsa_fp16_overflow 0
		.amdhsa_tg_split 0
		.amdhsa_exception_fp_ieee_invalid_op 0
		.amdhsa_exception_fp_denorm_src 0
		.amdhsa_exception_fp_ieee_div_zero 0
		.amdhsa_exception_fp_ieee_overflow 0
		.amdhsa_exception_fp_ieee_underflow 0
		.amdhsa_exception_fp_ieee_inexact 0
		.amdhsa_exception_int_div_zero 0
	.end_amdhsa_kernel
	.section	.text._ZN9rocsparseL37gebsr2csr_block_per_row_33_128_kernelILi1024ELi128ELi2ELi32ELi2EfEEv20rocsparse_direction_ii21rocsparse_index_base_PKT4_PKiS7_iiS2_PS3_PiS9_,"axG",@progbits,_ZN9rocsparseL37gebsr2csr_block_per_row_33_128_kernelILi1024ELi128ELi2ELi32ELi2EfEEv20rocsparse_direction_ii21rocsparse_index_base_PKT4_PKiS7_iiS2_PS3_PiS9_,comdat
.Lfunc_end42:
	.size	_ZN9rocsparseL37gebsr2csr_block_per_row_33_128_kernelILi1024ELi128ELi2ELi32ELi2EfEEv20rocsparse_direction_ii21rocsparse_index_base_PKT4_PKiS7_iiS2_PS3_PiS9_, .Lfunc_end42-_ZN9rocsparseL37gebsr2csr_block_per_row_33_128_kernelILi1024ELi128ELi2ELi32ELi2EfEEv20rocsparse_direction_ii21rocsparse_index_base_PKT4_PKiS7_iiS2_PS3_PiS9_
                                        ; -- End function
	.section	.AMDGPU.csdata,"",@progbits
; Kernel info:
; codeLenInByte = 1432
; NumSgprs: 34
; NumVgprs: 17
; NumAgprs: 0
; TotalNumVgprs: 17
; ScratchSize: 0
; MemoryBound: 0
; FloatMode: 240
; IeeeMode: 1
; LDSByteSize: 0 bytes/workgroup (compile time only)
; SGPRBlocks: 4
; VGPRBlocks: 2
; NumSGPRsForWavesPerEU: 34
; NumVGPRsForWavesPerEU: 17
; AccumOffset: 20
; Occupancy: 8
; WaveLimiterHint : 0
; COMPUTE_PGM_RSRC2:SCRATCH_EN: 0
; COMPUTE_PGM_RSRC2:USER_SGPR: 6
; COMPUTE_PGM_RSRC2:TRAP_HANDLER: 0
; COMPUTE_PGM_RSRC2:TGID_X_EN: 1
; COMPUTE_PGM_RSRC2:TGID_Y_EN: 0
; COMPUTE_PGM_RSRC2:TGID_Z_EN: 0
; COMPUTE_PGM_RSRC2:TIDIG_COMP_CNT: 0
; COMPUTE_PGM_RSRC3_GFX90A:ACCUM_OFFSET: 4
; COMPUTE_PGM_RSRC3_GFX90A:TG_SPLIT: 0
	.section	.text._ZN9rocsparseL37gebsr2csr_block_per_row_33_128_kernelILi1024ELi128ELi4ELi32ELi4EfEEv20rocsparse_direction_ii21rocsparse_index_base_PKT4_PKiS7_iiS2_PS3_PiS9_,"axG",@progbits,_ZN9rocsparseL37gebsr2csr_block_per_row_33_128_kernelILi1024ELi128ELi4ELi32ELi4EfEEv20rocsparse_direction_ii21rocsparse_index_base_PKT4_PKiS7_iiS2_PS3_PiS9_,comdat
	.globl	_ZN9rocsparseL37gebsr2csr_block_per_row_33_128_kernelILi1024ELi128ELi4ELi32ELi4EfEEv20rocsparse_direction_ii21rocsparse_index_base_PKT4_PKiS7_iiS2_PS3_PiS9_ ; -- Begin function _ZN9rocsparseL37gebsr2csr_block_per_row_33_128_kernelILi1024ELi128ELi4ELi32ELi4EfEEv20rocsparse_direction_ii21rocsparse_index_base_PKT4_PKiS7_iiS2_PS3_PiS9_
	.p2align	8
	.type	_ZN9rocsparseL37gebsr2csr_block_per_row_33_128_kernelILi1024ELi128ELi4ELi32ELi4EfEEv20rocsparse_direction_ii21rocsparse_index_base_PKT4_PKiS7_iiS2_PS3_PiS9_,@function
_ZN9rocsparseL37gebsr2csr_block_per_row_33_128_kernelILi1024ELi128ELi4ELi32ELi4EfEEv20rocsparse_direction_ii21rocsparse_index_base_PKT4_PKiS7_iiS2_PS3_PiS9_: ; @_ZN9rocsparseL37gebsr2csr_block_per_row_33_128_kernelILi1024ELi128ELi4ELi32ELi4EfEEv20rocsparse_direction_ii21rocsparse_index_base_PKT4_PKiS7_iiS2_PS3_PiS9_
; %bb.0:
	s_load_dwordx2 s[0:1], s[4:5], 0x18
	s_load_dwordx4 s[12:15], s[4:5], 0x28
	s_load_dwordx2 s[2:3], s[4:5], 0x40
	s_ashr_i32 s7, s6, 31
	s_lshl_b64 s[8:9], s[6:7], 2
	s_waitcnt lgkmcnt(0)
	s_add_u32 s0, s0, s8
	s_addc_u32 s1, s1, s9
	s_load_dwordx2 s[22:23], s[0:1], 0x0
	v_or_b32_e32 v1, s6, v0
	v_cmp_eq_u32_e32 vcc, 0, v1
	s_and_saveexec_b64 s[0:1], vcc
	s_cbranch_execz .LBB43_2
; %bb.1:
	v_mov_b32_e32 v1, 0
	v_mov_b32_e32 v2, s14
	global_store_dword v1, v2, s[2:3]
.LBB43_2:
	s_or_b64 exec, exec, s[0:1]
	s_load_dword s24, s[4:5], 0xc
	v_lshrrev_b32_e32 v2, 2, v0
	s_mul_i32 s15, s6, s12
	s_waitcnt lgkmcnt(0)
	s_sub_i32 s10, s22, s24
	s_sub_i32 s25, s23, s24
	s_mul_i32 s11, s10, s13
	s_sub_i32 s27, s25, s10
	s_mul_i32 s0, s11, s12
	s_mul_i32 s18, s27, s13
	s_add_i32 s19, s0, s14
	s_add_i32 s19, s19, s18
	v_cmp_gt_i32_e64 s[0:1], s12, v2
	s_and_saveexec_b64 s[6:7], s[0:1]
	s_cbranch_execz .LBB43_4
; %bb.3:
	v_add_u32_e32 v4, s15, v2
	v_ashrrev_i32_e32 v5, 31, v4
	v_lshlrev_b64 v[4:5], 2, v[4:5]
	v_mul_lo_u32 v1, v2, s18
	v_mov_b32_e32 v3, s3
	v_add_co_u32_e32 v4, vcc, s2, v4
	v_add_u32_e32 v1, s19, v1
	v_addc_co_u32_e32 v5, vcc, v3, v5, vcc
	global_store_dword v[4:5], v1, off offset:4
.LBB43_4:
	s_or_b64 exec, exec, s[6:7]
	s_add_u32 s20, s2, 4
	v_add_u32_e32 v1, 32, v2
	s_addc_u32 s21, s3, 0
	v_cmp_gt_i32_e64 s[2:3], s12, v1
	s_and_saveexec_b64 s[6:7], s[2:3]
	s_cbranch_execz .LBB43_6
; %bb.5:
	s_ashr_i32 s8, s15, 31
	v_mov_b32_e32 v3, s8
	v_add_co_u32_e32 v4, vcc, s15, v2
	v_addc_co_u32_e32 v5, vcc, 0, v3, vcc
	v_lshlrev_b64 v[4:5], 2, v[4:5]
	v_mul_lo_u32 v1, v1, s18
	v_mov_b32_e32 v3, s21
	v_add_co_u32_e32 v4, vcc, s20, v4
	v_add_u32_e32 v1, s19, v1
	v_addc_co_u32_e32 v5, vcc, v3, v5, vcc
	global_store_dword v[4:5], v1, off offset:128
.LBB43_6:
	s_or_b64 exec, exec, s[6:7]
	v_add_u32_e32 v1, 64, v2
	v_cmp_gt_i32_e64 s[6:7], s12, v1
	s_and_saveexec_b64 s[8:9], s[6:7]
	s_cbranch_execz .LBB43_8
; %bb.7:
	s_ashr_i32 s16, s15, 31
	v_mov_b32_e32 v3, s16
	v_add_co_u32_e32 v4, vcc, s15, v2
	v_addc_co_u32_e32 v5, vcc, 0, v3, vcc
	v_lshlrev_b64 v[4:5], 2, v[4:5]
	v_mul_lo_u32 v1, v1, s18
	v_mov_b32_e32 v3, s21
	v_add_co_u32_e32 v4, vcc, s20, v4
	v_add_u32_e32 v1, s19, v1
	v_addc_co_u32_e32 v5, vcc, v3, v5, vcc
	global_store_dword v[4:5], v1, off offset:256
.LBB43_8:
	s_or_b64 exec, exec, s[8:9]
	v_add_u32_e32 v1, 0x60, v2
	v_cmp_gt_i32_e64 s[8:9], s12, v1
	s_and_saveexec_b64 s[16:17], s[8:9]
	s_cbranch_execz .LBB43_10
; %bb.9:
	v_mul_lo_u32 v1, v1, s18
	s_ashr_i32 s18, s15, 31
	v_mov_b32_e32 v3, s18
	v_add_co_u32_e32 v4, vcc, s15, v2
	v_addc_co_u32_e32 v5, vcc, 0, v3, vcc
	v_lshlrev_b64 v[4:5], 2, v[4:5]
	v_mov_b32_e32 v3, s21
	v_add_co_u32_e32 v4, vcc, s20, v4
	v_add_u32_e32 v1, s19, v1
	v_addc_co_u32_e32 v5, vcc, v3, v5, vcc
	global_store_dword v[4:5], v1, off offset:384
.LBB43_10:
	s_or_b64 exec, exec, s[16:17]
	s_cmp_lt_i32 s22, s23
	s_cbranch_scc0 .LBB43_21
; %bb.11:
	s_load_dwordx2 s[28:29], s[4:5], 0x20
	s_load_dwordx2 s[16:17], s[4:5], 0x38
	;; [unrolled: 1-line block ×4, first 2 shown]
	s_load_dword s15, s[4:5], 0x0
	v_and_b32_e32 v3, 3, v0
	v_cmp_gt_i32_e64 s[4:5], s13, v3
	v_add_u32_e32 v4, s14, v3
	v_mul_lo_u32 v9, v2, s27
	s_waitcnt lgkmcnt(0)
	s_cmp_eq_u32 s15, 0
	s_cselect_b64 vcc, -1, 0
	s_and_b64 s[14:15], s[4:5], s[0:1]
	s_and_b64 s[2:3], s[4:5], s[2:3]
	;; [unrolled: 1-line block ×4, first 2 shown]
	s_mul_i32 s8, s12, s10
	v_add_u32_e32 v0, s8, v2
	v_add_u32_e32 v1, 0x60, v0
	v_mul_lo_u32 v5, s13, v1
	v_add_u32_e32 v1, 64, v0
	v_mul_lo_u32 v6, s13, v1
	;; [unrolled: 2-line block ×4, first 2 shown]
	v_mad_u64_u32 v[0:1], s[0:1], s12, v0, v[2:3]
	v_add_u32_e32 v10, s8, v9
	s_mul_i32 s0, s23, 0x60
	v_add_u32_e32 v1, s0, v10
	s_mul_i32 s0, s22, 0x60
	v_subrev_u32_e32 v1, s0, v1
	v_lshl_add_u32 v2, s23, 6, v10
	s_lshl_b32 s0, s22, 6
	v_subrev_u32_e32 v2, s0, v2
	v_lshl_add_u32 v9, s23, 5, v10
	s_lshl_b32 s0, s22, 5
	s_ashr_i32 s11, s10, 31
	v_subrev_u32_e32 v9, s0, v9
	s_lshl_b64 s[0:1], s[10:11], 2
	s_add_u32 s8, s28, s0
	s_mul_i32 s26, s13, s12
	v_mul_lo_u32 v1, s13, v1
	v_mul_lo_u32 v2, s13, v2
	;; [unrolled: 1-line block ×4, first 2 shown]
	s_addc_u32 s9, s29, s1
	s_branch .LBB43_13
.LBB43_12:                              ;   in Loop: Header=BB43_13 Depth=1
	s_or_b64 exec, exec, s[22:23]
	s_add_i32 s10, s10, 1
	s_add_u32 s8, s8, 4
	s_addc_u32 s9, s9, 0
	v_add_u32_e32 v5, s26, v5
	v_add_u32_e32 v6, s26, v6
	;; [unrolled: 1-line block ×8, first 2 shown]
	s_cmp_ge_i32 s10, s25
	v_add_u32_e32 v10, s13, v10
	s_cbranch_scc1 .LBB43_21
.LBB43_13:                              ; =>This Inner Loop Header: Depth=1
	s_load_dword s0, s[8:9], 0x0
	s_waitcnt lgkmcnt(0)
	s_sub_i32 s0, s0, s24
	s_mul_i32 s0, s0, s13
	v_add_u32_e32 v11, s0, v4
	s_and_saveexec_b64 s[22:23], s[14:15]
	s_cbranch_execnz .LBB43_17
; %bb.14:                               ;   in Loop: Header=BB43_13 Depth=1
	s_or_b64 exec, exec, s[22:23]
	s_and_saveexec_b64 s[22:23], s[2:3]
	s_cbranch_execnz .LBB43_18
.LBB43_15:                              ;   in Loop: Header=BB43_13 Depth=1
	s_or_b64 exec, exec, s[22:23]
	s_and_saveexec_b64 s[22:23], s[6:7]
	s_cbranch_execnz .LBB43_19
.LBB43_16:                              ;   in Loop: Header=BB43_13 Depth=1
	s_or_b64 exec, exec, s[22:23]
	s_and_saveexec_b64 s[22:23], s[4:5]
	s_cbranch_execz .LBB43_12
	s_branch .LBB43_20
.LBB43_17:                              ;   in Loop: Header=BB43_13 Depth=1
	v_add_u32_e32 v12, v3, v8
	v_cndmask_b32_e32 v12, v0, v12, vcc
	v_ashrrev_i32_e32 v13, 31, v12
	v_lshlrev_b64 v[12:13], 2, v[12:13]
	v_mov_b32_e32 v14, s21
	v_add_co_u32_e64 v12, s[0:1], s20, v12
	v_addc_co_u32_e64 v13, s[0:1], v14, v13, s[0:1]
	global_load_dword v16, v[12:13], off
	v_add_u32_e32 v12, v3, v10
	v_ashrrev_i32_e32 v13, 31, v12
	v_lshlrev_b64 v[12:13], 2, v[12:13]
	v_mov_b32_e32 v15, s19
	v_add_co_u32_e64 v14, s[0:1], s18, v12
	v_addc_co_u32_e64 v15, s[0:1], v15, v13, s[0:1]
	global_store_dword v[14:15], v11, off
	v_mov_b32_e32 v14, s17
	v_add_co_u32_e64 v12, s[0:1], s16, v12
	v_addc_co_u32_e64 v13, s[0:1], v14, v13, s[0:1]
	s_waitcnt vmcnt(1)
	global_store_dword v[12:13], v16, off
	s_or_b64 exec, exec, s[22:23]
	s_and_saveexec_b64 s[22:23], s[2:3]
	s_cbranch_execz .LBB43_15
.LBB43_18:                              ;   in Loop: Header=BB43_13 Depth=1
	v_add_u32_e32 v12, v3, v7
	v_add_u32_e32 v13, 32, v0
	v_cndmask_b32_e32 v12, v13, v12, vcc
	v_ashrrev_i32_e32 v13, 31, v12
	v_lshlrev_b64 v[12:13], 2, v[12:13]
	v_mov_b32_e32 v14, s21
	v_add_co_u32_e64 v12, s[0:1], s20, v12
	v_addc_co_u32_e64 v13, s[0:1], v14, v13, s[0:1]
	global_load_dword v16, v[12:13], off
	v_add_u32_e32 v12, v3, v9
	v_ashrrev_i32_e32 v13, 31, v12
	v_lshlrev_b64 v[12:13], 2, v[12:13]
	v_mov_b32_e32 v15, s19
	v_add_co_u32_e64 v14, s[0:1], s18, v12
	v_addc_co_u32_e64 v15, s[0:1], v15, v13, s[0:1]
	global_store_dword v[14:15], v11, off
	v_mov_b32_e32 v14, s17
	v_add_co_u32_e64 v12, s[0:1], s16, v12
	v_addc_co_u32_e64 v13, s[0:1], v14, v13, s[0:1]
	s_waitcnt vmcnt(1)
	global_store_dword v[12:13], v16, off
	s_or_b64 exec, exec, s[22:23]
	s_and_saveexec_b64 s[22:23], s[6:7]
	s_cbranch_execz .LBB43_16
.LBB43_19:                              ;   in Loop: Header=BB43_13 Depth=1
	v_add_u32_e32 v12, v3, v6
	v_add_u32_e32 v13, 64, v0
	v_cndmask_b32_e32 v12, v13, v12, vcc
	v_ashrrev_i32_e32 v13, 31, v12
	v_lshlrev_b64 v[12:13], 2, v[12:13]
	v_mov_b32_e32 v14, s21
	v_add_co_u32_e64 v12, s[0:1], s20, v12
	v_addc_co_u32_e64 v13, s[0:1], v14, v13, s[0:1]
	global_load_dword v16, v[12:13], off
	v_add_u32_e32 v12, v3, v2
	v_ashrrev_i32_e32 v13, 31, v12
	v_lshlrev_b64 v[12:13], 2, v[12:13]
	v_mov_b32_e32 v15, s19
	v_add_co_u32_e64 v14, s[0:1], s18, v12
	v_addc_co_u32_e64 v15, s[0:1], v15, v13, s[0:1]
	global_store_dword v[14:15], v11, off
	v_mov_b32_e32 v14, s17
	v_add_co_u32_e64 v12, s[0:1], s16, v12
	v_addc_co_u32_e64 v13, s[0:1], v14, v13, s[0:1]
	s_waitcnt vmcnt(1)
	global_store_dword v[12:13], v16, off
	s_or_b64 exec, exec, s[22:23]
	s_and_saveexec_b64 s[22:23], s[4:5]
	s_cbranch_execz .LBB43_12
.LBB43_20:                              ;   in Loop: Header=BB43_13 Depth=1
	v_add_u32_e32 v12, v3, v5
	v_add_u32_e32 v13, 0x60, v0
	v_cndmask_b32_e32 v12, v13, v12, vcc
	v_ashrrev_i32_e32 v13, 31, v12
	v_lshlrev_b64 v[12:13], 2, v[12:13]
	v_mov_b32_e32 v14, s21
	v_add_co_u32_e64 v12, s[0:1], s20, v12
	v_addc_co_u32_e64 v13, s[0:1], v14, v13, s[0:1]
	global_load_dword v16, v[12:13], off
	v_add_u32_e32 v12, v3, v1
	v_ashrrev_i32_e32 v13, 31, v12
	v_lshlrev_b64 v[12:13], 2, v[12:13]
	v_mov_b32_e32 v15, s19
	v_add_co_u32_e64 v14, s[0:1], s18, v12
	v_addc_co_u32_e64 v15, s[0:1], v15, v13, s[0:1]
	global_store_dword v[14:15], v11, off
	v_mov_b32_e32 v11, s17
	v_add_co_u32_e64 v12, s[0:1], s16, v12
	v_addc_co_u32_e64 v13, s[0:1], v11, v13, s[0:1]
	s_waitcnt vmcnt(1)
	global_store_dword v[12:13], v16, off
	s_branch .LBB43_12
.LBB43_21:
	s_endpgm
	.section	.rodata,"a",@progbits
	.p2align	6, 0x0
	.amdhsa_kernel _ZN9rocsparseL37gebsr2csr_block_per_row_33_128_kernelILi1024ELi128ELi4ELi32ELi4EfEEv20rocsparse_direction_ii21rocsparse_index_base_PKT4_PKiS7_iiS2_PS3_PiS9_
		.amdhsa_group_segment_fixed_size 0
		.amdhsa_private_segment_fixed_size 0
		.amdhsa_kernarg_size 80
		.amdhsa_user_sgpr_count 6
		.amdhsa_user_sgpr_private_segment_buffer 1
		.amdhsa_user_sgpr_dispatch_ptr 0
		.amdhsa_user_sgpr_queue_ptr 0
		.amdhsa_user_sgpr_kernarg_segment_ptr 1
		.amdhsa_user_sgpr_dispatch_id 0
		.amdhsa_user_sgpr_flat_scratch_init 0
		.amdhsa_user_sgpr_kernarg_preload_length 0
		.amdhsa_user_sgpr_kernarg_preload_offset 0
		.amdhsa_user_sgpr_private_segment_size 0
		.amdhsa_uses_dynamic_stack 0
		.amdhsa_system_sgpr_private_segment_wavefront_offset 0
		.amdhsa_system_sgpr_workgroup_id_x 1
		.amdhsa_system_sgpr_workgroup_id_y 0
		.amdhsa_system_sgpr_workgroup_id_z 0
		.amdhsa_system_sgpr_workgroup_info 0
		.amdhsa_system_vgpr_workitem_id 0
		.amdhsa_next_free_vgpr 17
		.amdhsa_next_free_sgpr 30
		.amdhsa_accum_offset 20
		.amdhsa_reserve_vcc 1
		.amdhsa_reserve_flat_scratch 0
		.amdhsa_float_round_mode_32 0
		.amdhsa_float_round_mode_16_64 0
		.amdhsa_float_denorm_mode_32 3
		.amdhsa_float_denorm_mode_16_64 3
		.amdhsa_dx10_clamp 1
		.amdhsa_ieee_mode 1
		.amdhsa_fp16_overflow 0
		.amdhsa_tg_split 0
		.amdhsa_exception_fp_ieee_invalid_op 0
		.amdhsa_exception_fp_denorm_src 0
		.amdhsa_exception_fp_ieee_div_zero 0
		.amdhsa_exception_fp_ieee_overflow 0
		.amdhsa_exception_fp_ieee_underflow 0
		.amdhsa_exception_fp_ieee_inexact 0
		.amdhsa_exception_int_div_zero 0
	.end_amdhsa_kernel
	.section	.text._ZN9rocsparseL37gebsr2csr_block_per_row_33_128_kernelILi1024ELi128ELi4ELi32ELi4EfEEv20rocsparse_direction_ii21rocsparse_index_base_PKT4_PKiS7_iiS2_PS3_PiS9_,"axG",@progbits,_ZN9rocsparseL37gebsr2csr_block_per_row_33_128_kernelILi1024ELi128ELi4ELi32ELi4EfEEv20rocsparse_direction_ii21rocsparse_index_base_PKT4_PKiS7_iiS2_PS3_PiS9_,comdat
.Lfunc_end43:
	.size	_ZN9rocsparseL37gebsr2csr_block_per_row_33_128_kernelILi1024ELi128ELi4ELi32ELi4EfEEv20rocsparse_direction_ii21rocsparse_index_base_PKT4_PKiS7_iiS2_PS3_PiS9_, .Lfunc_end43-_ZN9rocsparseL37gebsr2csr_block_per_row_33_128_kernelILi1024ELi128ELi4ELi32ELi4EfEEv20rocsparse_direction_ii21rocsparse_index_base_PKT4_PKiS7_iiS2_PS3_PiS9_
                                        ; -- End function
	.section	.AMDGPU.csdata,"",@progbits
; Kernel info:
; codeLenInByte = 1432
; NumSgprs: 34
; NumVgprs: 17
; NumAgprs: 0
; TotalNumVgprs: 17
; ScratchSize: 0
; MemoryBound: 0
; FloatMode: 240
; IeeeMode: 1
; LDSByteSize: 0 bytes/workgroup (compile time only)
; SGPRBlocks: 4
; VGPRBlocks: 2
; NumSGPRsForWavesPerEU: 34
; NumVGPRsForWavesPerEU: 17
; AccumOffset: 20
; Occupancy: 8
; WaveLimiterHint : 0
; COMPUTE_PGM_RSRC2:SCRATCH_EN: 0
; COMPUTE_PGM_RSRC2:USER_SGPR: 6
; COMPUTE_PGM_RSRC2:TRAP_HANDLER: 0
; COMPUTE_PGM_RSRC2:TGID_X_EN: 1
; COMPUTE_PGM_RSRC2:TGID_Y_EN: 0
; COMPUTE_PGM_RSRC2:TGID_Z_EN: 0
; COMPUTE_PGM_RSRC2:TIDIG_COMP_CNT: 0
; COMPUTE_PGM_RSRC3_GFX90A:ACCUM_OFFSET: 4
; COMPUTE_PGM_RSRC3_GFX90A:TG_SPLIT: 0
	.section	.text._ZN9rocsparseL37gebsr2csr_block_per_row_33_128_kernelILi1024ELi128ELi8ELi32ELi8EfEEv20rocsparse_direction_ii21rocsparse_index_base_PKT4_PKiS7_iiS2_PS3_PiS9_,"axG",@progbits,_ZN9rocsparseL37gebsr2csr_block_per_row_33_128_kernelILi1024ELi128ELi8ELi32ELi8EfEEv20rocsparse_direction_ii21rocsparse_index_base_PKT4_PKiS7_iiS2_PS3_PiS9_,comdat
	.globl	_ZN9rocsparseL37gebsr2csr_block_per_row_33_128_kernelILi1024ELi128ELi8ELi32ELi8EfEEv20rocsparse_direction_ii21rocsparse_index_base_PKT4_PKiS7_iiS2_PS3_PiS9_ ; -- Begin function _ZN9rocsparseL37gebsr2csr_block_per_row_33_128_kernelILi1024ELi128ELi8ELi32ELi8EfEEv20rocsparse_direction_ii21rocsparse_index_base_PKT4_PKiS7_iiS2_PS3_PiS9_
	.p2align	8
	.type	_ZN9rocsparseL37gebsr2csr_block_per_row_33_128_kernelILi1024ELi128ELi8ELi32ELi8EfEEv20rocsparse_direction_ii21rocsparse_index_base_PKT4_PKiS7_iiS2_PS3_PiS9_,@function
_ZN9rocsparseL37gebsr2csr_block_per_row_33_128_kernelILi1024ELi128ELi8ELi32ELi8EfEEv20rocsparse_direction_ii21rocsparse_index_base_PKT4_PKiS7_iiS2_PS3_PiS9_: ; @_ZN9rocsparseL37gebsr2csr_block_per_row_33_128_kernelILi1024ELi128ELi8ELi32ELi8EfEEv20rocsparse_direction_ii21rocsparse_index_base_PKT4_PKiS7_iiS2_PS3_PiS9_
; %bb.0:
	s_load_dwordx2 s[0:1], s[4:5], 0x18
	s_load_dwordx4 s[12:15], s[4:5], 0x28
	s_load_dwordx2 s[2:3], s[4:5], 0x40
	s_ashr_i32 s7, s6, 31
	s_lshl_b64 s[8:9], s[6:7], 2
	s_waitcnt lgkmcnt(0)
	s_add_u32 s0, s0, s8
	s_addc_u32 s1, s1, s9
	s_load_dwordx2 s[22:23], s[0:1], 0x0
	v_or_b32_e32 v1, s6, v0
	v_cmp_eq_u32_e32 vcc, 0, v1
	s_and_saveexec_b64 s[0:1], vcc
	s_cbranch_execz .LBB44_2
; %bb.1:
	v_mov_b32_e32 v1, 0
	v_mov_b32_e32 v2, s14
	global_store_dword v1, v2, s[2:3]
.LBB44_2:
	s_or_b64 exec, exec, s[0:1]
	s_load_dword s24, s[4:5], 0xc
	v_lshrrev_b32_e32 v2, 3, v0
	s_mul_i32 s15, s6, s12
	s_waitcnt lgkmcnt(0)
	s_sub_i32 s10, s22, s24
	s_sub_i32 s25, s23, s24
	s_mul_i32 s11, s10, s13
	s_sub_i32 s27, s25, s10
	s_mul_i32 s0, s11, s12
	s_mul_i32 s18, s27, s13
	s_add_i32 s19, s0, s14
	s_add_i32 s19, s19, s18
	v_cmp_gt_i32_e64 s[0:1], s12, v2
	s_and_saveexec_b64 s[6:7], s[0:1]
	s_cbranch_execz .LBB44_4
; %bb.3:
	v_add_u32_e32 v4, s15, v2
	v_ashrrev_i32_e32 v5, 31, v4
	v_lshlrev_b64 v[4:5], 2, v[4:5]
	v_mul_lo_u32 v1, v2, s18
	v_mov_b32_e32 v3, s3
	v_add_co_u32_e32 v4, vcc, s2, v4
	v_add_u32_e32 v1, s19, v1
	v_addc_co_u32_e32 v5, vcc, v3, v5, vcc
	global_store_dword v[4:5], v1, off offset:4
.LBB44_4:
	s_or_b64 exec, exec, s[6:7]
	s_add_u32 s20, s2, 4
	v_add_u32_e32 v1, 32, v2
	s_addc_u32 s21, s3, 0
	v_cmp_gt_i32_e64 s[2:3], s12, v1
	s_and_saveexec_b64 s[6:7], s[2:3]
	s_cbranch_execz .LBB44_6
; %bb.5:
	s_ashr_i32 s8, s15, 31
	v_mov_b32_e32 v3, s8
	v_add_co_u32_e32 v4, vcc, s15, v2
	v_addc_co_u32_e32 v5, vcc, 0, v3, vcc
	v_lshlrev_b64 v[4:5], 2, v[4:5]
	v_mul_lo_u32 v1, v1, s18
	v_mov_b32_e32 v3, s21
	v_add_co_u32_e32 v4, vcc, s20, v4
	v_add_u32_e32 v1, s19, v1
	v_addc_co_u32_e32 v5, vcc, v3, v5, vcc
	global_store_dword v[4:5], v1, off offset:128
.LBB44_6:
	s_or_b64 exec, exec, s[6:7]
	v_add_u32_e32 v1, 64, v2
	v_cmp_gt_i32_e64 s[6:7], s12, v1
	s_and_saveexec_b64 s[8:9], s[6:7]
	s_cbranch_execz .LBB44_8
; %bb.7:
	s_ashr_i32 s16, s15, 31
	v_mov_b32_e32 v3, s16
	v_add_co_u32_e32 v4, vcc, s15, v2
	v_addc_co_u32_e32 v5, vcc, 0, v3, vcc
	v_lshlrev_b64 v[4:5], 2, v[4:5]
	v_mul_lo_u32 v1, v1, s18
	v_mov_b32_e32 v3, s21
	v_add_co_u32_e32 v4, vcc, s20, v4
	v_add_u32_e32 v1, s19, v1
	v_addc_co_u32_e32 v5, vcc, v3, v5, vcc
	global_store_dword v[4:5], v1, off offset:256
.LBB44_8:
	s_or_b64 exec, exec, s[8:9]
	v_add_u32_e32 v1, 0x60, v2
	v_cmp_gt_i32_e64 s[8:9], s12, v1
	s_and_saveexec_b64 s[16:17], s[8:9]
	s_cbranch_execz .LBB44_10
; %bb.9:
	v_mul_lo_u32 v1, v1, s18
	s_ashr_i32 s18, s15, 31
	v_mov_b32_e32 v3, s18
	v_add_co_u32_e32 v4, vcc, s15, v2
	v_addc_co_u32_e32 v5, vcc, 0, v3, vcc
	v_lshlrev_b64 v[4:5], 2, v[4:5]
	v_mov_b32_e32 v3, s21
	v_add_co_u32_e32 v4, vcc, s20, v4
	v_add_u32_e32 v1, s19, v1
	v_addc_co_u32_e32 v5, vcc, v3, v5, vcc
	global_store_dword v[4:5], v1, off offset:384
.LBB44_10:
	s_or_b64 exec, exec, s[16:17]
	s_cmp_lt_i32 s22, s23
	s_cbranch_scc0 .LBB44_21
; %bb.11:
	s_load_dwordx2 s[28:29], s[4:5], 0x20
	s_load_dwordx2 s[16:17], s[4:5], 0x38
	;; [unrolled: 1-line block ×4, first 2 shown]
	s_load_dword s15, s[4:5], 0x0
	v_and_b32_e32 v3, 7, v0
	v_cmp_gt_i32_e64 s[4:5], s13, v3
	v_add_u32_e32 v4, s14, v3
	v_mul_lo_u32 v9, v2, s27
	s_waitcnt lgkmcnt(0)
	s_cmp_eq_u32 s15, 0
	s_cselect_b64 vcc, -1, 0
	s_and_b64 s[14:15], s[4:5], s[0:1]
	s_and_b64 s[2:3], s[4:5], s[2:3]
	;; [unrolled: 1-line block ×4, first 2 shown]
	s_mul_i32 s8, s12, s10
	v_add_u32_e32 v0, s8, v2
	v_add_u32_e32 v1, 0x60, v0
	v_mul_lo_u32 v5, s13, v1
	v_add_u32_e32 v1, 64, v0
	v_mul_lo_u32 v6, s13, v1
	v_add_u32_e32 v1, 32, v0
	v_mul_lo_u32 v8, s13, v0
	v_add_u32_e32 v0, s11, v3
	v_mul_lo_u32 v7, s13, v1
	v_mad_u64_u32 v[0:1], s[0:1], s12, v0, v[2:3]
	v_add_u32_e32 v10, s8, v9
	s_mul_i32 s0, s23, 0x60
	v_add_u32_e32 v1, s0, v10
	s_mul_i32 s0, s22, 0x60
	v_subrev_u32_e32 v1, s0, v1
	v_lshl_add_u32 v2, s23, 6, v10
	s_lshl_b32 s0, s22, 6
	v_subrev_u32_e32 v2, s0, v2
	v_lshl_add_u32 v9, s23, 5, v10
	s_lshl_b32 s0, s22, 5
	s_ashr_i32 s11, s10, 31
	v_subrev_u32_e32 v9, s0, v9
	s_lshl_b64 s[0:1], s[10:11], 2
	s_add_u32 s8, s28, s0
	s_mul_i32 s26, s13, s12
	v_mul_lo_u32 v1, s13, v1
	v_mul_lo_u32 v2, s13, v2
	;; [unrolled: 1-line block ×4, first 2 shown]
	s_addc_u32 s9, s29, s1
	s_branch .LBB44_13
.LBB44_12:                              ;   in Loop: Header=BB44_13 Depth=1
	s_or_b64 exec, exec, s[22:23]
	s_add_i32 s10, s10, 1
	s_add_u32 s8, s8, 4
	s_addc_u32 s9, s9, 0
	v_add_u32_e32 v5, s26, v5
	v_add_u32_e32 v6, s26, v6
	;; [unrolled: 1-line block ×8, first 2 shown]
	s_cmp_ge_i32 s10, s25
	v_add_u32_e32 v10, s13, v10
	s_cbranch_scc1 .LBB44_21
.LBB44_13:                              ; =>This Inner Loop Header: Depth=1
	s_load_dword s0, s[8:9], 0x0
	s_waitcnt lgkmcnt(0)
	s_sub_i32 s0, s0, s24
	s_mul_i32 s0, s0, s13
	v_add_u32_e32 v11, s0, v4
	s_and_saveexec_b64 s[22:23], s[14:15]
	s_cbranch_execnz .LBB44_17
; %bb.14:                               ;   in Loop: Header=BB44_13 Depth=1
	s_or_b64 exec, exec, s[22:23]
	s_and_saveexec_b64 s[22:23], s[2:3]
	s_cbranch_execnz .LBB44_18
.LBB44_15:                              ;   in Loop: Header=BB44_13 Depth=1
	s_or_b64 exec, exec, s[22:23]
	s_and_saveexec_b64 s[22:23], s[6:7]
	s_cbranch_execnz .LBB44_19
.LBB44_16:                              ;   in Loop: Header=BB44_13 Depth=1
	s_or_b64 exec, exec, s[22:23]
	s_and_saveexec_b64 s[22:23], s[4:5]
	s_cbranch_execz .LBB44_12
	s_branch .LBB44_20
.LBB44_17:                              ;   in Loop: Header=BB44_13 Depth=1
	v_add_u32_e32 v12, v3, v8
	v_cndmask_b32_e32 v12, v0, v12, vcc
	v_ashrrev_i32_e32 v13, 31, v12
	v_lshlrev_b64 v[12:13], 2, v[12:13]
	v_mov_b32_e32 v14, s21
	v_add_co_u32_e64 v12, s[0:1], s20, v12
	v_addc_co_u32_e64 v13, s[0:1], v14, v13, s[0:1]
	global_load_dword v16, v[12:13], off
	v_add_u32_e32 v12, v3, v10
	v_ashrrev_i32_e32 v13, 31, v12
	v_lshlrev_b64 v[12:13], 2, v[12:13]
	v_mov_b32_e32 v15, s19
	v_add_co_u32_e64 v14, s[0:1], s18, v12
	v_addc_co_u32_e64 v15, s[0:1], v15, v13, s[0:1]
	global_store_dword v[14:15], v11, off
	v_mov_b32_e32 v14, s17
	v_add_co_u32_e64 v12, s[0:1], s16, v12
	v_addc_co_u32_e64 v13, s[0:1], v14, v13, s[0:1]
	s_waitcnt vmcnt(1)
	global_store_dword v[12:13], v16, off
	s_or_b64 exec, exec, s[22:23]
	s_and_saveexec_b64 s[22:23], s[2:3]
	s_cbranch_execz .LBB44_15
.LBB44_18:                              ;   in Loop: Header=BB44_13 Depth=1
	v_add_u32_e32 v12, v3, v7
	v_add_u32_e32 v13, 32, v0
	v_cndmask_b32_e32 v12, v13, v12, vcc
	v_ashrrev_i32_e32 v13, 31, v12
	v_lshlrev_b64 v[12:13], 2, v[12:13]
	v_mov_b32_e32 v14, s21
	v_add_co_u32_e64 v12, s[0:1], s20, v12
	v_addc_co_u32_e64 v13, s[0:1], v14, v13, s[0:1]
	global_load_dword v16, v[12:13], off
	v_add_u32_e32 v12, v3, v9
	v_ashrrev_i32_e32 v13, 31, v12
	v_lshlrev_b64 v[12:13], 2, v[12:13]
	v_mov_b32_e32 v15, s19
	v_add_co_u32_e64 v14, s[0:1], s18, v12
	v_addc_co_u32_e64 v15, s[0:1], v15, v13, s[0:1]
	global_store_dword v[14:15], v11, off
	v_mov_b32_e32 v14, s17
	v_add_co_u32_e64 v12, s[0:1], s16, v12
	v_addc_co_u32_e64 v13, s[0:1], v14, v13, s[0:1]
	s_waitcnt vmcnt(1)
	global_store_dword v[12:13], v16, off
	s_or_b64 exec, exec, s[22:23]
	s_and_saveexec_b64 s[22:23], s[6:7]
	s_cbranch_execz .LBB44_16
.LBB44_19:                              ;   in Loop: Header=BB44_13 Depth=1
	v_add_u32_e32 v12, v3, v6
	v_add_u32_e32 v13, 64, v0
	v_cndmask_b32_e32 v12, v13, v12, vcc
	v_ashrrev_i32_e32 v13, 31, v12
	v_lshlrev_b64 v[12:13], 2, v[12:13]
	v_mov_b32_e32 v14, s21
	v_add_co_u32_e64 v12, s[0:1], s20, v12
	v_addc_co_u32_e64 v13, s[0:1], v14, v13, s[0:1]
	global_load_dword v16, v[12:13], off
	v_add_u32_e32 v12, v3, v2
	v_ashrrev_i32_e32 v13, 31, v12
	v_lshlrev_b64 v[12:13], 2, v[12:13]
	v_mov_b32_e32 v15, s19
	v_add_co_u32_e64 v14, s[0:1], s18, v12
	v_addc_co_u32_e64 v15, s[0:1], v15, v13, s[0:1]
	global_store_dword v[14:15], v11, off
	v_mov_b32_e32 v14, s17
	v_add_co_u32_e64 v12, s[0:1], s16, v12
	v_addc_co_u32_e64 v13, s[0:1], v14, v13, s[0:1]
	s_waitcnt vmcnt(1)
	global_store_dword v[12:13], v16, off
	s_or_b64 exec, exec, s[22:23]
	s_and_saveexec_b64 s[22:23], s[4:5]
	s_cbranch_execz .LBB44_12
.LBB44_20:                              ;   in Loop: Header=BB44_13 Depth=1
	v_add_u32_e32 v12, v3, v5
	v_add_u32_e32 v13, 0x60, v0
	v_cndmask_b32_e32 v12, v13, v12, vcc
	v_ashrrev_i32_e32 v13, 31, v12
	v_lshlrev_b64 v[12:13], 2, v[12:13]
	v_mov_b32_e32 v14, s21
	v_add_co_u32_e64 v12, s[0:1], s20, v12
	v_addc_co_u32_e64 v13, s[0:1], v14, v13, s[0:1]
	global_load_dword v16, v[12:13], off
	v_add_u32_e32 v12, v3, v1
	v_ashrrev_i32_e32 v13, 31, v12
	v_lshlrev_b64 v[12:13], 2, v[12:13]
	v_mov_b32_e32 v15, s19
	v_add_co_u32_e64 v14, s[0:1], s18, v12
	v_addc_co_u32_e64 v15, s[0:1], v15, v13, s[0:1]
	global_store_dword v[14:15], v11, off
	v_mov_b32_e32 v11, s17
	v_add_co_u32_e64 v12, s[0:1], s16, v12
	v_addc_co_u32_e64 v13, s[0:1], v11, v13, s[0:1]
	s_waitcnt vmcnt(1)
	global_store_dword v[12:13], v16, off
	s_branch .LBB44_12
.LBB44_21:
	s_endpgm
	.section	.rodata,"a",@progbits
	.p2align	6, 0x0
	.amdhsa_kernel _ZN9rocsparseL37gebsr2csr_block_per_row_33_128_kernelILi1024ELi128ELi8ELi32ELi8EfEEv20rocsparse_direction_ii21rocsparse_index_base_PKT4_PKiS7_iiS2_PS3_PiS9_
		.amdhsa_group_segment_fixed_size 0
		.amdhsa_private_segment_fixed_size 0
		.amdhsa_kernarg_size 80
		.amdhsa_user_sgpr_count 6
		.amdhsa_user_sgpr_private_segment_buffer 1
		.amdhsa_user_sgpr_dispatch_ptr 0
		.amdhsa_user_sgpr_queue_ptr 0
		.amdhsa_user_sgpr_kernarg_segment_ptr 1
		.amdhsa_user_sgpr_dispatch_id 0
		.amdhsa_user_sgpr_flat_scratch_init 0
		.amdhsa_user_sgpr_kernarg_preload_length 0
		.amdhsa_user_sgpr_kernarg_preload_offset 0
		.amdhsa_user_sgpr_private_segment_size 0
		.amdhsa_uses_dynamic_stack 0
		.amdhsa_system_sgpr_private_segment_wavefront_offset 0
		.amdhsa_system_sgpr_workgroup_id_x 1
		.amdhsa_system_sgpr_workgroup_id_y 0
		.amdhsa_system_sgpr_workgroup_id_z 0
		.amdhsa_system_sgpr_workgroup_info 0
		.amdhsa_system_vgpr_workitem_id 0
		.amdhsa_next_free_vgpr 17
		.amdhsa_next_free_sgpr 30
		.amdhsa_accum_offset 20
		.amdhsa_reserve_vcc 1
		.amdhsa_reserve_flat_scratch 0
		.amdhsa_float_round_mode_32 0
		.amdhsa_float_round_mode_16_64 0
		.amdhsa_float_denorm_mode_32 3
		.amdhsa_float_denorm_mode_16_64 3
		.amdhsa_dx10_clamp 1
		.amdhsa_ieee_mode 1
		.amdhsa_fp16_overflow 0
		.amdhsa_tg_split 0
		.amdhsa_exception_fp_ieee_invalid_op 0
		.amdhsa_exception_fp_denorm_src 0
		.amdhsa_exception_fp_ieee_div_zero 0
		.amdhsa_exception_fp_ieee_overflow 0
		.amdhsa_exception_fp_ieee_underflow 0
		.amdhsa_exception_fp_ieee_inexact 0
		.amdhsa_exception_int_div_zero 0
	.end_amdhsa_kernel
	.section	.text._ZN9rocsparseL37gebsr2csr_block_per_row_33_128_kernelILi1024ELi128ELi8ELi32ELi8EfEEv20rocsparse_direction_ii21rocsparse_index_base_PKT4_PKiS7_iiS2_PS3_PiS9_,"axG",@progbits,_ZN9rocsparseL37gebsr2csr_block_per_row_33_128_kernelILi1024ELi128ELi8ELi32ELi8EfEEv20rocsparse_direction_ii21rocsparse_index_base_PKT4_PKiS7_iiS2_PS3_PiS9_,comdat
.Lfunc_end44:
	.size	_ZN9rocsparseL37gebsr2csr_block_per_row_33_128_kernelILi1024ELi128ELi8ELi32ELi8EfEEv20rocsparse_direction_ii21rocsparse_index_base_PKT4_PKiS7_iiS2_PS3_PiS9_, .Lfunc_end44-_ZN9rocsparseL37gebsr2csr_block_per_row_33_128_kernelILi1024ELi128ELi8ELi32ELi8EfEEv20rocsparse_direction_ii21rocsparse_index_base_PKT4_PKiS7_iiS2_PS3_PiS9_
                                        ; -- End function
	.section	.AMDGPU.csdata,"",@progbits
; Kernel info:
; codeLenInByte = 1432
; NumSgprs: 34
; NumVgprs: 17
; NumAgprs: 0
; TotalNumVgprs: 17
; ScratchSize: 0
; MemoryBound: 0
; FloatMode: 240
; IeeeMode: 1
; LDSByteSize: 0 bytes/workgroup (compile time only)
; SGPRBlocks: 4
; VGPRBlocks: 2
; NumSGPRsForWavesPerEU: 34
; NumVGPRsForWavesPerEU: 17
; AccumOffset: 20
; Occupancy: 8
; WaveLimiterHint : 0
; COMPUTE_PGM_RSRC2:SCRATCH_EN: 0
; COMPUTE_PGM_RSRC2:USER_SGPR: 6
; COMPUTE_PGM_RSRC2:TRAP_HANDLER: 0
; COMPUTE_PGM_RSRC2:TGID_X_EN: 1
; COMPUTE_PGM_RSRC2:TGID_Y_EN: 0
; COMPUTE_PGM_RSRC2:TGID_Z_EN: 0
; COMPUTE_PGM_RSRC2:TIDIG_COMP_CNT: 0
; COMPUTE_PGM_RSRC3_GFX90A:ACCUM_OFFSET: 4
; COMPUTE_PGM_RSRC3_GFX90A:TG_SPLIT: 0
	.section	.text._ZN9rocsparseL37gebsr2csr_block_per_row_33_128_kernelILi1024ELi128ELi16ELi32ELi16EfEEv20rocsparse_direction_ii21rocsparse_index_base_PKT4_PKiS7_iiS2_PS3_PiS9_,"axG",@progbits,_ZN9rocsparseL37gebsr2csr_block_per_row_33_128_kernelILi1024ELi128ELi16ELi32ELi16EfEEv20rocsparse_direction_ii21rocsparse_index_base_PKT4_PKiS7_iiS2_PS3_PiS9_,comdat
	.globl	_ZN9rocsparseL37gebsr2csr_block_per_row_33_128_kernelILi1024ELi128ELi16ELi32ELi16EfEEv20rocsparse_direction_ii21rocsparse_index_base_PKT4_PKiS7_iiS2_PS3_PiS9_ ; -- Begin function _ZN9rocsparseL37gebsr2csr_block_per_row_33_128_kernelILi1024ELi128ELi16ELi32ELi16EfEEv20rocsparse_direction_ii21rocsparse_index_base_PKT4_PKiS7_iiS2_PS3_PiS9_
	.p2align	8
	.type	_ZN9rocsparseL37gebsr2csr_block_per_row_33_128_kernelILi1024ELi128ELi16ELi32ELi16EfEEv20rocsparse_direction_ii21rocsparse_index_base_PKT4_PKiS7_iiS2_PS3_PiS9_,@function
_ZN9rocsparseL37gebsr2csr_block_per_row_33_128_kernelILi1024ELi128ELi16ELi32ELi16EfEEv20rocsparse_direction_ii21rocsparse_index_base_PKT4_PKiS7_iiS2_PS3_PiS9_: ; @_ZN9rocsparseL37gebsr2csr_block_per_row_33_128_kernelILi1024ELi128ELi16ELi32ELi16EfEEv20rocsparse_direction_ii21rocsparse_index_base_PKT4_PKiS7_iiS2_PS3_PiS9_
; %bb.0:
	s_load_dwordx2 s[0:1], s[4:5], 0x18
	s_load_dwordx4 s[12:15], s[4:5], 0x28
	s_load_dwordx2 s[2:3], s[4:5], 0x40
	s_ashr_i32 s7, s6, 31
	s_lshl_b64 s[8:9], s[6:7], 2
	s_waitcnt lgkmcnt(0)
	s_add_u32 s0, s0, s8
	s_addc_u32 s1, s1, s9
	s_load_dwordx2 s[22:23], s[0:1], 0x0
	v_or_b32_e32 v1, s6, v0
	v_cmp_eq_u32_e32 vcc, 0, v1
	s_and_saveexec_b64 s[0:1], vcc
	s_cbranch_execz .LBB45_2
; %bb.1:
	v_mov_b32_e32 v1, 0
	v_mov_b32_e32 v2, s14
	global_store_dword v1, v2, s[2:3]
.LBB45_2:
	s_or_b64 exec, exec, s[0:1]
	s_load_dword s24, s[4:5], 0xc
	v_lshrrev_b32_e32 v2, 4, v0
	s_mul_i32 s15, s6, s12
	s_waitcnt lgkmcnt(0)
	s_sub_i32 s10, s22, s24
	s_sub_i32 s25, s23, s24
	s_mul_i32 s11, s10, s13
	s_sub_i32 s27, s25, s10
	s_mul_i32 s0, s11, s12
	s_mul_i32 s18, s27, s13
	s_add_i32 s19, s0, s14
	s_add_i32 s19, s19, s18
	v_cmp_gt_i32_e64 s[0:1], s12, v2
	s_and_saveexec_b64 s[6:7], s[0:1]
	s_cbranch_execz .LBB45_4
; %bb.3:
	v_add_u32_e32 v4, s15, v2
	v_ashrrev_i32_e32 v5, 31, v4
	v_lshlrev_b64 v[4:5], 2, v[4:5]
	v_mul_lo_u32 v1, v2, s18
	v_mov_b32_e32 v3, s3
	v_add_co_u32_e32 v4, vcc, s2, v4
	v_add_u32_e32 v1, s19, v1
	v_addc_co_u32_e32 v5, vcc, v3, v5, vcc
	global_store_dword v[4:5], v1, off offset:4
.LBB45_4:
	s_or_b64 exec, exec, s[6:7]
	s_add_u32 s20, s2, 4
	v_add_u32_e32 v1, 32, v2
	s_addc_u32 s21, s3, 0
	v_cmp_gt_i32_e64 s[2:3], s12, v1
	s_and_saveexec_b64 s[6:7], s[2:3]
	s_cbranch_execz .LBB45_6
; %bb.5:
	s_ashr_i32 s8, s15, 31
	v_mov_b32_e32 v3, s8
	v_add_co_u32_e32 v4, vcc, s15, v2
	v_addc_co_u32_e32 v5, vcc, 0, v3, vcc
	v_lshlrev_b64 v[4:5], 2, v[4:5]
	v_mul_lo_u32 v1, v1, s18
	v_mov_b32_e32 v3, s21
	v_add_co_u32_e32 v4, vcc, s20, v4
	v_add_u32_e32 v1, s19, v1
	v_addc_co_u32_e32 v5, vcc, v3, v5, vcc
	global_store_dword v[4:5], v1, off offset:128
.LBB45_6:
	s_or_b64 exec, exec, s[6:7]
	v_or_b32_e32 v1, 64, v2
	v_cmp_gt_i32_e64 s[6:7], s12, v1
	s_and_saveexec_b64 s[8:9], s[6:7]
	s_cbranch_execz .LBB45_8
; %bb.7:
	s_ashr_i32 s16, s15, 31
	v_mov_b32_e32 v3, s16
	v_add_co_u32_e32 v4, vcc, s15, v2
	v_addc_co_u32_e32 v5, vcc, 0, v3, vcc
	v_lshlrev_b64 v[4:5], 2, v[4:5]
	v_mul_lo_u32 v1, v1, s18
	v_mov_b32_e32 v3, s21
	v_add_co_u32_e32 v4, vcc, s20, v4
	v_add_u32_e32 v1, s19, v1
	v_addc_co_u32_e32 v5, vcc, v3, v5, vcc
	global_store_dword v[4:5], v1, off offset:256
.LBB45_8:
	s_or_b64 exec, exec, s[8:9]
	v_add_u32_e32 v1, 0x60, v2
	v_cmp_gt_i32_e64 s[8:9], s12, v1
	s_and_saveexec_b64 s[16:17], s[8:9]
	s_cbranch_execz .LBB45_10
; %bb.9:
	v_mul_lo_u32 v1, v1, s18
	s_ashr_i32 s18, s15, 31
	v_mov_b32_e32 v3, s18
	v_add_co_u32_e32 v4, vcc, s15, v2
	v_addc_co_u32_e32 v5, vcc, 0, v3, vcc
	v_lshlrev_b64 v[4:5], 2, v[4:5]
	v_mov_b32_e32 v3, s21
	v_add_co_u32_e32 v4, vcc, s20, v4
	v_add_u32_e32 v1, s19, v1
	v_addc_co_u32_e32 v5, vcc, v3, v5, vcc
	global_store_dword v[4:5], v1, off offset:384
.LBB45_10:
	s_or_b64 exec, exec, s[16:17]
	s_cmp_lt_i32 s22, s23
	s_cbranch_scc0 .LBB45_21
; %bb.11:
	s_load_dwordx2 s[28:29], s[4:5], 0x20
	s_load_dwordx2 s[16:17], s[4:5], 0x38
	;; [unrolled: 1-line block ×4, first 2 shown]
	s_load_dword s15, s[4:5], 0x0
	v_and_b32_e32 v3, 15, v0
	v_cmp_gt_i32_e64 s[4:5], s13, v3
	v_add_u32_e32 v4, s14, v3
	v_mul_lo_u32 v9, v2, s27
	s_waitcnt lgkmcnt(0)
	s_cmp_eq_u32 s15, 0
	s_cselect_b64 vcc, -1, 0
	s_and_b64 s[14:15], s[4:5], s[0:1]
	s_and_b64 s[2:3], s[4:5], s[2:3]
	;; [unrolled: 1-line block ×4, first 2 shown]
	s_mul_i32 s8, s12, s10
	v_add_u32_e32 v0, s8, v2
	v_add_u32_e32 v1, 0x60, v0
	v_mul_lo_u32 v5, s13, v1
	v_add_u32_e32 v1, 64, v0
	v_mul_lo_u32 v6, s13, v1
	v_add_u32_e32 v1, 32, v0
	v_mul_lo_u32 v8, s13, v0
	v_add_u32_e32 v0, s11, v3
	v_mul_lo_u32 v7, s13, v1
	v_mad_u64_u32 v[0:1], s[0:1], s12, v0, v[2:3]
	v_add_u32_e32 v10, s8, v9
	s_mul_i32 s0, s23, 0x60
	v_add_u32_e32 v1, s0, v10
	s_mul_i32 s0, s22, 0x60
	v_subrev_u32_e32 v1, s0, v1
	v_lshl_add_u32 v2, s23, 6, v10
	s_lshl_b32 s0, s22, 6
	v_subrev_u32_e32 v2, s0, v2
	v_lshl_add_u32 v9, s23, 5, v10
	s_lshl_b32 s0, s22, 5
	s_ashr_i32 s11, s10, 31
	v_subrev_u32_e32 v9, s0, v9
	s_lshl_b64 s[0:1], s[10:11], 2
	s_add_u32 s8, s28, s0
	s_mul_i32 s26, s13, s12
	v_mul_lo_u32 v1, s13, v1
	v_mul_lo_u32 v2, s13, v2
	;; [unrolled: 1-line block ×4, first 2 shown]
	s_addc_u32 s9, s29, s1
	s_branch .LBB45_13
.LBB45_12:                              ;   in Loop: Header=BB45_13 Depth=1
	s_or_b64 exec, exec, s[22:23]
	s_add_i32 s10, s10, 1
	s_add_u32 s8, s8, 4
	s_addc_u32 s9, s9, 0
	v_add_u32_e32 v5, s26, v5
	v_add_u32_e32 v6, s26, v6
	;; [unrolled: 1-line block ×8, first 2 shown]
	s_cmp_ge_i32 s10, s25
	v_add_u32_e32 v10, s13, v10
	s_cbranch_scc1 .LBB45_21
.LBB45_13:                              ; =>This Inner Loop Header: Depth=1
	s_load_dword s0, s[8:9], 0x0
	s_waitcnt lgkmcnt(0)
	s_sub_i32 s0, s0, s24
	s_mul_i32 s0, s0, s13
	v_add_u32_e32 v11, s0, v4
	s_and_saveexec_b64 s[22:23], s[14:15]
	s_cbranch_execnz .LBB45_17
; %bb.14:                               ;   in Loop: Header=BB45_13 Depth=1
	s_or_b64 exec, exec, s[22:23]
	s_and_saveexec_b64 s[22:23], s[2:3]
	s_cbranch_execnz .LBB45_18
.LBB45_15:                              ;   in Loop: Header=BB45_13 Depth=1
	s_or_b64 exec, exec, s[22:23]
	s_and_saveexec_b64 s[22:23], s[6:7]
	s_cbranch_execnz .LBB45_19
.LBB45_16:                              ;   in Loop: Header=BB45_13 Depth=1
	s_or_b64 exec, exec, s[22:23]
	s_and_saveexec_b64 s[22:23], s[4:5]
	s_cbranch_execz .LBB45_12
	s_branch .LBB45_20
.LBB45_17:                              ;   in Loop: Header=BB45_13 Depth=1
	v_add_u32_e32 v12, v3, v8
	v_cndmask_b32_e32 v12, v0, v12, vcc
	v_ashrrev_i32_e32 v13, 31, v12
	v_lshlrev_b64 v[12:13], 2, v[12:13]
	v_mov_b32_e32 v14, s21
	v_add_co_u32_e64 v12, s[0:1], s20, v12
	v_addc_co_u32_e64 v13, s[0:1], v14, v13, s[0:1]
	global_load_dword v16, v[12:13], off
	v_add_u32_e32 v12, v3, v10
	v_ashrrev_i32_e32 v13, 31, v12
	v_lshlrev_b64 v[12:13], 2, v[12:13]
	v_mov_b32_e32 v15, s19
	v_add_co_u32_e64 v14, s[0:1], s18, v12
	v_addc_co_u32_e64 v15, s[0:1], v15, v13, s[0:1]
	global_store_dword v[14:15], v11, off
	v_mov_b32_e32 v14, s17
	v_add_co_u32_e64 v12, s[0:1], s16, v12
	v_addc_co_u32_e64 v13, s[0:1], v14, v13, s[0:1]
	s_waitcnt vmcnt(1)
	global_store_dword v[12:13], v16, off
	s_or_b64 exec, exec, s[22:23]
	s_and_saveexec_b64 s[22:23], s[2:3]
	s_cbranch_execz .LBB45_15
.LBB45_18:                              ;   in Loop: Header=BB45_13 Depth=1
	v_add_u32_e32 v12, v3, v7
	v_add_u32_e32 v13, 32, v0
	v_cndmask_b32_e32 v12, v13, v12, vcc
	v_ashrrev_i32_e32 v13, 31, v12
	v_lshlrev_b64 v[12:13], 2, v[12:13]
	v_mov_b32_e32 v14, s21
	v_add_co_u32_e64 v12, s[0:1], s20, v12
	v_addc_co_u32_e64 v13, s[0:1], v14, v13, s[0:1]
	global_load_dword v16, v[12:13], off
	v_add_u32_e32 v12, v3, v9
	v_ashrrev_i32_e32 v13, 31, v12
	v_lshlrev_b64 v[12:13], 2, v[12:13]
	v_mov_b32_e32 v15, s19
	v_add_co_u32_e64 v14, s[0:1], s18, v12
	v_addc_co_u32_e64 v15, s[0:1], v15, v13, s[0:1]
	global_store_dword v[14:15], v11, off
	v_mov_b32_e32 v14, s17
	v_add_co_u32_e64 v12, s[0:1], s16, v12
	v_addc_co_u32_e64 v13, s[0:1], v14, v13, s[0:1]
	s_waitcnt vmcnt(1)
	global_store_dword v[12:13], v16, off
	s_or_b64 exec, exec, s[22:23]
	s_and_saveexec_b64 s[22:23], s[6:7]
	s_cbranch_execz .LBB45_16
.LBB45_19:                              ;   in Loop: Header=BB45_13 Depth=1
	v_add_u32_e32 v12, v3, v6
	v_add_u32_e32 v13, 64, v0
	v_cndmask_b32_e32 v12, v13, v12, vcc
	v_ashrrev_i32_e32 v13, 31, v12
	v_lshlrev_b64 v[12:13], 2, v[12:13]
	v_mov_b32_e32 v14, s21
	v_add_co_u32_e64 v12, s[0:1], s20, v12
	v_addc_co_u32_e64 v13, s[0:1], v14, v13, s[0:1]
	global_load_dword v16, v[12:13], off
	v_add_u32_e32 v12, v3, v2
	v_ashrrev_i32_e32 v13, 31, v12
	v_lshlrev_b64 v[12:13], 2, v[12:13]
	v_mov_b32_e32 v15, s19
	v_add_co_u32_e64 v14, s[0:1], s18, v12
	v_addc_co_u32_e64 v15, s[0:1], v15, v13, s[0:1]
	global_store_dword v[14:15], v11, off
	v_mov_b32_e32 v14, s17
	v_add_co_u32_e64 v12, s[0:1], s16, v12
	v_addc_co_u32_e64 v13, s[0:1], v14, v13, s[0:1]
	s_waitcnt vmcnt(1)
	global_store_dword v[12:13], v16, off
	s_or_b64 exec, exec, s[22:23]
	s_and_saveexec_b64 s[22:23], s[4:5]
	s_cbranch_execz .LBB45_12
.LBB45_20:                              ;   in Loop: Header=BB45_13 Depth=1
	v_add_u32_e32 v12, v3, v5
	v_add_u32_e32 v13, 0x60, v0
	v_cndmask_b32_e32 v12, v13, v12, vcc
	v_ashrrev_i32_e32 v13, 31, v12
	v_lshlrev_b64 v[12:13], 2, v[12:13]
	v_mov_b32_e32 v14, s21
	v_add_co_u32_e64 v12, s[0:1], s20, v12
	v_addc_co_u32_e64 v13, s[0:1], v14, v13, s[0:1]
	global_load_dword v16, v[12:13], off
	v_add_u32_e32 v12, v3, v1
	v_ashrrev_i32_e32 v13, 31, v12
	v_lshlrev_b64 v[12:13], 2, v[12:13]
	v_mov_b32_e32 v15, s19
	v_add_co_u32_e64 v14, s[0:1], s18, v12
	v_addc_co_u32_e64 v15, s[0:1], v15, v13, s[0:1]
	global_store_dword v[14:15], v11, off
	v_mov_b32_e32 v11, s17
	v_add_co_u32_e64 v12, s[0:1], s16, v12
	v_addc_co_u32_e64 v13, s[0:1], v11, v13, s[0:1]
	s_waitcnt vmcnt(1)
	global_store_dword v[12:13], v16, off
	s_branch .LBB45_12
.LBB45_21:
	s_endpgm
	.section	.rodata,"a",@progbits
	.p2align	6, 0x0
	.amdhsa_kernel _ZN9rocsparseL37gebsr2csr_block_per_row_33_128_kernelILi1024ELi128ELi16ELi32ELi16EfEEv20rocsparse_direction_ii21rocsparse_index_base_PKT4_PKiS7_iiS2_PS3_PiS9_
		.amdhsa_group_segment_fixed_size 0
		.amdhsa_private_segment_fixed_size 0
		.amdhsa_kernarg_size 80
		.amdhsa_user_sgpr_count 6
		.amdhsa_user_sgpr_private_segment_buffer 1
		.amdhsa_user_sgpr_dispatch_ptr 0
		.amdhsa_user_sgpr_queue_ptr 0
		.amdhsa_user_sgpr_kernarg_segment_ptr 1
		.amdhsa_user_sgpr_dispatch_id 0
		.amdhsa_user_sgpr_flat_scratch_init 0
		.amdhsa_user_sgpr_kernarg_preload_length 0
		.amdhsa_user_sgpr_kernarg_preload_offset 0
		.amdhsa_user_sgpr_private_segment_size 0
		.amdhsa_uses_dynamic_stack 0
		.amdhsa_system_sgpr_private_segment_wavefront_offset 0
		.amdhsa_system_sgpr_workgroup_id_x 1
		.amdhsa_system_sgpr_workgroup_id_y 0
		.amdhsa_system_sgpr_workgroup_id_z 0
		.amdhsa_system_sgpr_workgroup_info 0
		.amdhsa_system_vgpr_workitem_id 0
		.amdhsa_next_free_vgpr 17
		.amdhsa_next_free_sgpr 30
		.amdhsa_accum_offset 20
		.amdhsa_reserve_vcc 1
		.amdhsa_reserve_flat_scratch 0
		.amdhsa_float_round_mode_32 0
		.amdhsa_float_round_mode_16_64 0
		.amdhsa_float_denorm_mode_32 3
		.amdhsa_float_denorm_mode_16_64 3
		.amdhsa_dx10_clamp 1
		.amdhsa_ieee_mode 1
		.amdhsa_fp16_overflow 0
		.amdhsa_tg_split 0
		.amdhsa_exception_fp_ieee_invalid_op 0
		.amdhsa_exception_fp_denorm_src 0
		.amdhsa_exception_fp_ieee_div_zero 0
		.amdhsa_exception_fp_ieee_overflow 0
		.amdhsa_exception_fp_ieee_underflow 0
		.amdhsa_exception_fp_ieee_inexact 0
		.amdhsa_exception_int_div_zero 0
	.end_amdhsa_kernel
	.section	.text._ZN9rocsparseL37gebsr2csr_block_per_row_33_128_kernelILi1024ELi128ELi16ELi32ELi16EfEEv20rocsparse_direction_ii21rocsparse_index_base_PKT4_PKiS7_iiS2_PS3_PiS9_,"axG",@progbits,_ZN9rocsparseL37gebsr2csr_block_per_row_33_128_kernelILi1024ELi128ELi16ELi32ELi16EfEEv20rocsparse_direction_ii21rocsparse_index_base_PKT4_PKiS7_iiS2_PS3_PiS9_,comdat
.Lfunc_end45:
	.size	_ZN9rocsparseL37gebsr2csr_block_per_row_33_128_kernelILi1024ELi128ELi16ELi32ELi16EfEEv20rocsparse_direction_ii21rocsparse_index_base_PKT4_PKiS7_iiS2_PS3_PiS9_, .Lfunc_end45-_ZN9rocsparseL37gebsr2csr_block_per_row_33_128_kernelILi1024ELi128ELi16ELi32ELi16EfEEv20rocsparse_direction_ii21rocsparse_index_base_PKT4_PKiS7_iiS2_PS3_PiS9_
                                        ; -- End function
	.section	.AMDGPU.csdata,"",@progbits
; Kernel info:
; codeLenInByte = 1432
; NumSgprs: 34
; NumVgprs: 17
; NumAgprs: 0
; TotalNumVgprs: 17
; ScratchSize: 0
; MemoryBound: 0
; FloatMode: 240
; IeeeMode: 1
; LDSByteSize: 0 bytes/workgroup (compile time only)
; SGPRBlocks: 4
; VGPRBlocks: 2
; NumSGPRsForWavesPerEU: 34
; NumVGPRsForWavesPerEU: 17
; AccumOffset: 20
; Occupancy: 8
; WaveLimiterHint : 0
; COMPUTE_PGM_RSRC2:SCRATCH_EN: 0
; COMPUTE_PGM_RSRC2:USER_SGPR: 6
; COMPUTE_PGM_RSRC2:TRAP_HANDLER: 0
; COMPUTE_PGM_RSRC2:TGID_X_EN: 1
; COMPUTE_PGM_RSRC2:TGID_Y_EN: 0
; COMPUTE_PGM_RSRC2:TGID_Z_EN: 0
; COMPUTE_PGM_RSRC2:TIDIG_COMP_CNT: 0
; COMPUTE_PGM_RSRC3_GFX90A:ACCUM_OFFSET: 4
; COMPUTE_PGM_RSRC3_GFX90A:TG_SPLIT: 0
	.section	.text._ZN9rocsparseL37gebsr2csr_block_per_row_33_128_kernelILi1024ELi128ELi32ELi32ELi32EfEEv20rocsparse_direction_ii21rocsparse_index_base_PKT4_PKiS7_iiS2_PS3_PiS9_,"axG",@progbits,_ZN9rocsparseL37gebsr2csr_block_per_row_33_128_kernelILi1024ELi128ELi32ELi32ELi32EfEEv20rocsparse_direction_ii21rocsparse_index_base_PKT4_PKiS7_iiS2_PS3_PiS9_,comdat
	.globl	_ZN9rocsparseL37gebsr2csr_block_per_row_33_128_kernelILi1024ELi128ELi32ELi32ELi32EfEEv20rocsparse_direction_ii21rocsparse_index_base_PKT4_PKiS7_iiS2_PS3_PiS9_ ; -- Begin function _ZN9rocsparseL37gebsr2csr_block_per_row_33_128_kernelILi1024ELi128ELi32ELi32ELi32EfEEv20rocsparse_direction_ii21rocsparse_index_base_PKT4_PKiS7_iiS2_PS3_PiS9_
	.p2align	8
	.type	_ZN9rocsparseL37gebsr2csr_block_per_row_33_128_kernelILi1024ELi128ELi32ELi32ELi32EfEEv20rocsparse_direction_ii21rocsparse_index_base_PKT4_PKiS7_iiS2_PS3_PiS9_,@function
_ZN9rocsparseL37gebsr2csr_block_per_row_33_128_kernelILi1024ELi128ELi32ELi32ELi32EfEEv20rocsparse_direction_ii21rocsparse_index_base_PKT4_PKiS7_iiS2_PS3_PiS9_: ; @_ZN9rocsparseL37gebsr2csr_block_per_row_33_128_kernelILi1024ELi128ELi32ELi32ELi32EfEEv20rocsparse_direction_ii21rocsparse_index_base_PKT4_PKiS7_iiS2_PS3_PiS9_
; %bb.0:
	s_load_dwordx2 s[0:1], s[4:5], 0x18
	s_load_dwordx4 s[12:15], s[4:5], 0x28
	s_load_dwordx2 s[2:3], s[4:5], 0x40
	s_ashr_i32 s7, s6, 31
	s_lshl_b64 s[8:9], s[6:7], 2
	s_waitcnt lgkmcnt(0)
	s_add_u32 s0, s0, s8
	s_addc_u32 s1, s1, s9
	s_load_dwordx2 s[22:23], s[0:1], 0x0
	v_or_b32_e32 v1, s6, v0
	v_cmp_eq_u32_e32 vcc, 0, v1
	s_and_saveexec_b64 s[0:1], vcc
	s_cbranch_execz .LBB46_2
; %bb.1:
	v_mov_b32_e32 v1, 0
	v_mov_b32_e32 v2, s14
	global_store_dword v1, v2, s[2:3]
.LBB46_2:
	s_or_b64 exec, exec, s[0:1]
	s_load_dword s24, s[4:5], 0xc
	v_lshrrev_b32_e32 v2, 5, v0
	s_mul_i32 s15, s6, s12
	s_waitcnt lgkmcnt(0)
	s_sub_i32 s10, s22, s24
	s_sub_i32 s25, s23, s24
	s_mul_i32 s11, s10, s13
	s_sub_i32 s27, s25, s10
	s_mul_i32 s0, s11, s12
	s_mul_i32 s18, s27, s13
	s_add_i32 s19, s0, s14
	s_add_i32 s19, s19, s18
	v_cmp_gt_i32_e64 s[0:1], s12, v2
	s_and_saveexec_b64 s[6:7], s[0:1]
	s_cbranch_execz .LBB46_4
; %bb.3:
	v_add_u32_e32 v4, s15, v2
	v_ashrrev_i32_e32 v5, 31, v4
	v_lshlrev_b64 v[4:5], 2, v[4:5]
	v_mul_lo_u32 v1, v2, s18
	v_mov_b32_e32 v3, s3
	v_add_co_u32_e32 v4, vcc, s2, v4
	v_add_u32_e32 v1, s19, v1
	v_addc_co_u32_e32 v5, vcc, v3, v5, vcc
	global_store_dword v[4:5], v1, off offset:4
.LBB46_4:
	s_or_b64 exec, exec, s[6:7]
	s_add_u32 s20, s2, 4
	v_or_b32_e32 v1, 32, v2
	s_addc_u32 s21, s3, 0
	v_cmp_gt_i32_e64 s[2:3], s12, v1
	s_and_saveexec_b64 s[6:7], s[2:3]
	s_cbranch_execz .LBB46_6
; %bb.5:
	s_ashr_i32 s8, s15, 31
	v_mov_b32_e32 v3, s8
	v_add_co_u32_e32 v4, vcc, s15, v2
	v_addc_co_u32_e32 v5, vcc, 0, v3, vcc
	v_lshlrev_b64 v[4:5], 2, v[4:5]
	v_mul_lo_u32 v1, v1, s18
	v_mov_b32_e32 v3, s21
	v_add_co_u32_e32 v4, vcc, s20, v4
	v_add_u32_e32 v1, s19, v1
	v_addc_co_u32_e32 v5, vcc, v3, v5, vcc
	global_store_dword v[4:5], v1, off offset:128
.LBB46_6:
	s_or_b64 exec, exec, s[6:7]
	v_or_b32_e32 v1, 64, v2
	v_cmp_gt_i32_e64 s[6:7], s12, v1
	s_and_saveexec_b64 s[8:9], s[6:7]
	s_cbranch_execz .LBB46_8
; %bb.7:
	s_ashr_i32 s16, s15, 31
	v_mov_b32_e32 v3, s16
	v_add_co_u32_e32 v4, vcc, s15, v2
	v_addc_co_u32_e32 v5, vcc, 0, v3, vcc
	v_lshlrev_b64 v[4:5], 2, v[4:5]
	v_mul_lo_u32 v1, v1, s18
	v_mov_b32_e32 v3, s21
	v_add_co_u32_e32 v4, vcc, s20, v4
	v_add_u32_e32 v1, s19, v1
	v_addc_co_u32_e32 v5, vcc, v3, v5, vcc
	global_store_dword v[4:5], v1, off offset:256
.LBB46_8:
	s_or_b64 exec, exec, s[8:9]
	v_or_b32_e32 v1, 0x60, v2
	v_cmp_gt_i32_e64 s[8:9], s12, v1
	s_and_saveexec_b64 s[16:17], s[8:9]
	s_cbranch_execz .LBB46_10
; %bb.9:
	v_mul_lo_u32 v1, v1, s18
	s_ashr_i32 s18, s15, 31
	v_mov_b32_e32 v3, s18
	v_add_co_u32_e32 v4, vcc, s15, v2
	v_addc_co_u32_e32 v5, vcc, 0, v3, vcc
	v_lshlrev_b64 v[4:5], 2, v[4:5]
	v_mov_b32_e32 v3, s21
	v_add_co_u32_e32 v4, vcc, s20, v4
	v_add_u32_e32 v1, s19, v1
	v_addc_co_u32_e32 v5, vcc, v3, v5, vcc
	global_store_dword v[4:5], v1, off offset:384
.LBB46_10:
	s_or_b64 exec, exec, s[16:17]
	s_cmp_lt_i32 s22, s23
	s_cbranch_scc0 .LBB46_21
; %bb.11:
	s_load_dwordx2 s[28:29], s[4:5], 0x20
	s_load_dwordx2 s[16:17], s[4:5], 0x38
	;; [unrolled: 1-line block ×4, first 2 shown]
	s_load_dword s15, s[4:5], 0x0
	v_and_b32_e32 v3, 31, v0
	v_cmp_gt_i32_e64 s[4:5], s13, v3
	v_add_u32_e32 v4, s14, v3
	v_mul_lo_u32 v9, v2, s27
	s_waitcnt lgkmcnt(0)
	s_cmp_eq_u32 s15, 0
	s_cselect_b64 vcc, -1, 0
	s_and_b64 s[14:15], s[4:5], s[0:1]
	s_and_b64 s[2:3], s[4:5], s[2:3]
	;; [unrolled: 1-line block ×4, first 2 shown]
	s_mul_i32 s8, s12, s10
	v_add_u32_e32 v0, s8, v2
	v_add_u32_e32 v1, 0x60, v0
	v_mul_lo_u32 v5, s13, v1
	v_add_u32_e32 v1, 64, v0
	v_mul_lo_u32 v6, s13, v1
	;; [unrolled: 2-line block ×4, first 2 shown]
	v_mad_u64_u32 v[0:1], s[0:1], s12, v0, v[2:3]
	v_add_u32_e32 v10, s8, v9
	s_mul_i32 s0, s23, 0x60
	v_add_u32_e32 v1, s0, v10
	s_mul_i32 s0, s22, 0x60
	v_subrev_u32_e32 v1, s0, v1
	v_lshl_add_u32 v2, s23, 6, v10
	s_lshl_b32 s0, s22, 6
	v_subrev_u32_e32 v2, s0, v2
	v_lshl_add_u32 v9, s23, 5, v10
	s_lshl_b32 s0, s22, 5
	s_ashr_i32 s11, s10, 31
	v_subrev_u32_e32 v9, s0, v9
	s_lshl_b64 s[0:1], s[10:11], 2
	s_add_u32 s8, s28, s0
	s_mul_i32 s26, s13, s12
	v_mul_lo_u32 v1, s13, v1
	v_mul_lo_u32 v2, s13, v2
	;; [unrolled: 1-line block ×4, first 2 shown]
	s_addc_u32 s9, s29, s1
	s_branch .LBB46_13
.LBB46_12:                              ;   in Loop: Header=BB46_13 Depth=1
	s_or_b64 exec, exec, s[22:23]
	s_add_i32 s10, s10, 1
	s_add_u32 s8, s8, 4
	s_addc_u32 s9, s9, 0
	v_add_u32_e32 v5, s26, v5
	v_add_u32_e32 v6, s26, v6
	v_add_u32_e32 v7, s26, v7
	v_add_u32_e32 v8, s26, v8
	v_add_u32_e32 v0, s26, v0
	v_add_u32_e32 v1, s13, v1
	v_add_u32_e32 v2, s13, v2
	v_add_u32_e32 v9, s13, v9
	s_cmp_ge_i32 s10, s25
	v_add_u32_e32 v10, s13, v10
	s_cbranch_scc1 .LBB46_21
.LBB46_13:                              ; =>This Inner Loop Header: Depth=1
	s_load_dword s0, s[8:9], 0x0
	s_waitcnt lgkmcnt(0)
	s_sub_i32 s0, s0, s24
	s_mul_i32 s0, s0, s13
	v_add_u32_e32 v11, s0, v4
	s_and_saveexec_b64 s[22:23], s[14:15]
	s_cbranch_execnz .LBB46_17
; %bb.14:                               ;   in Loop: Header=BB46_13 Depth=1
	s_or_b64 exec, exec, s[22:23]
	s_and_saveexec_b64 s[22:23], s[2:3]
	s_cbranch_execnz .LBB46_18
.LBB46_15:                              ;   in Loop: Header=BB46_13 Depth=1
	s_or_b64 exec, exec, s[22:23]
	s_and_saveexec_b64 s[22:23], s[6:7]
	s_cbranch_execnz .LBB46_19
.LBB46_16:                              ;   in Loop: Header=BB46_13 Depth=1
	s_or_b64 exec, exec, s[22:23]
	s_and_saveexec_b64 s[22:23], s[4:5]
	s_cbranch_execz .LBB46_12
	s_branch .LBB46_20
.LBB46_17:                              ;   in Loop: Header=BB46_13 Depth=1
	v_add_u32_e32 v12, v3, v8
	v_cndmask_b32_e32 v12, v0, v12, vcc
	v_ashrrev_i32_e32 v13, 31, v12
	v_lshlrev_b64 v[12:13], 2, v[12:13]
	v_mov_b32_e32 v14, s21
	v_add_co_u32_e64 v12, s[0:1], s20, v12
	v_addc_co_u32_e64 v13, s[0:1], v14, v13, s[0:1]
	global_load_dword v16, v[12:13], off
	v_add_u32_e32 v12, v3, v10
	v_ashrrev_i32_e32 v13, 31, v12
	v_lshlrev_b64 v[12:13], 2, v[12:13]
	v_mov_b32_e32 v15, s19
	v_add_co_u32_e64 v14, s[0:1], s18, v12
	v_addc_co_u32_e64 v15, s[0:1], v15, v13, s[0:1]
	global_store_dword v[14:15], v11, off
	v_mov_b32_e32 v14, s17
	v_add_co_u32_e64 v12, s[0:1], s16, v12
	v_addc_co_u32_e64 v13, s[0:1], v14, v13, s[0:1]
	s_waitcnt vmcnt(1)
	global_store_dword v[12:13], v16, off
	s_or_b64 exec, exec, s[22:23]
	s_and_saveexec_b64 s[22:23], s[2:3]
	s_cbranch_execz .LBB46_15
.LBB46_18:                              ;   in Loop: Header=BB46_13 Depth=1
	v_add_u32_e32 v12, v3, v7
	v_add_u32_e32 v13, 32, v0
	v_cndmask_b32_e32 v12, v13, v12, vcc
	v_ashrrev_i32_e32 v13, 31, v12
	v_lshlrev_b64 v[12:13], 2, v[12:13]
	v_mov_b32_e32 v14, s21
	v_add_co_u32_e64 v12, s[0:1], s20, v12
	v_addc_co_u32_e64 v13, s[0:1], v14, v13, s[0:1]
	global_load_dword v16, v[12:13], off
	v_add_u32_e32 v12, v3, v9
	v_ashrrev_i32_e32 v13, 31, v12
	v_lshlrev_b64 v[12:13], 2, v[12:13]
	v_mov_b32_e32 v15, s19
	v_add_co_u32_e64 v14, s[0:1], s18, v12
	v_addc_co_u32_e64 v15, s[0:1], v15, v13, s[0:1]
	global_store_dword v[14:15], v11, off
	v_mov_b32_e32 v14, s17
	v_add_co_u32_e64 v12, s[0:1], s16, v12
	v_addc_co_u32_e64 v13, s[0:1], v14, v13, s[0:1]
	s_waitcnt vmcnt(1)
	global_store_dword v[12:13], v16, off
	s_or_b64 exec, exec, s[22:23]
	s_and_saveexec_b64 s[22:23], s[6:7]
	s_cbranch_execz .LBB46_16
.LBB46_19:                              ;   in Loop: Header=BB46_13 Depth=1
	v_add_u32_e32 v12, v3, v6
	v_add_u32_e32 v13, 64, v0
	v_cndmask_b32_e32 v12, v13, v12, vcc
	v_ashrrev_i32_e32 v13, 31, v12
	v_lshlrev_b64 v[12:13], 2, v[12:13]
	v_mov_b32_e32 v14, s21
	v_add_co_u32_e64 v12, s[0:1], s20, v12
	v_addc_co_u32_e64 v13, s[0:1], v14, v13, s[0:1]
	global_load_dword v16, v[12:13], off
	v_add_u32_e32 v12, v3, v2
	v_ashrrev_i32_e32 v13, 31, v12
	v_lshlrev_b64 v[12:13], 2, v[12:13]
	v_mov_b32_e32 v15, s19
	v_add_co_u32_e64 v14, s[0:1], s18, v12
	v_addc_co_u32_e64 v15, s[0:1], v15, v13, s[0:1]
	global_store_dword v[14:15], v11, off
	v_mov_b32_e32 v14, s17
	v_add_co_u32_e64 v12, s[0:1], s16, v12
	v_addc_co_u32_e64 v13, s[0:1], v14, v13, s[0:1]
	s_waitcnt vmcnt(1)
	global_store_dword v[12:13], v16, off
	s_or_b64 exec, exec, s[22:23]
	s_and_saveexec_b64 s[22:23], s[4:5]
	s_cbranch_execz .LBB46_12
.LBB46_20:                              ;   in Loop: Header=BB46_13 Depth=1
	v_add_u32_e32 v12, v3, v5
	v_add_u32_e32 v13, 0x60, v0
	v_cndmask_b32_e32 v12, v13, v12, vcc
	v_ashrrev_i32_e32 v13, 31, v12
	v_lshlrev_b64 v[12:13], 2, v[12:13]
	v_mov_b32_e32 v14, s21
	v_add_co_u32_e64 v12, s[0:1], s20, v12
	v_addc_co_u32_e64 v13, s[0:1], v14, v13, s[0:1]
	global_load_dword v16, v[12:13], off
	v_add_u32_e32 v12, v3, v1
	v_ashrrev_i32_e32 v13, 31, v12
	v_lshlrev_b64 v[12:13], 2, v[12:13]
	v_mov_b32_e32 v15, s19
	v_add_co_u32_e64 v14, s[0:1], s18, v12
	v_addc_co_u32_e64 v15, s[0:1], v15, v13, s[0:1]
	global_store_dword v[14:15], v11, off
	v_mov_b32_e32 v11, s17
	v_add_co_u32_e64 v12, s[0:1], s16, v12
	v_addc_co_u32_e64 v13, s[0:1], v11, v13, s[0:1]
	s_waitcnt vmcnt(1)
	global_store_dword v[12:13], v16, off
	s_branch .LBB46_12
.LBB46_21:
	s_endpgm
	.section	.rodata,"a",@progbits
	.p2align	6, 0x0
	.amdhsa_kernel _ZN9rocsparseL37gebsr2csr_block_per_row_33_128_kernelILi1024ELi128ELi32ELi32ELi32EfEEv20rocsparse_direction_ii21rocsparse_index_base_PKT4_PKiS7_iiS2_PS3_PiS9_
		.amdhsa_group_segment_fixed_size 0
		.amdhsa_private_segment_fixed_size 0
		.amdhsa_kernarg_size 80
		.amdhsa_user_sgpr_count 6
		.amdhsa_user_sgpr_private_segment_buffer 1
		.amdhsa_user_sgpr_dispatch_ptr 0
		.amdhsa_user_sgpr_queue_ptr 0
		.amdhsa_user_sgpr_kernarg_segment_ptr 1
		.amdhsa_user_sgpr_dispatch_id 0
		.amdhsa_user_sgpr_flat_scratch_init 0
		.amdhsa_user_sgpr_kernarg_preload_length 0
		.amdhsa_user_sgpr_kernarg_preload_offset 0
		.amdhsa_user_sgpr_private_segment_size 0
		.amdhsa_uses_dynamic_stack 0
		.amdhsa_system_sgpr_private_segment_wavefront_offset 0
		.amdhsa_system_sgpr_workgroup_id_x 1
		.amdhsa_system_sgpr_workgroup_id_y 0
		.amdhsa_system_sgpr_workgroup_id_z 0
		.amdhsa_system_sgpr_workgroup_info 0
		.amdhsa_system_vgpr_workitem_id 0
		.amdhsa_next_free_vgpr 17
		.amdhsa_next_free_sgpr 30
		.amdhsa_accum_offset 20
		.amdhsa_reserve_vcc 1
		.amdhsa_reserve_flat_scratch 0
		.amdhsa_float_round_mode_32 0
		.amdhsa_float_round_mode_16_64 0
		.amdhsa_float_denorm_mode_32 3
		.amdhsa_float_denorm_mode_16_64 3
		.amdhsa_dx10_clamp 1
		.amdhsa_ieee_mode 1
		.amdhsa_fp16_overflow 0
		.amdhsa_tg_split 0
		.amdhsa_exception_fp_ieee_invalid_op 0
		.amdhsa_exception_fp_denorm_src 0
		.amdhsa_exception_fp_ieee_div_zero 0
		.amdhsa_exception_fp_ieee_overflow 0
		.amdhsa_exception_fp_ieee_underflow 0
		.amdhsa_exception_fp_ieee_inexact 0
		.amdhsa_exception_int_div_zero 0
	.end_amdhsa_kernel
	.section	.text._ZN9rocsparseL37gebsr2csr_block_per_row_33_128_kernelILi1024ELi128ELi32ELi32ELi32EfEEv20rocsparse_direction_ii21rocsparse_index_base_PKT4_PKiS7_iiS2_PS3_PiS9_,"axG",@progbits,_ZN9rocsparseL37gebsr2csr_block_per_row_33_128_kernelILi1024ELi128ELi32ELi32ELi32EfEEv20rocsparse_direction_ii21rocsparse_index_base_PKT4_PKiS7_iiS2_PS3_PiS9_,comdat
.Lfunc_end46:
	.size	_ZN9rocsparseL37gebsr2csr_block_per_row_33_128_kernelILi1024ELi128ELi32ELi32ELi32EfEEv20rocsparse_direction_ii21rocsparse_index_base_PKT4_PKiS7_iiS2_PS3_PiS9_, .Lfunc_end46-_ZN9rocsparseL37gebsr2csr_block_per_row_33_128_kernelILi1024ELi128ELi32ELi32ELi32EfEEv20rocsparse_direction_ii21rocsparse_index_base_PKT4_PKiS7_iiS2_PS3_PiS9_
                                        ; -- End function
	.section	.AMDGPU.csdata,"",@progbits
; Kernel info:
; codeLenInByte = 1432
; NumSgprs: 34
; NumVgprs: 17
; NumAgprs: 0
; TotalNumVgprs: 17
; ScratchSize: 0
; MemoryBound: 0
; FloatMode: 240
; IeeeMode: 1
; LDSByteSize: 0 bytes/workgroup (compile time only)
; SGPRBlocks: 4
; VGPRBlocks: 2
; NumSGPRsForWavesPerEU: 34
; NumVGPRsForWavesPerEU: 17
; AccumOffset: 20
; Occupancy: 8
; WaveLimiterHint : 0
; COMPUTE_PGM_RSRC2:SCRATCH_EN: 0
; COMPUTE_PGM_RSRC2:USER_SGPR: 6
; COMPUTE_PGM_RSRC2:TRAP_HANDLER: 0
; COMPUTE_PGM_RSRC2:TGID_X_EN: 1
; COMPUTE_PGM_RSRC2:TGID_Y_EN: 0
; COMPUTE_PGM_RSRC2:TGID_Z_EN: 0
; COMPUTE_PGM_RSRC2:TIDIG_COMP_CNT: 0
; COMPUTE_PGM_RSRC3_GFX90A:ACCUM_OFFSET: 4
; COMPUTE_PGM_RSRC3_GFX90A:TG_SPLIT: 0
	.section	.text._ZN9rocsparseL37gebsr2csr_block_per_row_33_128_kernelILi1024ELi128ELi64ELi32ELi32EfEEv20rocsparse_direction_ii21rocsparse_index_base_PKT4_PKiS7_iiS2_PS3_PiS9_,"axG",@progbits,_ZN9rocsparseL37gebsr2csr_block_per_row_33_128_kernelILi1024ELi128ELi64ELi32ELi32EfEEv20rocsparse_direction_ii21rocsparse_index_base_PKT4_PKiS7_iiS2_PS3_PiS9_,comdat
	.globl	_ZN9rocsparseL37gebsr2csr_block_per_row_33_128_kernelILi1024ELi128ELi64ELi32ELi32EfEEv20rocsparse_direction_ii21rocsparse_index_base_PKT4_PKiS7_iiS2_PS3_PiS9_ ; -- Begin function _ZN9rocsparseL37gebsr2csr_block_per_row_33_128_kernelILi1024ELi128ELi64ELi32ELi32EfEEv20rocsparse_direction_ii21rocsparse_index_base_PKT4_PKiS7_iiS2_PS3_PiS9_
	.p2align	8
	.type	_ZN9rocsparseL37gebsr2csr_block_per_row_33_128_kernelILi1024ELi128ELi64ELi32ELi32EfEEv20rocsparse_direction_ii21rocsparse_index_base_PKT4_PKiS7_iiS2_PS3_PiS9_,@function
_ZN9rocsparseL37gebsr2csr_block_per_row_33_128_kernelILi1024ELi128ELi64ELi32ELi32EfEEv20rocsparse_direction_ii21rocsparse_index_base_PKT4_PKiS7_iiS2_PS3_PiS9_: ; @_ZN9rocsparseL37gebsr2csr_block_per_row_33_128_kernelILi1024ELi128ELi64ELi32ELi32EfEEv20rocsparse_direction_ii21rocsparse_index_base_PKT4_PKiS7_iiS2_PS3_PiS9_
; %bb.0:
	s_load_dwordx2 s[0:1], s[4:5], 0x18
	s_load_dwordx4 s[12:15], s[4:5], 0x28
	s_load_dwordx2 s[2:3], s[4:5], 0x40
	s_ashr_i32 s7, s6, 31
	s_lshl_b64 s[8:9], s[6:7], 2
	s_waitcnt lgkmcnt(0)
	s_add_u32 s0, s0, s8
	s_addc_u32 s1, s1, s9
	s_load_dwordx2 s[34:35], s[0:1], 0x0
	v_or_b32_e32 v1, s6, v0
	v_cmp_eq_u32_e32 vcc, 0, v1
	s_and_saveexec_b64 s[0:1], vcc
	s_cbranch_execz .LBB47_2
; %bb.1:
	v_mov_b32_e32 v1, 0
	v_mov_b32_e32 v2, s14
	global_store_dword v1, v2, s[2:3]
.LBB47_2:
	s_or_b64 exec, exec, s[0:1]
	s_load_dword s15, s[4:5], 0xc
	v_lshrrev_b32_e32 v2, 5, v0
	s_mul_i32 s18, s6, s12
	s_waitcnt lgkmcnt(0)
	s_sub_i32 s16, s34, s15
	s_sub_i32 s33, s35, s15
	s_mul_i32 s17, s16, s13
	s_sub_i32 s24, s33, s16
	s_mul_i32 s0, s17, s12
	s_mul_i32 s19, s24, s13
	s_add_i32 s20, s0, s14
	s_add_i32 s20, s20, s19
	v_cmp_gt_i32_e64 s[0:1], s12, v2
	s_and_saveexec_b64 s[6:7], s[0:1]
	s_cbranch_execz .LBB47_4
; %bb.3:
	v_add_u32_e32 v4, s18, v2
	v_ashrrev_i32_e32 v5, 31, v4
	v_lshlrev_b64 v[4:5], 2, v[4:5]
	v_mul_lo_u32 v1, v2, s19
	v_mov_b32_e32 v3, s3
	v_add_co_u32_e32 v4, vcc, s2, v4
	v_add_u32_e32 v1, s20, v1
	v_addc_co_u32_e32 v5, vcc, v3, v5, vcc
	global_store_dword v[4:5], v1, off offset:4
.LBB47_4:
	s_or_b64 exec, exec, s[6:7]
	s_add_u32 s21, s2, 4
	v_or_b32_e32 v1, 32, v2
	s_addc_u32 s22, s3, 0
	v_cmp_gt_i32_e64 s[2:3], s12, v1
	s_and_saveexec_b64 s[6:7], s[2:3]
	s_cbranch_execz .LBB47_6
; %bb.5:
	s_ashr_i32 s8, s18, 31
	v_mov_b32_e32 v3, s8
	v_add_co_u32_e32 v4, vcc, s18, v2
	v_addc_co_u32_e32 v5, vcc, 0, v3, vcc
	v_lshlrev_b64 v[4:5], 2, v[4:5]
	v_mul_lo_u32 v1, v1, s19
	v_mov_b32_e32 v3, s22
	v_add_co_u32_e32 v4, vcc, s21, v4
	v_add_u32_e32 v1, s20, v1
	v_addc_co_u32_e32 v5, vcc, v3, v5, vcc
	global_store_dword v[4:5], v1, off offset:128
.LBB47_6:
	s_or_b64 exec, exec, s[6:7]
	v_or_b32_e32 v1, 64, v2
	v_cmp_gt_i32_e64 s[6:7], s12, v1
	s_and_saveexec_b64 s[8:9], s[6:7]
	s_cbranch_execz .LBB47_8
; %bb.7:
	s_ashr_i32 s10, s18, 31
	v_mov_b32_e32 v3, s10
	v_add_co_u32_e32 v4, vcc, s18, v2
	v_addc_co_u32_e32 v5, vcc, 0, v3, vcc
	v_lshlrev_b64 v[4:5], 2, v[4:5]
	v_mul_lo_u32 v1, v1, s19
	v_mov_b32_e32 v3, s22
	v_add_co_u32_e32 v4, vcc, s21, v4
	v_add_u32_e32 v1, s20, v1
	v_addc_co_u32_e32 v5, vcc, v3, v5, vcc
	global_store_dword v[4:5], v1, off offset:256
.LBB47_8:
	s_or_b64 exec, exec, s[8:9]
	v_or_b32_e32 v1, 0x60, v2
	v_cmp_gt_i32_e64 s[8:9], s12, v1
	s_and_saveexec_b64 s[10:11], s[8:9]
	s_cbranch_execz .LBB47_10
; %bb.9:
	v_mul_lo_u32 v1, v1, s19
	s_ashr_i32 s19, s18, 31
	v_mov_b32_e32 v3, s19
	v_add_co_u32_e32 v4, vcc, s18, v2
	v_addc_co_u32_e32 v5, vcc, 0, v3, vcc
	v_lshlrev_b64 v[4:5], 2, v[4:5]
	v_mov_b32_e32 v3, s22
	v_add_co_u32_e32 v4, vcc, s21, v4
	v_add_u32_e32 v1, s20, v1
	v_addc_co_u32_e32 v5, vcc, v3, v5, vcc
	global_store_dword v[4:5], v1, off offset:384
.LBB47_10:
	s_or_b64 exec, exec, s[10:11]
	s_cmp_lt_i32 s34, s35
	s_cbranch_scc0 .LBB47_29
; %bb.11:
	s_load_dwordx2 s[38:39], s[4:5], 0x20
	s_load_dwordx2 s[18:19], s[4:5], 0x38
	;; [unrolled: 1-line block ×3, first 2 shown]
	s_load_dword s10, s[4:5], 0x0
	s_load_dwordx2 s[22:23], s[4:5], 0x48
	v_and_b32_e32 v4, 31, v0
	v_or_b32_e32 v5, 32, v4
	v_cmp_gt_i32_e64 s[4:5], s13, v4
	s_waitcnt lgkmcnt(0)
	s_cmp_eq_u32 s10, 0
	v_cmp_gt_i32_e64 s[10:11], s13, v5
	s_cselect_b64 vcc, -1, 0
	v_mul_lo_u32 v10, v2, s24
	s_and_b64 s[24:25], s[0:1], s[4:5]
	s_and_b64 s[26:27], s[0:1], s[10:11]
	;; [unrolled: 1-line block ×8, first 2 shown]
	s_mul_i32 s10, s12, s16
	v_add_u32_e32 v0, s10, v2
	v_add_u32_e32 v1, 32, v0
	v_mul_lo_u32 v6, s13, v1
	v_add_u32_e32 v1, 64, v0
	v_add_u32_e32 v3, s17, v4
	v_mul_lo_u32 v7, s13, v1
	v_add_u32_e32 v1, 0x60, v0
	v_mul_lo_u32 v9, s13, v0
	;; [unrolled: 2-line block ×3, first 2 shown]
	v_mad_u64_u32 v[0:1], s[0:1], s12, v0, v[2:3]
	v_mad_u64_u32 v[2:3], s[0:1], s12, v3, v[2:3]
	v_add_u32_e32 v11, s10, v10
	v_lshl_add_u32 v1, s35, 5, v11
	s_lshl_b32 s0, s34, 5
	v_subrev_u32_e32 v1, s0, v1
	v_lshl_add_u32 v3, s35, 6, v11
	s_lshl_b32 s0, s34, 6
	v_subrev_u32_e32 v3, s0, v3
	s_mul_i32 s0, s35, 0x60
	v_add_u32_e32 v10, s0, v11
	s_mul_i32 s0, s34, 0x60
	s_ashr_i32 s17, s16, 31
	v_subrev_u32_e32 v10, s0, v10
	s_lshl_b64 s[0:1], s[16:17], 2
	s_add_u32 s10, s38, s0
	s_mul_i32 s36, s13, s12
	s_mov_b32 s37, 0
	v_mul_lo_u32 v1, s13, v1
	v_mul_lo_u32 v3, s13, v3
	;; [unrolled: 1-line block ×4, first 2 shown]
	s_addc_u32 s11, s39, s1
	s_branch .LBB47_13
.LBB47_12:                              ;   in Loop: Header=BB47_13 Depth=1
	s_or_b64 exec, exec, s[34:35]
	s_add_i32 s16, s16, 1
	s_add_i32 s37, s37, s36
	s_add_u32 s10, s10, 4
	s_addc_u32 s11, s11, 0
	v_add_u32_e32 v6, s36, v6
	v_add_u32_e32 v7, s36, v7
	;; [unrolled: 1-line block ×7, first 2 shown]
	s_cmp_ge_i32 s16, s33
	v_add_u32_e32 v11, s13, v11
	s_cbranch_scc1 .LBB47_29
.LBB47_13:                              ; =>This Inner Loop Header: Depth=1
	s_load_dword s0, s[10:11], 0x0
	v_add_u32_e32 v14, s37, v2
	s_waitcnt lgkmcnt(0)
	s_sub_i32 s0, s0, s15
	s_mul_i32 s12, s0, s13
	s_add_i32 s12, s12, s14
	v_add_u32_e32 v12, s12, v4
	s_and_saveexec_b64 s[34:35], s[24:25]
	s_cbranch_execz .LBB47_15
; %bb.14:                               ;   in Loop: Header=BB47_13 Depth=1
	v_add_u32_e32 v13, v4, v9
	v_cndmask_b32_e32 v16, v14, v13, vcc
	v_ashrrev_i32_e32 v17, 31, v16
	v_lshlrev_b64 v[16:17], 2, v[16:17]
	v_mov_b32_e32 v13, s21
	v_add_co_u32_e64 v16, s[0:1], s20, v16
	v_addc_co_u32_e64 v17, s[0:1], v13, v17, s[0:1]
	global_load_dword v13, v[16:17], off
	v_add_u32_e32 v16, v4, v11
	v_ashrrev_i32_e32 v17, 31, v16
	v_lshlrev_b64 v[16:17], 2, v[16:17]
	v_mov_b32_e32 v15, s23
	v_add_co_u32_e64 v18, s[0:1], s22, v16
	v_addc_co_u32_e64 v19, s[0:1], v15, v17, s[0:1]
	v_mov_b32_e32 v15, s19
	v_add_co_u32_e64 v16, s[0:1], s18, v16
	v_addc_co_u32_e64 v17, s[0:1], v15, v17, s[0:1]
	global_store_dword v[18:19], v12, off
	s_waitcnt vmcnt(1)
	global_store_dword v[16:17], v13, off
.LBB47_15:                              ;   in Loop: Header=BB47_13 Depth=1
	s_or_b64 exec, exec, s[34:35]
	v_add_u32_e32 v13, s12, v5
	v_add_u32_e32 v15, s37, v0
	s_and_saveexec_b64 s[34:35], s[26:27]
	s_cbranch_execnz .LBB47_22
; %bb.16:                               ;   in Loop: Header=BB47_13 Depth=1
	s_or_b64 exec, exec, s[34:35]
	v_add_u32_e32 v16, v4, v6
	s_and_saveexec_b64 s[34:35], s[28:29]
	s_cbranch_execnz .LBB47_23
.LBB47_17:                              ;   in Loop: Header=BB47_13 Depth=1
	s_or_b64 exec, exec, s[34:35]
	s_and_saveexec_b64 s[34:35], s[2:3]
	s_cbranch_execnz .LBB47_24
.LBB47_18:                              ;   in Loop: Header=BB47_13 Depth=1
	s_or_b64 exec, exec, s[34:35]
	s_and_saveexec_b64 s[34:35], s[30:31]
	s_cbranch_execnz .LBB47_25
.LBB47_19:                              ;   in Loop: Header=BB47_13 Depth=1
	s_or_b64 exec, exec, s[34:35]
	s_and_saveexec_b64 s[34:35], s[6:7]
	s_cbranch_execnz .LBB47_26
.LBB47_20:                              ;   in Loop: Header=BB47_13 Depth=1
	s_or_b64 exec, exec, s[34:35]
	s_and_saveexec_b64 s[34:35], s[4:5]
	s_cbranch_execnz .LBB47_27
.LBB47_21:                              ;   in Loop: Header=BB47_13 Depth=1
	s_or_b64 exec, exec, s[34:35]
	s_and_saveexec_b64 s[34:35], s[8:9]
	s_cbranch_execz .LBB47_12
	s_branch .LBB47_28
.LBB47_22:                              ;   in Loop: Header=BB47_13 Depth=1
	v_add3_u32 v16, v4, v9, 32
	v_cndmask_b32_e32 v16, v15, v16, vcc
	v_ashrrev_i32_e32 v17, 31, v16
	v_lshlrev_b64 v[16:17], 2, v[16:17]
	v_mov_b32_e32 v18, s21
	v_add_co_u32_e64 v16, s[0:1], s20, v16
	v_addc_co_u32_e64 v17, s[0:1], v18, v17, s[0:1]
	global_load_dword v20, v[16:17], off
	v_add3_u32 v16, v4, v11, 32
	v_ashrrev_i32_e32 v17, 31, v16
	v_lshlrev_b64 v[16:17], 2, v[16:17]
	v_mov_b32_e32 v19, s23
	v_add_co_u32_e64 v18, s[0:1], s22, v16
	v_addc_co_u32_e64 v19, s[0:1], v19, v17, s[0:1]
	global_store_dword v[18:19], v13, off
	v_mov_b32_e32 v18, s19
	v_add_co_u32_e64 v16, s[0:1], s18, v16
	v_addc_co_u32_e64 v17, s[0:1], v18, v17, s[0:1]
	s_waitcnt vmcnt(1)
	global_store_dword v[16:17], v20, off
	s_or_b64 exec, exec, s[34:35]
	v_add_u32_e32 v16, v4, v6
	s_and_saveexec_b64 s[34:35], s[28:29]
	s_cbranch_execz .LBB47_17
.LBB47_23:                              ;   in Loop: Header=BB47_13 Depth=1
	v_add3_u32 v17, v2, s37, 32
	v_cndmask_b32_e32 v18, v17, v16, vcc
	v_ashrrev_i32_e32 v19, 31, v18
	v_lshlrev_b64 v[18:19], 2, v[18:19]
	v_mov_b32_e32 v17, s21
	v_add_co_u32_e64 v18, s[0:1], s20, v18
	v_addc_co_u32_e64 v19, s[0:1], v17, v19, s[0:1]
	global_load_dword v17, v[18:19], off
	v_add_u32_e32 v18, v4, v1
	v_ashrrev_i32_e32 v19, 31, v18
	v_lshlrev_b64 v[18:19], 2, v[18:19]
	v_mov_b32_e32 v21, s23
	v_add_co_u32_e64 v20, s[0:1], s22, v18
	v_addc_co_u32_e64 v21, s[0:1], v21, v19, s[0:1]
	global_store_dword v[20:21], v12, off
	v_mov_b32_e32 v20, s19
	v_add_co_u32_e64 v18, s[0:1], s18, v18
	v_addc_co_u32_e64 v19, s[0:1], v20, v19, s[0:1]
	s_waitcnt vmcnt(1)
	global_store_dword v[18:19], v17, off
	s_or_b64 exec, exec, s[34:35]
	s_and_saveexec_b64 s[34:35], s[2:3]
	s_cbranch_execz .LBB47_18
.LBB47_24:                              ;   in Loop: Header=BB47_13 Depth=1
	v_cndmask_b32_e32 v16, v15, v16, vcc
	v_add_u32_e32 v16, 32, v16
	v_ashrrev_i32_e32 v17, 31, v16
	v_lshlrev_b64 v[16:17], 2, v[16:17]
	v_mov_b32_e32 v18, s21
	v_add_co_u32_e64 v16, s[0:1], s20, v16
	v_addc_co_u32_e64 v17, s[0:1], v18, v17, s[0:1]
	global_load_dword v20, v[16:17], off
	v_add3_u32 v16, v4, v1, 32
	v_ashrrev_i32_e32 v17, 31, v16
	v_lshlrev_b64 v[16:17], 2, v[16:17]
	v_mov_b32_e32 v19, s23
	v_add_co_u32_e64 v18, s[0:1], s22, v16
	v_addc_co_u32_e64 v19, s[0:1], v19, v17, s[0:1]
	global_store_dword v[18:19], v13, off
	v_mov_b32_e32 v18, s19
	v_add_co_u32_e64 v16, s[0:1], s18, v16
	v_addc_co_u32_e64 v17, s[0:1], v18, v17, s[0:1]
	s_waitcnt vmcnt(1)
	global_store_dword v[16:17], v20, off
	s_or_b64 exec, exec, s[34:35]
	s_and_saveexec_b64 s[34:35], s[30:31]
	s_cbranch_execz .LBB47_19
.LBB47_25:                              ;   in Loop: Header=BB47_13 Depth=1
	v_add_u32_e32 v16, v4, v7
	v_add3_u32 v17, v2, s37, 64
	v_cndmask_b32_e32 v16, v17, v16, vcc
	v_ashrrev_i32_e32 v17, 31, v16
	v_lshlrev_b64 v[16:17], 2, v[16:17]
	v_mov_b32_e32 v18, s21
	v_add_co_u32_e64 v16, s[0:1], s20, v16
	v_addc_co_u32_e64 v17, s[0:1], v18, v17, s[0:1]
	global_load_dword v20, v[16:17], off
	v_add_u32_e32 v16, v4, v3
	v_ashrrev_i32_e32 v17, 31, v16
	v_lshlrev_b64 v[16:17], 2, v[16:17]
	v_mov_b32_e32 v19, s23
	v_add_co_u32_e64 v18, s[0:1], s22, v16
	v_addc_co_u32_e64 v19, s[0:1], v19, v17, s[0:1]
	global_store_dword v[18:19], v12, off
	v_mov_b32_e32 v18, s19
	v_add_co_u32_e64 v16, s[0:1], s18, v16
	v_addc_co_u32_e64 v17, s[0:1], v18, v17, s[0:1]
	s_waitcnt vmcnt(1)
	global_store_dword v[16:17], v20, off
	s_or_b64 exec, exec, s[34:35]
	s_and_saveexec_b64 s[34:35], s[6:7]
	s_cbranch_execz .LBB47_20
.LBB47_26:                              ;   in Loop: Header=BB47_13 Depth=1
	v_add3_u32 v16, v4, v7, 32
	v_add3_u32 v17, v0, s37, 64
	v_cndmask_b32_e32 v16, v17, v16, vcc
	v_ashrrev_i32_e32 v17, 31, v16
	v_lshlrev_b64 v[16:17], 2, v[16:17]
	v_mov_b32_e32 v18, s21
	v_add_co_u32_e64 v16, s[0:1], s20, v16
	v_addc_co_u32_e64 v17, s[0:1], v18, v17, s[0:1]
	global_load_dword v20, v[16:17], off
	v_add3_u32 v16, v4, v3, 32
	v_ashrrev_i32_e32 v17, 31, v16
	v_lshlrev_b64 v[16:17], 2, v[16:17]
	v_mov_b32_e32 v19, s23
	v_add_co_u32_e64 v18, s[0:1], s22, v16
	v_addc_co_u32_e64 v19, s[0:1], v19, v17, s[0:1]
	global_store_dword v[18:19], v13, off
	v_mov_b32_e32 v18, s19
	v_add_co_u32_e64 v16, s[0:1], s18, v16
	v_addc_co_u32_e64 v17, s[0:1], v18, v17, s[0:1]
	s_waitcnt vmcnt(1)
	global_store_dword v[16:17], v20, off
	s_or_b64 exec, exec, s[34:35]
	s_and_saveexec_b64 s[34:35], s[4:5]
	s_cbranch_execz .LBB47_21
.LBB47_27:                              ;   in Loop: Header=BB47_13 Depth=1
	v_add_u32_e32 v16, v4, v8
	v_add_u32_e32 v14, 0x60, v14
	v_cndmask_b32_e32 v16, v14, v16, vcc
	v_ashrrev_i32_e32 v17, 31, v16
	v_lshlrev_b64 v[16:17], 2, v[16:17]
	v_mov_b32_e32 v14, s21
	v_add_co_u32_e64 v16, s[0:1], s20, v16
	v_addc_co_u32_e64 v17, s[0:1], v14, v17, s[0:1]
	global_load_dword v14, v[16:17], off
	v_add_u32_e32 v16, v4, v10
	v_ashrrev_i32_e32 v17, 31, v16
	v_lshlrev_b64 v[16:17], 2, v[16:17]
	v_mov_b32_e32 v19, s23
	v_add_co_u32_e64 v18, s[0:1], s22, v16
	v_addc_co_u32_e64 v19, s[0:1], v19, v17, s[0:1]
	global_store_dword v[18:19], v12, off
	v_mov_b32_e32 v12, s19
	v_add_co_u32_e64 v16, s[0:1], s18, v16
	v_addc_co_u32_e64 v17, s[0:1], v12, v17, s[0:1]
	s_waitcnt vmcnt(1)
	global_store_dword v[16:17], v14, off
	s_or_b64 exec, exec, s[34:35]
	s_and_saveexec_b64 s[34:35], s[8:9]
	s_cbranch_execz .LBB47_12
.LBB47_28:                              ;   in Loop: Header=BB47_13 Depth=1
	v_add3_u32 v12, v4, v8, 32
	v_add_u32_e32 v14, 0x60, v15
	v_cndmask_b32_e32 v14, v14, v12, vcc
	v_ashrrev_i32_e32 v15, 31, v14
	v_lshlrev_b64 v[14:15], 2, v[14:15]
	v_mov_b32_e32 v12, s21
	v_add_co_u32_e64 v14, s[0:1], s20, v14
	v_addc_co_u32_e64 v15, s[0:1], v12, v15, s[0:1]
	global_load_dword v18, v[14:15], off
	v_add3_u32 v14, v4, v10, 32
	v_ashrrev_i32_e32 v15, 31, v14
	v_lshlrev_b64 v[14:15], 2, v[14:15]
	v_mov_b32_e32 v12, s23
	v_add_co_u32_e64 v16, s[0:1], s22, v14
	v_addc_co_u32_e64 v17, s[0:1], v12, v15, s[0:1]
	global_store_dword v[16:17], v13, off
	v_mov_b32_e32 v13, s19
	v_add_co_u32_e64 v12, s[0:1], s18, v14
	v_addc_co_u32_e64 v13, s[0:1], v13, v15, s[0:1]
	s_waitcnt vmcnt(1)
	global_store_dword v[12:13], v18, off
	s_branch .LBB47_12
.LBB47_29:
	s_endpgm
	.section	.rodata,"a",@progbits
	.p2align	6, 0x0
	.amdhsa_kernel _ZN9rocsparseL37gebsr2csr_block_per_row_33_128_kernelILi1024ELi128ELi64ELi32ELi32EfEEv20rocsparse_direction_ii21rocsparse_index_base_PKT4_PKiS7_iiS2_PS3_PiS9_
		.amdhsa_group_segment_fixed_size 0
		.amdhsa_private_segment_fixed_size 0
		.amdhsa_kernarg_size 80
		.amdhsa_user_sgpr_count 6
		.amdhsa_user_sgpr_private_segment_buffer 1
		.amdhsa_user_sgpr_dispatch_ptr 0
		.amdhsa_user_sgpr_queue_ptr 0
		.amdhsa_user_sgpr_kernarg_segment_ptr 1
		.amdhsa_user_sgpr_dispatch_id 0
		.amdhsa_user_sgpr_flat_scratch_init 0
		.amdhsa_user_sgpr_kernarg_preload_length 0
		.amdhsa_user_sgpr_kernarg_preload_offset 0
		.amdhsa_user_sgpr_private_segment_size 0
		.amdhsa_uses_dynamic_stack 0
		.amdhsa_system_sgpr_private_segment_wavefront_offset 0
		.amdhsa_system_sgpr_workgroup_id_x 1
		.amdhsa_system_sgpr_workgroup_id_y 0
		.amdhsa_system_sgpr_workgroup_id_z 0
		.amdhsa_system_sgpr_workgroup_info 0
		.amdhsa_system_vgpr_workitem_id 0
		.amdhsa_next_free_vgpr 22
		.amdhsa_next_free_sgpr 40
		.amdhsa_accum_offset 24
		.amdhsa_reserve_vcc 1
		.amdhsa_reserve_flat_scratch 0
		.amdhsa_float_round_mode_32 0
		.amdhsa_float_round_mode_16_64 0
		.amdhsa_float_denorm_mode_32 3
		.amdhsa_float_denorm_mode_16_64 3
		.amdhsa_dx10_clamp 1
		.amdhsa_ieee_mode 1
		.amdhsa_fp16_overflow 0
		.amdhsa_tg_split 0
		.amdhsa_exception_fp_ieee_invalid_op 0
		.amdhsa_exception_fp_denorm_src 0
		.amdhsa_exception_fp_ieee_div_zero 0
		.amdhsa_exception_fp_ieee_overflow 0
		.amdhsa_exception_fp_ieee_underflow 0
		.amdhsa_exception_fp_ieee_inexact 0
		.amdhsa_exception_int_div_zero 0
	.end_amdhsa_kernel
	.section	.text._ZN9rocsparseL37gebsr2csr_block_per_row_33_128_kernelILi1024ELi128ELi64ELi32ELi32EfEEv20rocsparse_direction_ii21rocsparse_index_base_PKT4_PKiS7_iiS2_PS3_PiS9_,"axG",@progbits,_ZN9rocsparseL37gebsr2csr_block_per_row_33_128_kernelILi1024ELi128ELi64ELi32ELi32EfEEv20rocsparse_direction_ii21rocsparse_index_base_PKT4_PKiS7_iiS2_PS3_PiS9_,comdat
.Lfunc_end47:
	.size	_ZN9rocsparseL37gebsr2csr_block_per_row_33_128_kernelILi1024ELi128ELi64ELi32ELi32EfEEv20rocsparse_direction_ii21rocsparse_index_base_PKT4_PKiS7_iiS2_PS3_PiS9_, .Lfunc_end47-_ZN9rocsparseL37gebsr2csr_block_per_row_33_128_kernelILi1024ELi128ELi64ELi32ELi32EfEEv20rocsparse_direction_ii21rocsparse_index_base_PKT4_PKiS7_iiS2_PS3_PiS9_
                                        ; -- End function
	.section	.AMDGPU.csdata,"",@progbits
; Kernel info:
; codeLenInByte = 2124
; NumSgprs: 44
; NumVgprs: 22
; NumAgprs: 0
; TotalNumVgprs: 22
; ScratchSize: 0
; MemoryBound: 0
; FloatMode: 240
; IeeeMode: 1
; LDSByteSize: 0 bytes/workgroup (compile time only)
; SGPRBlocks: 5
; VGPRBlocks: 2
; NumSGPRsForWavesPerEU: 44
; NumVGPRsForWavesPerEU: 22
; AccumOffset: 24
; Occupancy: 8
; WaveLimiterHint : 1
; COMPUTE_PGM_RSRC2:SCRATCH_EN: 0
; COMPUTE_PGM_RSRC2:USER_SGPR: 6
; COMPUTE_PGM_RSRC2:TRAP_HANDLER: 0
; COMPUTE_PGM_RSRC2:TGID_X_EN: 1
; COMPUTE_PGM_RSRC2:TGID_Y_EN: 0
; COMPUTE_PGM_RSRC2:TGID_Z_EN: 0
; COMPUTE_PGM_RSRC2:TIDIG_COMP_CNT: 0
; COMPUTE_PGM_RSRC3_GFX90A:ACCUM_OFFSET: 5
; COMPUTE_PGM_RSRC3_GFX90A:TG_SPLIT: 0
	.section	.text._ZN9rocsparseL37gebsr2csr_block_per_row_33_128_kernelILi1024ELi128ELi128ELi32ELi32EfEEv20rocsparse_direction_ii21rocsparse_index_base_PKT4_PKiS7_iiS2_PS3_PiS9_,"axG",@progbits,_ZN9rocsparseL37gebsr2csr_block_per_row_33_128_kernelILi1024ELi128ELi128ELi32ELi32EfEEv20rocsparse_direction_ii21rocsparse_index_base_PKT4_PKiS7_iiS2_PS3_PiS9_,comdat
	.globl	_ZN9rocsparseL37gebsr2csr_block_per_row_33_128_kernelILi1024ELi128ELi128ELi32ELi32EfEEv20rocsparse_direction_ii21rocsparse_index_base_PKT4_PKiS7_iiS2_PS3_PiS9_ ; -- Begin function _ZN9rocsparseL37gebsr2csr_block_per_row_33_128_kernelILi1024ELi128ELi128ELi32ELi32EfEEv20rocsparse_direction_ii21rocsparse_index_base_PKT4_PKiS7_iiS2_PS3_PiS9_
	.p2align	8
	.type	_ZN9rocsparseL37gebsr2csr_block_per_row_33_128_kernelILi1024ELi128ELi128ELi32ELi32EfEEv20rocsparse_direction_ii21rocsparse_index_base_PKT4_PKiS7_iiS2_PS3_PiS9_,@function
_ZN9rocsparseL37gebsr2csr_block_per_row_33_128_kernelILi1024ELi128ELi128ELi32ELi32EfEEv20rocsparse_direction_ii21rocsparse_index_base_PKT4_PKiS7_iiS2_PS3_PiS9_: ; @_ZN9rocsparseL37gebsr2csr_block_per_row_33_128_kernelILi1024ELi128ELi128ELi32ELi32EfEEv20rocsparse_direction_ii21rocsparse_index_base_PKT4_PKiS7_iiS2_PS3_PiS9_
; %bb.0:
	s_load_dwordx2 s[0:1], s[4:5], 0x18
	s_load_dwordx4 s[16:19], s[4:5], 0x28
	s_load_dwordx2 s[2:3], s[4:5], 0x40
	s_ashr_i32 s7, s6, 31
	s_lshl_b64 s[8:9], s[6:7], 2
	s_waitcnt lgkmcnt(0)
	s_add_u32 s0, s0, s8
	s_addc_u32 s1, s1, s9
	s_load_dwordx2 s[50:51], s[0:1], 0x0
	v_or_b32_e32 v1, s6, v0
	v_cmp_eq_u32_e32 vcc, 0, v1
	s_and_saveexec_b64 s[0:1], vcc
	s_cbranch_execz .LBB48_2
; %bb.1:
	v_mov_b32_e32 v1, 0
	v_mov_b32_e32 v2, s18
	global_store_dword v1, v2, s[2:3]
.LBB48_2:
	s_or_b64 exec, exec, s[0:1]
	s_load_dword s19, s[4:5], 0xc
	v_lshrrev_b32_e32 v6, 5, v0
	s_mul_i32 s13, s6, s16
	s_waitcnt lgkmcnt(0)
	s_sub_i32 s20, s50, s19
	s_sub_i32 s33, s51, s19
	s_mul_i32 s21, s20, s17
	s_sub_i32 s12, s33, s20
	s_mul_i32 s0, s21, s16
	s_mul_i32 s14, s12, s17
	s_add_i32 s15, s0, s18
	s_add_i32 s15, s15, s14
	v_cmp_gt_i32_e64 s[0:1], s16, v6
	s_and_saveexec_b64 s[6:7], s[0:1]
	s_cbranch_execz .LBB48_4
; %bb.3:
	v_add_u32_e32 v2, s13, v6
	v_ashrrev_i32_e32 v3, 31, v2
	v_lshlrev_b64 v[2:3], 2, v[2:3]
	v_mul_lo_u32 v1, v6, s14
	v_mov_b32_e32 v4, s3
	v_add_co_u32_e32 v2, vcc, s2, v2
	v_add_u32_e32 v1, s15, v1
	v_addc_co_u32_e32 v3, vcc, v4, v3, vcc
	global_store_dword v[2:3], v1, off offset:4
.LBB48_4:
	s_or_b64 exec, exec, s[6:7]
	s_add_u32 s22, s2, 4
	v_or_b32_e32 v1, 32, v6
	s_addc_u32 s23, s3, 0
	v_cmp_gt_i32_e64 s[2:3], s16, v1
	s_and_saveexec_b64 s[6:7], s[2:3]
	s_cbranch_execz .LBB48_6
; %bb.5:
	s_ashr_i32 s8, s13, 31
	v_mov_b32_e32 v3, s8
	v_add_co_u32_e32 v2, vcc, s13, v6
	v_addc_co_u32_e32 v3, vcc, 0, v3, vcc
	v_lshlrev_b64 v[2:3], 2, v[2:3]
	v_mul_lo_u32 v1, v1, s14
	v_mov_b32_e32 v4, s23
	v_add_co_u32_e32 v2, vcc, s22, v2
	v_add_u32_e32 v1, s15, v1
	v_addc_co_u32_e32 v3, vcc, v4, v3, vcc
	global_store_dword v[2:3], v1, off offset:128
.LBB48_6:
	s_or_b64 exec, exec, s[6:7]
	v_or_b32_e32 v1, 64, v6
	v_cmp_gt_i32_e64 s[6:7], s16, v1
	s_and_saveexec_b64 s[8:9], s[6:7]
	s_cbranch_execz .LBB48_8
; %bb.7:
	s_ashr_i32 s10, s13, 31
	v_mov_b32_e32 v3, s10
	v_add_co_u32_e32 v2, vcc, s13, v6
	v_addc_co_u32_e32 v3, vcc, 0, v3, vcc
	v_lshlrev_b64 v[2:3], 2, v[2:3]
	v_mul_lo_u32 v1, v1, s14
	v_mov_b32_e32 v4, s23
	v_add_co_u32_e32 v2, vcc, s22, v2
	v_add_u32_e32 v1, s15, v1
	v_addc_co_u32_e32 v3, vcc, v4, v3, vcc
	global_store_dword v[2:3], v1, off offset:256
.LBB48_8:
	s_or_b64 exec, exec, s[8:9]
	v_or_b32_e32 v1, 0x60, v6
	v_cmp_gt_i32_e64 s[8:9], s16, v1
	s_and_saveexec_b64 s[10:11], s[8:9]
	s_cbranch_execz .LBB48_10
; %bb.9:
	v_mul_lo_u32 v1, v1, s14
	s_ashr_i32 s14, s13, 31
	v_mov_b32_e32 v3, s14
	v_add_co_u32_e32 v2, vcc, s13, v6
	v_addc_co_u32_e32 v3, vcc, 0, v3, vcc
	v_lshlrev_b64 v[2:3], 2, v[2:3]
	v_mov_b32_e32 v4, s23
	v_add_co_u32_e32 v2, vcc, s22, v2
	v_add_u32_e32 v1, s15, v1
	v_addc_co_u32_e32 v3, vcc, v4, v3, vcc
	global_store_dword v[2:3], v1, off offset:384
.LBB48_10:
	s_or_b64 exec, exec, s[10:11]
	s_cmp_lt_i32 s50, s51
	s_cbranch_scc0 .LBB48_45
; %bb.11:
	s_load_dwordx2 s[56:57], s[4:5], 0x20
	s_load_dwordx2 s[22:23], s[4:5], 0x38
	;; [unrolled: 1-line block ×3, first 2 shown]
	s_load_dword s10, s[4:5], 0x0
	s_load_dwordx2 s[26:27], s[4:5], 0x48
	v_and_b32_e32 v8, 31, v0
	v_or_b32_e32 v9, 32, v8
	v_or_b32_e32 v10, 64, v8
	;; [unrolled: 1-line block ×3, first 2 shown]
	s_waitcnt lgkmcnt(0)
	s_cmp_eq_u32 s10, 0
	v_mul_lo_u32 v16, v6, s12
	v_cmp_gt_i32_e64 s[4:5], s17, v8
	v_cmp_gt_i32_e64 s[10:11], s17, v9
	;; [unrolled: 1-line block ×4, first 2 shown]
	s_cselect_b64 vcc, -1, 0
	s_and_b64 s[28:29], s[0:1], s[4:5]
	s_and_b64 s[30:31], s[0:1], s[10:11]
	;; [unrolled: 1-line block ×16, first 2 shown]
	s_mul_i32 s14, s16, s20
	v_add_u32_e32 v0, s14, v6
	v_add_u32_e32 v1, 32, v0
	v_mul_lo_u32 v12, s17, v1
	v_add_u32_e32 v1, 64, v0
	v_add_u32_e32 v7, s21, v8
	v_mul_lo_u32 v13, s17, v1
	v_add_u32_e32 v1, 0x60, v0
	v_mul_lo_u32 v15, s17, v0
	;; [unrolled: 2-line block ×3, first 2 shown]
	v_mad_u64_u32 v[0:1], s[0:1], s16, v0, v[6:7]
	v_add_u32_e32 v1, 64, v7
	v_mad_u64_u32 v[2:3], s[0:1], s16, v1, v[6:7]
	v_add_u32_e32 v1, 32, v7
	v_mad_u64_u32 v[4:5], s[0:1], s16, v1, v[6:7]
	v_mad_u64_u32 v[6:7], s[0:1], s16, v7, v[6:7]
	v_add_u32_e32 v7, s14, v16
	v_lshl_add_u32 v1, s51, 5, v7
	s_lshl_b32 s0, s50, 5
	v_subrev_u32_e32 v1, s0, v1
	v_lshl_add_u32 v3, s51, 6, v7
	s_lshl_b32 s0, s50, 6
	v_subrev_u32_e32 v3, s0, v3
	s_mul_i32 s0, s51, 0x60
	v_add_u32_e32 v5, s0, v7
	s_mul_i32 s0, s50, 0x60
	s_ashr_i32 s21, s20, 31
	v_subrev_u32_e32 v5, s0, v5
	s_lshl_b64 s[0:1], s[20:21], 2
	s_add_u32 s14, s56, s0
	s_mul_i32 s52, s17, s16
	s_mov_b32 s53, 0
	s_movk_i32 s54, 0x60
	v_mul_lo_u32 v1, s17, v1
	v_mul_lo_u32 v3, s17, v3
	;; [unrolled: 1-line block ×4, first 2 shown]
	s_addc_u32 s15, s57, s1
	s_branch .LBB48_13
.LBB48_12:                              ;   in Loop: Header=BB48_13 Depth=1
	s_or_b64 exec, exec, s[50:51]
	s_add_i32 s20, s20, 1
	s_add_i32 s53, s53, s52
	s_add_u32 s14, s14, 4
	s_addc_u32 s15, s15, 0
	v_add_u32_e32 v12, s52, v12
	v_add_u32_e32 v13, s52, v13
	;; [unrolled: 1-line block ×7, first 2 shown]
	s_cmp_ge_i32 s20, s33
	v_add_u32_e32 v7, s17, v7
	s_cbranch_scc1 .LBB48_45
.LBB48_13:                              ; =>This Inner Loop Header: Depth=1
	s_load_dword s0, s[14:15], 0x0
	v_add_u32_e32 v20, s53, v6
	s_waitcnt lgkmcnt(0)
	s_sub_i32 s0, s0, s19
	s_mul_i32 s16, s0, s17
	s_add_i32 s16, s16, s18
	v_add_u32_e32 v16, s16, v8
	s_and_saveexec_b64 s[50:51], s[28:29]
	s_cbranch_execz .LBB48_15
; %bb.14:                               ;   in Loop: Header=BB48_13 Depth=1
	v_add_u32_e32 v17, v8, v15
	v_cndmask_b32_e32 v18, v20, v17, vcc
	v_ashrrev_i32_e32 v19, 31, v18
	v_lshlrev_b64 v[18:19], 2, v[18:19]
	v_mov_b32_e32 v17, s25
	v_add_co_u32_e64 v18, s[0:1], s24, v18
	v_addc_co_u32_e64 v19, s[0:1], v17, v19, s[0:1]
	global_load_dword v17, v[18:19], off
	v_add_u32_e32 v18, v8, v7
	v_ashrrev_i32_e32 v19, 31, v18
	v_lshlrev_b64 v[18:19], 2, v[18:19]
	v_mov_b32_e32 v21, s27
	v_add_co_u32_e64 v22, s[0:1], s26, v18
	v_addc_co_u32_e64 v23, s[0:1], v21, v19, s[0:1]
	v_mov_b32_e32 v21, s23
	v_add_co_u32_e64 v18, s[0:1], s22, v18
	v_addc_co_u32_e64 v19, s[0:1], v21, v19, s[0:1]
	global_store_dword v[22:23], v16, off
	s_waitcnt vmcnt(1)
	global_store_dword v[18:19], v17, off
.LBB48_15:                              ;   in Loop: Header=BB48_13 Depth=1
	s_or_b64 exec, exec, s[50:51]
	v_add_u32_e32 v17, s16, v9
	v_add_u32_e32 v21, s53, v4
	s_and_saveexec_b64 s[50:51], s[30:31]
	s_cbranch_execz .LBB48_17
; %bb.16:                               ;   in Loop: Header=BB48_13 Depth=1
	v_add3_u32 v18, v8, v15, 32
	v_cndmask_b32_e32 v18, v21, v18, vcc
	v_ashrrev_i32_e32 v19, 31, v18
	v_lshlrev_b64 v[18:19], 2, v[18:19]
	v_mov_b32_e32 v22, s25
	v_add_co_u32_e64 v18, s[0:1], s24, v18
	v_addc_co_u32_e64 v19, s[0:1], v22, v19, s[0:1]
	global_load_dword v24, v[18:19], off
	v_add3_u32 v18, v8, v7, 32
	v_ashrrev_i32_e32 v19, 31, v18
	v_lshlrev_b64 v[18:19], 2, v[18:19]
	v_mov_b32_e32 v23, s27
	v_add_co_u32_e64 v22, s[0:1], s26, v18
	v_addc_co_u32_e64 v23, s[0:1], v23, v19, s[0:1]
	global_store_dword v[22:23], v17, off
	v_mov_b32_e32 v22, s23
	v_add_co_u32_e64 v18, s[0:1], s22, v18
	v_addc_co_u32_e64 v19, s[0:1], v22, v19, s[0:1]
	s_waitcnt vmcnt(1)
	global_store_dword v[18:19], v24, off
.LBB48_17:                              ;   in Loop: Header=BB48_13 Depth=1
	s_or_b64 exec, exec, s[50:51]
	v_add_u32_e32 v18, s16, v10
	v_add_u32_e32 v22, s53, v2
	s_and_saveexec_b64 s[50:51], s[34:35]
	s_cbranch_execz .LBB48_19
; %bb.18:                               ;   in Loop: Header=BB48_13 Depth=1
	v_add3_u32 v19, v8, v15, 64
	v_cndmask_b32_e32 v24, v22, v19, vcc
	v_ashrrev_i32_e32 v25, 31, v24
	v_lshlrev_b64 v[24:25], 2, v[24:25]
	v_mov_b32_e32 v19, s25
	v_add_co_u32_e64 v24, s[0:1], s24, v24
	v_addc_co_u32_e64 v25, s[0:1], v19, v25, s[0:1]
	global_load_dword v19, v[24:25], off
	v_add3_u32 v24, v8, v7, 64
	v_ashrrev_i32_e32 v25, 31, v24
	v_lshlrev_b64 v[24:25], 2, v[24:25]
	v_mov_b32_e32 v23, s27
	v_add_co_u32_e64 v26, s[0:1], s26, v24
	v_addc_co_u32_e64 v27, s[0:1], v23, v25, s[0:1]
	v_mov_b32_e32 v23, s23
	v_add_co_u32_e64 v24, s[0:1], s22, v24
	v_addc_co_u32_e64 v25, s[0:1], v23, v25, s[0:1]
	global_store_dword v[26:27], v18, off
	s_waitcnt vmcnt(1)
	global_store_dword v[24:25], v19, off
.LBB48_19:                              ;   in Loop: Header=BB48_13 Depth=1
	s_or_b64 exec, exec, s[50:51]
	v_add_u32_e32 v19, s16, v11
	v_add_u32_e32 v23, s53, v0
	s_and_saveexec_b64 s[50:51], s[36:37]
	s_cbranch_execnz .LBB48_32
; %bb.20:                               ;   in Loop: Header=BB48_13 Depth=1
	s_or_b64 exec, exec, s[50:51]
	v_add_u32_e32 v24, v8, v12
	s_and_saveexec_b64 s[50:51], s[38:39]
	s_cbranch_execnz .LBB48_33
.LBB48_21:                              ;   in Loop: Header=BB48_13 Depth=1
	s_or_b64 exec, exec, s[50:51]
	s_and_saveexec_b64 s[50:51], s[40:41]
	s_cbranch_execnz .LBB48_34
.LBB48_22:                              ;   in Loop: Header=BB48_13 Depth=1
	s_or_b64 exec, exec, s[50:51]
	s_and_saveexec_b64 s[50:51], s[42:43]
	s_cbranch_execnz .LBB48_35
.LBB48_23:                              ;   in Loop: Header=BB48_13 Depth=1
	s_or_b64 exec, exec, s[50:51]
	s_and_saveexec_b64 s[50:51], s[2:3]
	s_cbranch_execnz .LBB48_36
.LBB48_24:                              ;   in Loop: Header=BB48_13 Depth=1
	s_or_b64 exec, exec, s[50:51]
	v_add_u32_e32 v24, v8, v13
	s_and_saveexec_b64 s[50:51], s[44:45]
	s_cbranch_execnz .LBB48_37
.LBB48_25:                              ;   in Loop: Header=BB48_13 Depth=1
	s_or_b64 exec, exec, s[50:51]
	s_and_saveexec_b64 s[50:51], s[46:47]
	s_cbranch_execnz .LBB48_38
.LBB48_26:                              ;   in Loop: Header=BB48_13 Depth=1
	s_or_b64 exec, exec, s[50:51]
	s_and_saveexec_b64 s[50:51], s[48:49]
	s_cbranch_execnz .LBB48_39
.LBB48_27:                              ;   in Loop: Header=BB48_13 Depth=1
	s_or_b64 exec, exec, s[50:51]
	s_and_saveexec_b64 s[50:51], s[6:7]
	s_cbranch_execnz .LBB48_40
.LBB48_28:                              ;   in Loop: Header=BB48_13 Depth=1
	s_or_b64 exec, exec, s[50:51]
	v_add_u32_e32 v24, v8, v14
	s_and_saveexec_b64 s[50:51], s[4:5]
	s_cbranch_execnz .LBB48_41
.LBB48_29:                              ;   in Loop: Header=BB48_13 Depth=1
	s_or_b64 exec, exec, s[50:51]
	s_and_saveexec_b64 s[50:51], s[10:11]
	s_cbranch_execnz .LBB48_42
.LBB48_30:                              ;   in Loop: Header=BB48_13 Depth=1
	s_or_b64 exec, exec, s[50:51]
	s_and_saveexec_b64 s[50:51], s[12:13]
	s_cbranch_execnz .LBB48_43
.LBB48_31:                              ;   in Loop: Header=BB48_13 Depth=1
	s_or_b64 exec, exec, s[50:51]
	s_and_saveexec_b64 s[50:51], s[8:9]
	s_cbranch_execz .LBB48_12
	s_branch .LBB48_44
.LBB48_32:                              ;   in Loop: Header=BB48_13 Depth=1
	v_add3_u32 v24, v8, v15, s54
	v_cndmask_b32_e32 v24, v23, v24, vcc
	v_ashrrev_i32_e32 v25, 31, v24
	v_lshlrev_b64 v[24:25], 2, v[24:25]
	v_mov_b32_e32 v26, s25
	v_add_co_u32_e64 v24, s[0:1], s24, v24
	v_addc_co_u32_e64 v25, s[0:1], v26, v25, s[0:1]
	global_load_dword v28, v[24:25], off
	v_add3_u32 v24, v8, v7, s54
	v_ashrrev_i32_e32 v25, 31, v24
	v_lshlrev_b64 v[24:25], 2, v[24:25]
	v_mov_b32_e32 v27, s27
	v_add_co_u32_e64 v26, s[0:1], s26, v24
	v_addc_co_u32_e64 v27, s[0:1], v27, v25, s[0:1]
	global_store_dword v[26:27], v19, off
	v_mov_b32_e32 v26, s23
	v_add_co_u32_e64 v24, s[0:1], s22, v24
	v_addc_co_u32_e64 v25, s[0:1], v26, v25, s[0:1]
	s_waitcnt vmcnt(1)
	global_store_dword v[24:25], v28, off
	s_or_b64 exec, exec, s[50:51]
	v_add_u32_e32 v24, v8, v12
	s_and_saveexec_b64 s[50:51], s[38:39]
	s_cbranch_execz .LBB48_21
.LBB48_33:                              ;   in Loop: Header=BB48_13 Depth=1
	v_add3_u32 v25, v6, s53, 32
	v_cndmask_b32_e32 v26, v25, v24, vcc
	v_ashrrev_i32_e32 v27, 31, v26
	v_lshlrev_b64 v[26:27], 2, v[26:27]
	v_mov_b32_e32 v25, s25
	v_add_co_u32_e64 v26, s[0:1], s24, v26
	v_addc_co_u32_e64 v27, s[0:1], v25, v27, s[0:1]
	global_load_dword v25, v[26:27], off
	v_add_u32_e32 v26, v8, v1
	v_ashrrev_i32_e32 v27, 31, v26
	v_lshlrev_b64 v[26:27], 2, v[26:27]
	v_mov_b32_e32 v29, s27
	v_add_co_u32_e64 v28, s[0:1], s26, v26
	v_addc_co_u32_e64 v29, s[0:1], v29, v27, s[0:1]
	global_store_dword v[28:29], v16, off
	v_mov_b32_e32 v28, s23
	v_add_co_u32_e64 v26, s[0:1], s22, v26
	v_addc_co_u32_e64 v27, s[0:1], v28, v27, s[0:1]
	s_waitcnt vmcnt(1)
	global_store_dword v[26:27], v25, off
	s_or_b64 exec, exec, s[50:51]
	s_and_saveexec_b64 s[50:51], s[40:41]
	s_cbranch_execz .LBB48_22
.LBB48_34:                              ;   in Loop: Header=BB48_13 Depth=1
	v_cndmask_b32_e32 v24, v21, v24, vcc
	v_add_u32_e32 v24, 32, v24
	v_ashrrev_i32_e32 v25, 31, v24
	v_lshlrev_b64 v[24:25], 2, v[24:25]
	v_mov_b32_e32 v26, s25
	v_add_co_u32_e64 v24, s[0:1], s24, v24
	v_addc_co_u32_e64 v25, s[0:1], v26, v25, s[0:1]
	global_load_dword v28, v[24:25], off
	v_add3_u32 v24, v8, v1, 32
	v_ashrrev_i32_e32 v25, 31, v24
	v_lshlrev_b64 v[24:25], 2, v[24:25]
	v_mov_b32_e32 v27, s27
	v_add_co_u32_e64 v26, s[0:1], s26, v24
	v_addc_co_u32_e64 v27, s[0:1], v27, v25, s[0:1]
	global_store_dword v[26:27], v17, off
	v_mov_b32_e32 v26, s23
	v_add_co_u32_e64 v24, s[0:1], s22, v24
	v_addc_co_u32_e64 v25, s[0:1], v26, v25, s[0:1]
	s_waitcnt vmcnt(1)
	global_store_dword v[24:25], v28, off
	s_or_b64 exec, exec, s[50:51]
	s_and_saveexec_b64 s[50:51], s[42:43]
	s_cbranch_execz .LBB48_23
.LBB48_35:                              ;   in Loop: Header=BB48_13 Depth=1
	v_add3_u32 v24, v8, v12, 64
	v_add3_u32 v25, v2, s53, 32
	v_cndmask_b32_e32 v24, v25, v24, vcc
	v_ashrrev_i32_e32 v25, 31, v24
	v_lshlrev_b64 v[24:25], 2, v[24:25]
	v_mov_b32_e32 v26, s25
	v_add_co_u32_e64 v24, s[0:1], s24, v24
	v_addc_co_u32_e64 v25, s[0:1], v26, v25, s[0:1]
	global_load_dword v28, v[24:25], off
	v_add3_u32 v24, v8, v1, 64
	v_ashrrev_i32_e32 v25, 31, v24
	v_lshlrev_b64 v[24:25], 2, v[24:25]
	v_mov_b32_e32 v27, s27
	v_add_co_u32_e64 v26, s[0:1], s26, v24
	v_addc_co_u32_e64 v27, s[0:1], v27, v25, s[0:1]
	global_store_dword v[26:27], v18, off
	v_mov_b32_e32 v26, s23
	v_add_co_u32_e64 v24, s[0:1], s22, v24
	v_addc_co_u32_e64 v25, s[0:1], v26, v25, s[0:1]
	s_waitcnt vmcnt(1)
	global_store_dword v[24:25], v28, off
	s_or_b64 exec, exec, s[50:51]
	s_and_saveexec_b64 s[50:51], s[2:3]
	s_cbranch_execz .LBB48_24
.LBB48_36:                              ;   in Loop: Header=BB48_13 Depth=1
	v_add3_u32 v24, v8, v12, s54
	v_add3_u32 v25, v0, s53, 32
	v_cndmask_b32_e32 v24, v25, v24, vcc
	v_ashrrev_i32_e32 v25, 31, v24
	v_lshlrev_b64 v[24:25], 2, v[24:25]
	v_mov_b32_e32 v26, s25
	v_add_co_u32_e64 v24, s[0:1], s24, v24
	v_addc_co_u32_e64 v25, s[0:1], v26, v25, s[0:1]
	global_load_dword v28, v[24:25], off
	v_add3_u32 v24, v8, v1, s54
	v_ashrrev_i32_e32 v25, 31, v24
	v_lshlrev_b64 v[24:25], 2, v[24:25]
	v_mov_b32_e32 v27, s27
	v_add_co_u32_e64 v26, s[0:1], s26, v24
	v_addc_co_u32_e64 v27, s[0:1], v27, v25, s[0:1]
	global_store_dword v[26:27], v19, off
	v_mov_b32_e32 v26, s23
	v_add_co_u32_e64 v24, s[0:1], s22, v24
	v_addc_co_u32_e64 v25, s[0:1], v26, v25, s[0:1]
	s_waitcnt vmcnt(1)
	global_store_dword v[24:25], v28, off
	s_or_b64 exec, exec, s[50:51]
	v_add_u32_e32 v24, v8, v13
	s_and_saveexec_b64 s[50:51], s[44:45]
	s_cbranch_execz .LBB48_25
.LBB48_37:                              ;   in Loop: Header=BB48_13 Depth=1
	v_add3_u32 v25, v6, s53, 64
	v_cndmask_b32_e32 v26, v25, v24, vcc
	v_ashrrev_i32_e32 v27, 31, v26
	v_lshlrev_b64 v[26:27], 2, v[26:27]
	v_mov_b32_e32 v25, s25
	v_add_co_u32_e64 v26, s[0:1], s24, v26
	v_addc_co_u32_e64 v27, s[0:1], v25, v27, s[0:1]
	global_load_dword v25, v[26:27], off
	v_add_u32_e32 v26, v8, v3
	v_ashrrev_i32_e32 v27, 31, v26
	v_lshlrev_b64 v[26:27], 2, v[26:27]
	v_mov_b32_e32 v29, s27
	v_add_co_u32_e64 v28, s[0:1], s26, v26
	v_addc_co_u32_e64 v29, s[0:1], v29, v27, s[0:1]
	global_store_dword v[28:29], v16, off
	v_mov_b32_e32 v28, s23
	v_add_co_u32_e64 v26, s[0:1], s22, v26
	v_addc_co_u32_e64 v27, s[0:1], v28, v27, s[0:1]
	s_waitcnt vmcnt(1)
	global_store_dword v[26:27], v25, off
	s_or_b64 exec, exec, s[50:51]
	s_and_saveexec_b64 s[50:51], s[46:47]
	s_cbranch_execz .LBB48_26
.LBB48_38:                              ;   in Loop: Header=BB48_13 Depth=1
	v_add3_u32 v25, v8, v13, 32
	v_add3_u32 v26, v4, s53, 64
	v_cndmask_b32_e32 v26, v26, v25, vcc
	v_ashrrev_i32_e32 v27, 31, v26
	v_lshlrev_b64 v[26:27], 2, v[26:27]
	v_mov_b32_e32 v25, s25
	v_add_co_u32_e64 v26, s[0:1], s24, v26
	v_addc_co_u32_e64 v27, s[0:1], v25, v27, s[0:1]
	global_load_dword v25, v[26:27], off
	v_add3_u32 v26, v8, v3, 32
	v_ashrrev_i32_e32 v27, 31, v26
	v_lshlrev_b64 v[26:27], 2, v[26:27]
	v_mov_b32_e32 v29, s27
	v_add_co_u32_e64 v28, s[0:1], s26, v26
	v_addc_co_u32_e64 v29, s[0:1], v29, v27, s[0:1]
	global_store_dword v[28:29], v17, off
	v_mov_b32_e32 v28, s23
	v_add_co_u32_e64 v26, s[0:1], s22, v26
	v_addc_co_u32_e64 v27, s[0:1], v28, v27, s[0:1]
	s_waitcnt vmcnt(1)
	global_store_dword v[26:27], v25, off
	s_or_b64 exec, exec, s[50:51]
	s_and_saveexec_b64 s[50:51], s[48:49]
	s_cbranch_execz .LBB48_27
.LBB48_39:                              ;   in Loop: Header=BB48_13 Depth=1
	v_cndmask_b32_e32 v24, v22, v24, vcc
	v_add_u32_e32 v24, 64, v24
	v_ashrrev_i32_e32 v25, 31, v24
	v_lshlrev_b64 v[24:25], 2, v[24:25]
	v_mov_b32_e32 v26, s25
	v_add_co_u32_e64 v24, s[0:1], s24, v24
	v_addc_co_u32_e64 v25, s[0:1], v26, v25, s[0:1]
	global_load_dword v28, v[24:25], off
	v_add3_u32 v24, v8, v3, 64
	v_ashrrev_i32_e32 v25, 31, v24
	v_lshlrev_b64 v[24:25], 2, v[24:25]
	v_mov_b32_e32 v27, s27
	v_add_co_u32_e64 v26, s[0:1], s26, v24
	v_addc_co_u32_e64 v27, s[0:1], v27, v25, s[0:1]
	global_store_dword v[26:27], v18, off
	v_mov_b32_e32 v26, s23
	v_add_co_u32_e64 v24, s[0:1], s22, v24
	v_addc_co_u32_e64 v25, s[0:1], v26, v25, s[0:1]
	s_waitcnt vmcnt(1)
	global_store_dword v[24:25], v28, off
	s_or_b64 exec, exec, s[50:51]
	s_and_saveexec_b64 s[50:51], s[6:7]
	s_cbranch_execz .LBB48_28
.LBB48_40:                              ;   in Loop: Header=BB48_13 Depth=1
	v_add3_u32 v24, v8, v13, s54
	v_add3_u32 v25, v0, s53, 64
	v_cndmask_b32_e32 v24, v25, v24, vcc
	v_ashrrev_i32_e32 v25, 31, v24
	v_lshlrev_b64 v[24:25], 2, v[24:25]
	v_mov_b32_e32 v26, s25
	v_add_co_u32_e64 v24, s[0:1], s24, v24
	v_addc_co_u32_e64 v25, s[0:1], v26, v25, s[0:1]
	global_load_dword v28, v[24:25], off
	v_add3_u32 v24, v8, v3, s54
	v_ashrrev_i32_e32 v25, 31, v24
	v_lshlrev_b64 v[24:25], 2, v[24:25]
	v_mov_b32_e32 v27, s27
	v_add_co_u32_e64 v26, s[0:1], s26, v24
	v_addc_co_u32_e64 v27, s[0:1], v27, v25, s[0:1]
	global_store_dword v[26:27], v19, off
	v_mov_b32_e32 v26, s23
	v_add_co_u32_e64 v24, s[0:1], s22, v24
	v_addc_co_u32_e64 v25, s[0:1], v26, v25, s[0:1]
	s_waitcnt vmcnt(1)
	global_store_dword v[24:25], v28, off
	s_or_b64 exec, exec, s[50:51]
	v_add_u32_e32 v24, v8, v14
	s_and_saveexec_b64 s[50:51], s[4:5]
	s_cbranch_execz .LBB48_29
.LBB48_41:                              ;   in Loop: Header=BB48_13 Depth=1
	v_add_u32_e32 v20, 0x60, v20
	v_cndmask_b32_e32 v26, v20, v24, vcc
	v_ashrrev_i32_e32 v27, 31, v26
	v_lshlrev_b64 v[26:27], 2, v[26:27]
	v_mov_b32_e32 v20, s25
	v_add_co_u32_e64 v26, s[0:1], s24, v26
	v_addc_co_u32_e64 v27, s[0:1], v20, v27, s[0:1]
	global_load_dword v20, v[26:27], off
	v_add_u32_e32 v26, v8, v5
	v_ashrrev_i32_e32 v27, 31, v26
	v_lshlrev_b64 v[26:27], 2, v[26:27]
	v_mov_b32_e32 v25, s27
	v_add_co_u32_e64 v28, s[0:1], s26, v26
	v_addc_co_u32_e64 v29, s[0:1], v25, v27, s[0:1]
	global_store_dword v[28:29], v16, off
	v_mov_b32_e32 v16, s23
	v_add_co_u32_e64 v26, s[0:1], s22, v26
	v_addc_co_u32_e64 v27, s[0:1], v16, v27, s[0:1]
	s_waitcnt vmcnt(1)
	global_store_dword v[26:27], v20, off
	s_or_b64 exec, exec, s[50:51]
	s_and_saveexec_b64 s[50:51], s[10:11]
	s_cbranch_execz .LBB48_30
.LBB48_42:                              ;   in Loop: Header=BB48_13 Depth=1
	v_add3_u32 v16, v8, v14, 32
	v_add_u32_e32 v20, 0x60, v21
	v_cndmask_b32_e32 v20, v20, v16, vcc
	v_ashrrev_i32_e32 v21, 31, v20
	v_lshlrev_b64 v[20:21], 2, v[20:21]
	v_mov_b32_e32 v16, s25
	v_add_co_u32_e64 v20, s[0:1], s24, v20
	v_addc_co_u32_e64 v21, s[0:1], v16, v21, s[0:1]
	global_load_dword v25, v[20:21], off
	v_add3_u32 v20, v8, v5, 32
	v_ashrrev_i32_e32 v21, 31, v20
	v_lshlrev_b64 v[20:21], 2, v[20:21]
	v_mov_b32_e32 v16, s27
	v_add_co_u32_e64 v26, s[0:1], s26, v20
	v_addc_co_u32_e64 v27, s[0:1], v16, v21, s[0:1]
	global_store_dword v[26:27], v17, off
	v_mov_b32_e32 v17, s23
	v_add_co_u32_e64 v16, s[0:1], s22, v20
	v_addc_co_u32_e64 v17, s[0:1], v17, v21, s[0:1]
	s_waitcnt vmcnt(1)
	global_store_dword v[16:17], v25, off
	s_or_b64 exec, exec, s[50:51]
	s_and_saveexec_b64 s[50:51], s[12:13]
	s_cbranch_execz .LBB48_31
.LBB48_43:                              ;   in Loop: Header=BB48_13 Depth=1
	v_add3_u32 v16, v8, v14, 64
	v_add_u32_e32 v17, 0x60, v22
	v_cndmask_b32_e32 v16, v17, v16, vcc
	v_ashrrev_i32_e32 v17, 31, v16
	v_lshlrev_b64 v[16:17], 2, v[16:17]
	v_mov_b32_e32 v20, s25
	v_add_co_u32_e64 v16, s[0:1], s24, v16
	v_addc_co_u32_e64 v17, s[0:1], v20, v17, s[0:1]
	global_load_dword v22, v[16:17], off
	v_add3_u32 v16, v8, v5, 64
	v_ashrrev_i32_e32 v17, 31, v16
	v_lshlrev_b64 v[16:17], 2, v[16:17]
	v_mov_b32_e32 v21, s27
	v_add_co_u32_e64 v20, s[0:1], s26, v16
	v_addc_co_u32_e64 v21, s[0:1], v21, v17, s[0:1]
	global_store_dword v[20:21], v18, off
	v_mov_b32_e32 v18, s23
	v_add_co_u32_e64 v16, s[0:1], s22, v16
	v_addc_co_u32_e64 v17, s[0:1], v18, v17, s[0:1]
	s_waitcnt vmcnt(1)
	global_store_dword v[16:17], v22, off
	s_or_b64 exec, exec, s[50:51]
	s_and_saveexec_b64 s[50:51], s[8:9]
	s_cbranch_execz .LBB48_12
.LBB48_44:                              ;   in Loop: Header=BB48_13 Depth=1
	v_cndmask_b32_e32 v16, v23, v24, vcc
	v_add_u32_e32 v16, 0x60, v16
	v_ashrrev_i32_e32 v17, 31, v16
	v_lshlrev_b64 v[16:17], 2, v[16:17]
	v_mov_b32_e32 v18, s25
	v_add_co_u32_e64 v16, s[0:1], s24, v16
	v_addc_co_u32_e64 v17, s[0:1], v18, v17, s[0:1]
	global_load_dword v18, v[16:17], off
	v_add3_u32 v16, v8, v5, s54
	v_ashrrev_i32_e32 v17, 31, v16
	v_lshlrev_b64 v[16:17], 2, v[16:17]
	v_mov_b32_e32 v21, s27
	v_add_co_u32_e64 v20, s[0:1], s26, v16
	v_addc_co_u32_e64 v21, s[0:1], v21, v17, s[0:1]
	global_store_dword v[20:21], v19, off
	v_mov_b32_e32 v19, s23
	v_add_co_u32_e64 v16, s[0:1], s22, v16
	v_addc_co_u32_e64 v17, s[0:1], v19, v17, s[0:1]
	s_waitcnt vmcnt(1)
	global_store_dword v[16:17], v18, off
	s_branch .LBB48_12
.LBB48_45:
	s_endpgm
	.section	.rodata,"a",@progbits
	.p2align	6, 0x0
	.amdhsa_kernel _ZN9rocsparseL37gebsr2csr_block_per_row_33_128_kernelILi1024ELi128ELi128ELi32ELi32EfEEv20rocsparse_direction_ii21rocsparse_index_base_PKT4_PKiS7_iiS2_PS3_PiS9_
		.amdhsa_group_segment_fixed_size 0
		.amdhsa_private_segment_fixed_size 0
		.amdhsa_kernarg_size 80
		.amdhsa_user_sgpr_count 6
		.amdhsa_user_sgpr_private_segment_buffer 1
		.amdhsa_user_sgpr_dispatch_ptr 0
		.amdhsa_user_sgpr_queue_ptr 0
		.amdhsa_user_sgpr_kernarg_segment_ptr 1
		.amdhsa_user_sgpr_dispatch_id 0
		.amdhsa_user_sgpr_flat_scratch_init 0
		.amdhsa_user_sgpr_kernarg_preload_length 0
		.amdhsa_user_sgpr_kernarg_preload_offset 0
		.amdhsa_user_sgpr_private_segment_size 0
		.amdhsa_uses_dynamic_stack 0
		.amdhsa_system_sgpr_private_segment_wavefront_offset 0
		.amdhsa_system_sgpr_workgroup_id_x 1
		.amdhsa_system_sgpr_workgroup_id_y 0
		.amdhsa_system_sgpr_workgroup_id_z 0
		.amdhsa_system_sgpr_workgroup_info 0
		.amdhsa_system_vgpr_workitem_id 0
		.amdhsa_next_free_vgpr 30
		.amdhsa_next_free_sgpr 58
		.amdhsa_accum_offset 32
		.amdhsa_reserve_vcc 1
		.amdhsa_reserve_flat_scratch 0
		.amdhsa_float_round_mode_32 0
		.amdhsa_float_round_mode_16_64 0
		.amdhsa_float_denorm_mode_32 3
		.amdhsa_float_denorm_mode_16_64 3
		.amdhsa_dx10_clamp 1
		.amdhsa_ieee_mode 1
		.amdhsa_fp16_overflow 0
		.amdhsa_tg_split 0
		.amdhsa_exception_fp_ieee_invalid_op 0
		.amdhsa_exception_fp_denorm_src 0
		.amdhsa_exception_fp_ieee_div_zero 0
		.amdhsa_exception_fp_ieee_overflow 0
		.amdhsa_exception_fp_ieee_underflow 0
		.amdhsa_exception_fp_ieee_inexact 0
		.amdhsa_exception_int_div_zero 0
	.end_amdhsa_kernel
	.section	.text._ZN9rocsparseL37gebsr2csr_block_per_row_33_128_kernelILi1024ELi128ELi128ELi32ELi32EfEEv20rocsparse_direction_ii21rocsparse_index_base_PKT4_PKiS7_iiS2_PS3_PiS9_,"axG",@progbits,_ZN9rocsparseL37gebsr2csr_block_per_row_33_128_kernelILi1024ELi128ELi128ELi32ELi32EfEEv20rocsparse_direction_ii21rocsparse_index_base_PKT4_PKiS7_iiS2_PS3_PiS9_,comdat
.Lfunc_end48:
	.size	_ZN9rocsparseL37gebsr2csr_block_per_row_33_128_kernelILi1024ELi128ELi128ELi32ELi32EfEEv20rocsparse_direction_ii21rocsparse_index_base_PKT4_PKiS7_iiS2_PS3_PiS9_, .Lfunc_end48-_ZN9rocsparseL37gebsr2csr_block_per_row_33_128_kernelILi1024ELi128ELi128ELi32ELi32EfEEv20rocsparse_direction_ii21rocsparse_index_base_PKT4_PKiS7_iiS2_PS3_PiS9_
                                        ; -- End function
	.section	.AMDGPU.csdata,"",@progbits
; Kernel info:
; codeLenInByte = 3492
; NumSgprs: 62
; NumVgprs: 30
; NumAgprs: 0
; TotalNumVgprs: 30
; ScratchSize: 0
; MemoryBound: 0
; FloatMode: 240
; IeeeMode: 1
; LDSByteSize: 0 bytes/workgroup (compile time only)
; SGPRBlocks: 7
; VGPRBlocks: 3
; NumSGPRsForWavesPerEU: 62
; NumVGPRsForWavesPerEU: 30
; AccumOffset: 32
; Occupancy: 8
; WaveLimiterHint : 1
; COMPUTE_PGM_RSRC2:SCRATCH_EN: 0
; COMPUTE_PGM_RSRC2:USER_SGPR: 6
; COMPUTE_PGM_RSRC2:TRAP_HANDLER: 0
; COMPUTE_PGM_RSRC2:TGID_X_EN: 1
; COMPUTE_PGM_RSRC2:TGID_Y_EN: 0
; COMPUTE_PGM_RSRC2:TGID_Z_EN: 0
; COMPUTE_PGM_RSRC2:TIDIG_COMP_CNT: 0
; COMPUTE_PGM_RSRC3_GFX90A:ACCUM_OFFSET: 7
; COMPUTE_PGM_RSRC3_GFX90A:TG_SPLIT: 0
	.section	.text._ZN9rocsparseL35gebsr2csr_block_per_row_1_32_kernelILi256ELi2ELi2EdEEv20rocsparse_direction_ii21rocsparse_index_base_PKT2_PKiS7_iiS2_PS3_PiS9_,"axG",@progbits,_ZN9rocsparseL35gebsr2csr_block_per_row_1_32_kernelILi256ELi2ELi2EdEEv20rocsparse_direction_ii21rocsparse_index_base_PKT2_PKiS7_iiS2_PS3_PiS9_,comdat
	.globl	_ZN9rocsparseL35gebsr2csr_block_per_row_1_32_kernelILi256ELi2ELi2EdEEv20rocsparse_direction_ii21rocsparse_index_base_PKT2_PKiS7_iiS2_PS3_PiS9_ ; -- Begin function _ZN9rocsparseL35gebsr2csr_block_per_row_1_32_kernelILi256ELi2ELi2EdEEv20rocsparse_direction_ii21rocsparse_index_base_PKT2_PKiS7_iiS2_PS3_PiS9_
	.p2align	8
	.type	_ZN9rocsparseL35gebsr2csr_block_per_row_1_32_kernelILi256ELi2ELi2EdEEv20rocsparse_direction_ii21rocsparse_index_base_PKT2_PKiS7_iiS2_PS3_PiS9_,@function
_ZN9rocsparseL35gebsr2csr_block_per_row_1_32_kernelILi256ELi2ELi2EdEEv20rocsparse_direction_ii21rocsparse_index_base_PKT2_PKiS7_iiS2_PS3_PiS9_: ; @_ZN9rocsparseL35gebsr2csr_block_per_row_1_32_kernelILi256ELi2ELi2EdEEv20rocsparse_direction_ii21rocsparse_index_base_PKT2_PKiS7_iiS2_PS3_PiS9_
; %bb.0:
	s_load_dwordx2 s[0:1], s[4:5], 0x18
	s_load_dwordx4 s[8:11], s[4:5], 0x28
	s_load_dwordx2 s[2:3], s[4:5], 0x40
	s_ashr_i32 s7, s6, 31
	s_lshl_b64 s[12:13], s[6:7], 2
	s_waitcnt lgkmcnt(0)
	s_add_u32 s12, s0, s12
	v_or_b32_e32 v1, s6, v0
	s_addc_u32 s13, s1, s13
	v_cmp_eq_u32_e32 vcc, 0, v1
	s_and_saveexec_b64 s[0:1], vcc
	s_cbranch_execz .LBB49_2
; %bb.1:
	v_mov_b32_e32 v1, 0
	v_mov_b32_e32 v2, s10
	global_store_dword v1, v2, s[2:3]
.LBB49_2:
	s_or_b64 exec, exec, s[0:1]
	v_and_b32_e32 v6, 1, v0
	v_bfe_u32 v8, v0, 1, 1
	v_cmp_gt_i32_e32 vcc, s8, v8
	v_cmp_gt_i32_e64 s[0:1], s9, v6
	s_and_b64 s[0:1], vcc, s[0:1]
	s_and_saveexec_b64 s[14:15], s[0:1]
	s_cbranch_execz .LBB49_6
; %bb.3:
	s_load_dwordx2 s[14:15], s[12:13], 0x0
	s_load_dword s11, s[4:5], 0xc
	s_mul_i32 s6, s6, s8
	v_add_u32_e32 v2, s6, v8
	s_mul_i32 s1, s9, s8
	v_ashrrev_i32_e32 v3, 31, v2
	s_waitcnt lgkmcnt(0)
	s_sub_i32 s0, s14, s11
	s_sub_i32 s14, s15, s11
	;; [unrolled: 1-line block ×3, first 2 shown]
	s_mul_i32 s12, s15, s9
	v_lshrrev_b32_e32 v1, 2, v0
	s_mul_i32 s7, s0, s1
	v_mul_lo_u32 v0, s12, v8
	s_add_i32 s12, s12, s10
	v_lshlrev_b64 v[2:3], 2, v[2:3]
	s_add_i32 s12, s12, s7
	v_mov_b32_e32 v4, s3
	v_add_co_u32_e32 v2, vcc, s2, v2
	v_add_u32_e32 v0, s12, v0
	v_addc_co_u32_e32 v3, vcc, v4, v3, vcc
	global_store_dword v[2:3], v0, off offset:4
	v_add_u32_e32 v0, s0, v1
	v_cmp_gt_i32_e32 vcc, s14, v0
	s_and_b64 exec, exec, vcc
	s_cbranch_execz .LBB49_6
; %bb.4:
	s_load_dwordx2 s[16:17], s[4:5], 0x20
	s_load_dwordx2 s[2:3], s[4:5], 0x38
	s_load_dword s18, s[4:5], 0x0
	s_load_dwordx2 s[6:7], s[4:5], 0x10
	s_load_dwordx2 s[12:13], s[4:5], 0x48
	v_mad_u64_u32 v[4:5], s[4:5], v6, s8, v[8:9]
	s_waitcnt lgkmcnt(0)
	s_cmp_eq_u32 s18, 0
	v_mad_u64_u32 v[10:11], s[4:5], v8, s9, v[6:7]
	s_cselect_b64 vcc, -1, 0
	s_mul_i32 s0, s8, s0
	v_mul_lo_u32 v3, s15, v8
	v_cndmask_b32_e32 v4, v4, v10, vcc
	v_add3_u32 v1, v1, s0, v3
	v_add_u32_e32 v2, s10, v6
	v_mad_u64_u32 v[4:5], s[4:5], s1, v0, v[4:5]
	s_lshl_b32 s10, s1, 6
	v_mad_u64_u32 v[6:7], s[0:1], s9, v1, v[6:7]
	v_ashrrev_i32_e32 v1, 31, v0
	v_lshlrev_b64 v[8:9], 2, v[0:1]
	v_mov_b32_e32 v1, s17
	v_add_co_u32_e32 v8, vcc, s16, v8
	s_lshl_b32 s8, s9, 6
	v_addc_co_u32_e32 v9, vcc, v1, v9, vcc
	s_mov_b64 s[4:5], 0
	v_mov_b32_e32 v1, s13
	v_mov_b32_e32 v3, s7
	v_mov_b32_e32 v10, s3
.LBB49_5:                               ; =>This Inner Loop Header: Depth=1
	v_ashrrev_i32_e32 v5, 31, v4
	global_load_dword v11, v[8:9], off
	v_lshlrev_b64 v[12:13], 3, v[4:5]
	v_add_co_u32_e32 v12, vcc, s6, v12
	v_addc_co_u32_e32 v13, vcc, v3, v13, vcc
	global_load_dwordx2 v[12:13], v[12:13], off
	v_ashrrev_i32_e32 v7, 31, v6
	v_lshlrev_b64 v[14:15], 2, v[6:7]
	v_add_co_u32_e32 v8, vcc, 0x100, v8
	v_add_co_u32_e64 v14, s[0:1], s12, v14
	v_add_u32_e32 v0, 64, v0
	v_lshlrev_b64 v[16:17], 3, v[6:7]
	v_addc_co_u32_e32 v9, vcc, 0, v9, vcc
	v_addc_co_u32_e64 v15, s[0:1], v1, v15, s[0:1]
	v_cmp_le_i32_e32 vcc, s14, v0
	v_add_co_u32_e64 v16, s[0:1], s2, v16
	v_add_u32_e32 v4, s10, v4
	v_add_u32_e32 v6, s8, v6
	v_addc_co_u32_e64 v17, s[0:1], v10, v17, s[0:1]
	s_or_b64 s[4:5], vcc, s[4:5]
	s_waitcnt vmcnt(1)
	v_subrev_u32_e32 v5, s11, v11
	v_mad_u64_u32 v[18:19], s[0:1], v5, s9, v[2:3]
	global_store_dword v[14:15], v18, off
	s_waitcnt vmcnt(1)
	global_store_dwordx2 v[16:17], v[12:13], off
	s_andn2_b64 exec, exec, s[4:5]
	s_cbranch_execnz .LBB49_5
.LBB49_6:
	s_endpgm
	.section	.rodata,"a",@progbits
	.p2align	6, 0x0
	.amdhsa_kernel _ZN9rocsparseL35gebsr2csr_block_per_row_1_32_kernelILi256ELi2ELi2EdEEv20rocsparse_direction_ii21rocsparse_index_base_PKT2_PKiS7_iiS2_PS3_PiS9_
		.amdhsa_group_segment_fixed_size 0
		.amdhsa_private_segment_fixed_size 0
		.amdhsa_kernarg_size 80
		.amdhsa_user_sgpr_count 6
		.amdhsa_user_sgpr_private_segment_buffer 1
		.amdhsa_user_sgpr_dispatch_ptr 0
		.amdhsa_user_sgpr_queue_ptr 0
		.amdhsa_user_sgpr_kernarg_segment_ptr 1
		.amdhsa_user_sgpr_dispatch_id 0
		.amdhsa_user_sgpr_flat_scratch_init 0
		.amdhsa_user_sgpr_kernarg_preload_length 0
		.amdhsa_user_sgpr_kernarg_preload_offset 0
		.amdhsa_user_sgpr_private_segment_size 0
		.amdhsa_uses_dynamic_stack 0
		.amdhsa_system_sgpr_private_segment_wavefront_offset 0
		.amdhsa_system_sgpr_workgroup_id_x 1
		.amdhsa_system_sgpr_workgroup_id_y 0
		.amdhsa_system_sgpr_workgroup_id_z 0
		.amdhsa_system_sgpr_workgroup_info 0
		.amdhsa_system_vgpr_workitem_id 0
		.amdhsa_next_free_vgpr 20
		.amdhsa_next_free_sgpr 19
		.amdhsa_accum_offset 20
		.amdhsa_reserve_vcc 1
		.amdhsa_reserve_flat_scratch 0
		.amdhsa_float_round_mode_32 0
		.amdhsa_float_round_mode_16_64 0
		.amdhsa_float_denorm_mode_32 3
		.amdhsa_float_denorm_mode_16_64 3
		.amdhsa_dx10_clamp 1
		.amdhsa_ieee_mode 1
		.amdhsa_fp16_overflow 0
		.amdhsa_tg_split 0
		.amdhsa_exception_fp_ieee_invalid_op 0
		.amdhsa_exception_fp_denorm_src 0
		.amdhsa_exception_fp_ieee_div_zero 0
		.amdhsa_exception_fp_ieee_overflow 0
		.amdhsa_exception_fp_ieee_underflow 0
		.amdhsa_exception_fp_ieee_inexact 0
		.amdhsa_exception_int_div_zero 0
	.end_amdhsa_kernel
	.section	.text._ZN9rocsparseL35gebsr2csr_block_per_row_1_32_kernelILi256ELi2ELi2EdEEv20rocsparse_direction_ii21rocsparse_index_base_PKT2_PKiS7_iiS2_PS3_PiS9_,"axG",@progbits,_ZN9rocsparseL35gebsr2csr_block_per_row_1_32_kernelILi256ELi2ELi2EdEEv20rocsparse_direction_ii21rocsparse_index_base_PKT2_PKiS7_iiS2_PS3_PiS9_,comdat
.Lfunc_end49:
	.size	_ZN9rocsparseL35gebsr2csr_block_per_row_1_32_kernelILi256ELi2ELi2EdEEv20rocsparse_direction_ii21rocsparse_index_base_PKT2_PKiS7_iiS2_PS3_PiS9_, .Lfunc_end49-_ZN9rocsparseL35gebsr2csr_block_per_row_1_32_kernelILi256ELi2ELi2EdEEv20rocsparse_direction_ii21rocsparse_index_base_PKT2_PKiS7_iiS2_PS3_PiS9_
                                        ; -- End function
	.section	.AMDGPU.csdata,"",@progbits
; Kernel info:
; codeLenInByte = 568
; NumSgprs: 23
; NumVgprs: 20
; NumAgprs: 0
; TotalNumVgprs: 20
; ScratchSize: 0
; MemoryBound: 0
; FloatMode: 240
; IeeeMode: 1
; LDSByteSize: 0 bytes/workgroup (compile time only)
; SGPRBlocks: 2
; VGPRBlocks: 2
; NumSGPRsForWavesPerEU: 23
; NumVGPRsForWavesPerEU: 20
; AccumOffset: 20
; Occupancy: 8
; WaveLimiterHint : 0
; COMPUTE_PGM_RSRC2:SCRATCH_EN: 0
; COMPUTE_PGM_RSRC2:USER_SGPR: 6
; COMPUTE_PGM_RSRC2:TRAP_HANDLER: 0
; COMPUTE_PGM_RSRC2:TGID_X_EN: 1
; COMPUTE_PGM_RSRC2:TGID_Y_EN: 0
; COMPUTE_PGM_RSRC2:TGID_Z_EN: 0
; COMPUTE_PGM_RSRC2:TIDIG_COMP_CNT: 0
; COMPUTE_PGM_RSRC3_GFX90A:ACCUM_OFFSET: 4
; COMPUTE_PGM_RSRC3_GFX90A:TG_SPLIT: 0
	.section	.text._ZN9rocsparseL35gebsr2csr_block_per_row_1_32_kernelILi256ELi2ELi4EdEEv20rocsparse_direction_ii21rocsparse_index_base_PKT2_PKiS7_iiS2_PS3_PiS9_,"axG",@progbits,_ZN9rocsparseL35gebsr2csr_block_per_row_1_32_kernelILi256ELi2ELi4EdEEv20rocsparse_direction_ii21rocsparse_index_base_PKT2_PKiS7_iiS2_PS3_PiS9_,comdat
	.globl	_ZN9rocsparseL35gebsr2csr_block_per_row_1_32_kernelILi256ELi2ELi4EdEEv20rocsparse_direction_ii21rocsparse_index_base_PKT2_PKiS7_iiS2_PS3_PiS9_ ; -- Begin function _ZN9rocsparseL35gebsr2csr_block_per_row_1_32_kernelILi256ELi2ELi4EdEEv20rocsparse_direction_ii21rocsparse_index_base_PKT2_PKiS7_iiS2_PS3_PiS9_
	.p2align	8
	.type	_ZN9rocsparseL35gebsr2csr_block_per_row_1_32_kernelILi256ELi2ELi4EdEEv20rocsparse_direction_ii21rocsparse_index_base_PKT2_PKiS7_iiS2_PS3_PiS9_,@function
_ZN9rocsparseL35gebsr2csr_block_per_row_1_32_kernelILi256ELi2ELi4EdEEv20rocsparse_direction_ii21rocsparse_index_base_PKT2_PKiS7_iiS2_PS3_PiS9_: ; @_ZN9rocsparseL35gebsr2csr_block_per_row_1_32_kernelILi256ELi2ELi4EdEEv20rocsparse_direction_ii21rocsparse_index_base_PKT2_PKiS7_iiS2_PS3_PiS9_
; %bb.0:
	s_load_dwordx2 s[0:1], s[4:5], 0x18
	s_load_dwordx4 s[8:11], s[4:5], 0x28
	s_load_dwordx2 s[2:3], s[4:5], 0x40
	s_ashr_i32 s7, s6, 31
	s_lshl_b64 s[12:13], s[6:7], 2
	s_waitcnt lgkmcnt(0)
	s_add_u32 s12, s0, s12
	v_or_b32_e32 v1, s6, v0
	s_addc_u32 s13, s1, s13
	v_cmp_eq_u32_e32 vcc, 0, v1
	s_and_saveexec_b64 s[0:1], vcc
	s_cbranch_execz .LBB50_2
; %bb.1:
	v_mov_b32_e32 v1, 0
	v_mov_b32_e32 v2, s10
	global_store_dword v1, v2, s[2:3]
.LBB50_2:
	s_or_b64 exec, exec, s[0:1]
	v_and_b32_e32 v6, 3, v0
	v_bfe_u32 v8, v0, 2, 1
	v_cmp_gt_i32_e32 vcc, s8, v8
	v_cmp_gt_i32_e64 s[0:1], s9, v6
	s_and_b64 s[0:1], vcc, s[0:1]
	s_and_saveexec_b64 s[14:15], s[0:1]
	s_cbranch_execz .LBB50_6
; %bb.3:
	s_load_dwordx2 s[14:15], s[12:13], 0x0
	s_load_dword s11, s[4:5], 0xc
	s_mul_i32 s6, s6, s8
	v_add_u32_e32 v2, s6, v8
	s_mul_i32 s1, s9, s8
	v_ashrrev_i32_e32 v3, 31, v2
	s_waitcnt lgkmcnt(0)
	s_sub_i32 s0, s14, s11
	s_sub_i32 s14, s15, s11
	;; [unrolled: 1-line block ×3, first 2 shown]
	s_mul_i32 s12, s15, s9
	v_lshrrev_b32_e32 v1, 3, v0
	s_mul_i32 s7, s0, s1
	v_mul_lo_u32 v0, s12, v8
	s_add_i32 s12, s12, s10
	v_lshlrev_b64 v[2:3], 2, v[2:3]
	s_add_i32 s12, s12, s7
	v_mov_b32_e32 v4, s3
	v_add_co_u32_e32 v2, vcc, s2, v2
	v_add_u32_e32 v0, s12, v0
	v_addc_co_u32_e32 v3, vcc, v4, v3, vcc
	global_store_dword v[2:3], v0, off offset:4
	v_add_u32_e32 v0, s0, v1
	v_cmp_gt_i32_e32 vcc, s14, v0
	s_and_b64 exec, exec, vcc
	s_cbranch_execz .LBB50_6
; %bb.4:
	s_load_dwordx2 s[16:17], s[4:5], 0x20
	s_load_dwordx2 s[2:3], s[4:5], 0x38
	s_load_dword s18, s[4:5], 0x0
	s_load_dwordx2 s[6:7], s[4:5], 0x10
	s_load_dwordx2 s[12:13], s[4:5], 0x48
	v_mad_u64_u32 v[4:5], s[4:5], v6, s8, v[8:9]
	s_waitcnt lgkmcnt(0)
	s_cmp_eq_u32 s18, 0
	v_mad_u64_u32 v[10:11], s[4:5], v8, s9, v[6:7]
	s_cselect_b64 vcc, -1, 0
	s_mul_i32 s0, s8, s0
	v_mul_lo_u32 v3, s15, v8
	v_cndmask_b32_e32 v4, v4, v10, vcc
	v_add3_u32 v1, v1, s0, v3
	v_add_u32_e32 v2, s10, v6
	v_mad_u64_u32 v[4:5], s[4:5], s1, v0, v[4:5]
	s_lshl_b32 s10, s1, 5
	v_mad_u64_u32 v[6:7], s[0:1], s9, v1, v[6:7]
	v_ashrrev_i32_e32 v1, 31, v0
	v_lshlrev_b64 v[8:9], 2, v[0:1]
	v_mov_b32_e32 v1, s17
	v_add_co_u32_e32 v8, vcc, s16, v8
	s_lshl_b32 s8, s9, 5
	v_addc_co_u32_e32 v9, vcc, v1, v9, vcc
	s_mov_b64 s[4:5], 0
	v_mov_b32_e32 v1, s13
	v_mov_b32_e32 v3, s7
	;; [unrolled: 1-line block ×3, first 2 shown]
.LBB50_5:                               ; =>This Inner Loop Header: Depth=1
	v_ashrrev_i32_e32 v5, 31, v4
	global_load_dword v11, v[8:9], off
	v_lshlrev_b64 v[12:13], 3, v[4:5]
	v_add_co_u32_e32 v12, vcc, s6, v12
	v_addc_co_u32_e32 v13, vcc, v3, v13, vcc
	global_load_dwordx2 v[12:13], v[12:13], off
	v_ashrrev_i32_e32 v7, 31, v6
	v_lshlrev_b64 v[14:15], 2, v[6:7]
	v_add_co_u32_e32 v8, vcc, 0x80, v8
	v_add_co_u32_e64 v14, s[0:1], s12, v14
	v_add_u32_e32 v0, 32, v0
	v_lshlrev_b64 v[16:17], 3, v[6:7]
	v_addc_co_u32_e32 v9, vcc, 0, v9, vcc
	v_addc_co_u32_e64 v15, s[0:1], v1, v15, s[0:1]
	v_cmp_le_i32_e32 vcc, s14, v0
	v_add_co_u32_e64 v16, s[0:1], s2, v16
	v_add_u32_e32 v4, s10, v4
	v_add_u32_e32 v6, s8, v6
	v_addc_co_u32_e64 v17, s[0:1], v10, v17, s[0:1]
	s_or_b64 s[4:5], vcc, s[4:5]
	s_waitcnt vmcnt(1)
	v_subrev_u32_e32 v5, s11, v11
	v_mad_u64_u32 v[18:19], s[0:1], v5, s9, v[2:3]
	global_store_dword v[14:15], v18, off
	s_waitcnt vmcnt(1)
	global_store_dwordx2 v[16:17], v[12:13], off
	s_andn2_b64 exec, exec, s[4:5]
	s_cbranch_execnz .LBB50_5
.LBB50_6:
	s_endpgm
	.section	.rodata,"a",@progbits
	.p2align	6, 0x0
	.amdhsa_kernel _ZN9rocsparseL35gebsr2csr_block_per_row_1_32_kernelILi256ELi2ELi4EdEEv20rocsparse_direction_ii21rocsparse_index_base_PKT2_PKiS7_iiS2_PS3_PiS9_
		.amdhsa_group_segment_fixed_size 0
		.amdhsa_private_segment_fixed_size 0
		.amdhsa_kernarg_size 80
		.amdhsa_user_sgpr_count 6
		.amdhsa_user_sgpr_private_segment_buffer 1
		.amdhsa_user_sgpr_dispatch_ptr 0
		.amdhsa_user_sgpr_queue_ptr 0
		.amdhsa_user_sgpr_kernarg_segment_ptr 1
		.amdhsa_user_sgpr_dispatch_id 0
		.amdhsa_user_sgpr_flat_scratch_init 0
		.amdhsa_user_sgpr_kernarg_preload_length 0
		.amdhsa_user_sgpr_kernarg_preload_offset 0
		.amdhsa_user_sgpr_private_segment_size 0
		.amdhsa_uses_dynamic_stack 0
		.amdhsa_system_sgpr_private_segment_wavefront_offset 0
		.amdhsa_system_sgpr_workgroup_id_x 1
		.amdhsa_system_sgpr_workgroup_id_y 0
		.amdhsa_system_sgpr_workgroup_id_z 0
		.amdhsa_system_sgpr_workgroup_info 0
		.amdhsa_system_vgpr_workitem_id 0
		.amdhsa_next_free_vgpr 20
		.amdhsa_next_free_sgpr 19
		.amdhsa_accum_offset 20
		.amdhsa_reserve_vcc 1
		.amdhsa_reserve_flat_scratch 0
		.amdhsa_float_round_mode_32 0
		.amdhsa_float_round_mode_16_64 0
		.amdhsa_float_denorm_mode_32 3
		.amdhsa_float_denorm_mode_16_64 3
		.amdhsa_dx10_clamp 1
		.amdhsa_ieee_mode 1
		.amdhsa_fp16_overflow 0
		.amdhsa_tg_split 0
		.amdhsa_exception_fp_ieee_invalid_op 0
		.amdhsa_exception_fp_denorm_src 0
		.amdhsa_exception_fp_ieee_div_zero 0
		.amdhsa_exception_fp_ieee_overflow 0
		.amdhsa_exception_fp_ieee_underflow 0
		.amdhsa_exception_fp_ieee_inexact 0
		.amdhsa_exception_int_div_zero 0
	.end_amdhsa_kernel
	.section	.text._ZN9rocsparseL35gebsr2csr_block_per_row_1_32_kernelILi256ELi2ELi4EdEEv20rocsparse_direction_ii21rocsparse_index_base_PKT2_PKiS7_iiS2_PS3_PiS9_,"axG",@progbits,_ZN9rocsparseL35gebsr2csr_block_per_row_1_32_kernelILi256ELi2ELi4EdEEv20rocsparse_direction_ii21rocsparse_index_base_PKT2_PKiS7_iiS2_PS3_PiS9_,comdat
.Lfunc_end50:
	.size	_ZN9rocsparseL35gebsr2csr_block_per_row_1_32_kernelILi256ELi2ELi4EdEEv20rocsparse_direction_ii21rocsparse_index_base_PKT2_PKiS7_iiS2_PS3_PiS9_, .Lfunc_end50-_ZN9rocsparseL35gebsr2csr_block_per_row_1_32_kernelILi256ELi2ELi4EdEEv20rocsparse_direction_ii21rocsparse_index_base_PKT2_PKiS7_iiS2_PS3_PiS9_
                                        ; -- End function
	.section	.AMDGPU.csdata,"",@progbits
; Kernel info:
; codeLenInByte = 568
; NumSgprs: 23
; NumVgprs: 20
; NumAgprs: 0
; TotalNumVgprs: 20
; ScratchSize: 0
; MemoryBound: 0
; FloatMode: 240
; IeeeMode: 1
; LDSByteSize: 0 bytes/workgroup (compile time only)
; SGPRBlocks: 2
; VGPRBlocks: 2
; NumSGPRsForWavesPerEU: 23
; NumVGPRsForWavesPerEU: 20
; AccumOffset: 20
; Occupancy: 8
; WaveLimiterHint : 0
; COMPUTE_PGM_RSRC2:SCRATCH_EN: 0
; COMPUTE_PGM_RSRC2:USER_SGPR: 6
; COMPUTE_PGM_RSRC2:TRAP_HANDLER: 0
; COMPUTE_PGM_RSRC2:TGID_X_EN: 1
; COMPUTE_PGM_RSRC2:TGID_Y_EN: 0
; COMPUTE_PGM_RSRC2:TGID_Z_EN: 0
; COMPUTE_PGM_RSRC2:TIDIG_COMP_CNT: 0
; COMPUTE_PGM_RSRC3_GFX90A:ACCUM_OFFSET: 4
; COMPUTE_PGM_RSRC3_GFX90A:TG_SPLIT: 0
	.section	.text._ZN9rocsparseL35gebsr2csr_block_per_row_1_32_kernelILi256ELi2ELi8EdEEv20rocsparse_direction_ii21rocsparse_index_base_PKT2_PKiS7_iiS2_PS3_PiS9_,"axG",@progbits,_ZN9rocsparseL35gebsr2csr_block_per_row_1_32_kernelILi256ELi2ELi8EdEEv20rocsparse_direction_ii21rocsparse_index_base_PKT2_PKiS7_iiS2_PS3_PiS9_,comdat
	.globl	_ZN9rocsparseL35gebsr2csr_block_per_row_1_32_kernelILi256ELi2ELi8EdEEv20rocsparse_direction_ii21rocsparse_index_base_PKT2_PKiS7_iiS2_PS3_PiS9_ ; -- Begin function _ZN9rocsparseL35gebsr2csr_block_per_row_1_32_kernelILi256ELi2ELi8EdEEv20rocsparse_direction_ii21rocsparse_index_base_PKT2_PKiS7_iiS2_PS3_PiS9_
	.p2align	8
	.type	_ZN9rocsparseL35gebsr2csr_block_per_row_1_32_kernelILi256ELi2ELi8EdEEv20rocsparse_direction_ii21rocsparse_index_base_PKT2_PKiS7_iiS2_PS3_PiS9_,@function
_ZN9rocsparseL35gebsr2csr_block_per_row_1_32_kernelILi256ELi2ELi8EdEEv20rocsparse_direction_ii21rocsparse_index_base_PKT2_PKiS7_iiS2_PS3_PiS9_: ; @_ZN9rocsparseL35gebsr2csr_block_per_row_1_32_kernelILi256ELi2ELi8EdEEv20rocsparse_direction_ii21rocsparse_index_base_PKT2_PKiS7_iiS2_PS3_PiS9_
; %bb.0:
	s_load_dwordx2 s[0:1], s[4:5], 0x18
	s_load_dwordx4 s[8:11], s[4:5], 0x28
	s_load_dwordx2 s[2:3], s[4:5], 0x40
	s_ashr_i32 s7, s6, 31
	s_lshl_b64 s[12:13], s[6:7], 2
	s_waitcnt lgkmcnt(0)
	s_add_u32 s12, s0, s12
	v_or_b32_e32 v1, s6, v0
	s_addc_u32 s13, s1, s13
	v_cmp_eq_u32_e32 vcc, 0, v1
	s_and_saveexec_b64 s[0:1], vcc
	s_cbranch_execz .LBB51_2
; %bb.1:
	v_mov_b32_e32 v1, 0
	v_mov_b32_e32 v2, s10
	global_store_dword v1, v2, s[2:3]
.LBB51_2:
	s_or_b64 exec, exec, s[0:1]
	v_and_b32_e32 v6, 7, v0
	v_bfe_u32 v8, v0, 3, 1
	v_cmp_gt_i32_e32 vcc, s8, v8
	v_cmp_gt_i32_e64 s[0:1], s9, v6
	s_and_b64 s[0:1], vcc, s[0:1]
	s_and_saveexec_b64 s[14:15], s[0:1]
	s_cbranch_execz .LBB51_6
; %bb.3:
	s_load_dwordx2 s[14:15], s[12:13], 0x0
	s_load_dword s11, s[4:5], 0xc
	s_mul_i32 s6, s6, s8
	v_add_u32_e32 v2, s6, v8
	s_mul_i32 s1, s9, s8
	v_ashrrev_i32_e32 v3, 31, v2
	s_waitcnt lgkmcnt(0)
	s_sub_i32 s0, s14, s11
	s_sub_i32 s14, s15, s11
	;; [unrolled: 1-line block ×3, first 2 shown]
	s_mul_i32 s12, s15, s9
	v_lshrrev_b32_e32 v1, 4, v0
	s_mul_i32 s7, s0, s1
	v_mul_lo_u32 v0, s12, v8
	s_add_i32 s12, s12, s10
	v_lshlrev_b64 v[2:3], 2, v[2:3]
	s_add_i32 s12, s12, s7
	v_mov_b32_e32 v4, s3
	v_add_co_u32_e32 v2, vcc, s2, v2
	v_add_u32_e32 v0, s12, v0
	v_addc_co_u32_e32 v3, vcc, v4, v3, vcc
	global_store_dword v[2:3], v0, off offset:4
	v_add_u32_e32 v0, s0, v1
	v_cmp_gt_i32_e32 vcc, s14, v0
	s_and_b64 exec, exec, vcc
	s_cbranch_execz .LBB51_6
; %bb.4:
	s_load_dwordx2 s[16:17], s[4:5], 0x20
	s_load_dwordx2 s[2:3], s[4:5], 0x38
	s_load_dword s18, s[4:5], 0x0
	s_load_dwordx2 s[6:7], s[4:5], 0x10
	s_load_dwordx2 s[12:13], s[4:5], 0x48
	v_mad_u64_u32 v[4:5], s[4:5], v6, s8, v[8:9]
	s_waitcnt lgkmcnt(0)
	s_cmp_eq_u32 s18, 0
	v_mad_u64_u32 v[10:11], s[4:5], v8, s9, v[6:7]
	s_cselect_b64 vcc, -1, 0
	s_mul_i32 s0, s8, s0
	v_mul_lo_u32 v3, s15, v8
	v_cndmask_b32_e32 v4, v4, v10, vcc
	v_add3_u32 v1, v1, s0, v3
	v_add_u32_e32 v2, s10, v6
	v_mad_u64_u32 v[4:5], s[4:5], s1, v0, v[4:5]
	s_lshl_b32 s10, s1, 4
	v_mad_u64_u32 v[6:7], s[0:1], s9, v1, v[6:7]
	v_ashrrev_i32_e32 v1, 31, v0
	v_lshlrev_b64 v[8:9], 2, v[0:1]
	v_mov_b32_e32 v1, s17
	v_add_co_u32_e32 v8, vcc, s16, v8
	s_lshl_b32 s8, s9, 4
	v_addc_co_u32_e32 v9, vcc, v1, v9, vcc
	s_mov_b64 s[4:5], 0
	v_mov_b32_e32 v1, s13
	v_mov_b32_e32 v3, s7
	;; [unrolled: 1-line block ×3, first 2 shown]
.LBB51_5:                               ; =>This Inner Loop Header: Depth=1
	v_ashrrev_i32_e32 v5, 31, v4
	global_load_dword v11, v[8:9], off
	v_lshlrev_b64 v[12:13], 3, v[4:5]
	v_add_co_u32_e32 v12, vcc, s6, v12
	v_addc_co_u32_e32 v13, vcc, v3, v13, vcc
	global_load_dwordx2 v[12:13], v[12:13], off
	v_ashrrev_i32_e32 v7, 31, v6
	v_lshlrev_b64 v[14:15], 2, v[6:7]
	v_add_co_u32_e32 v8, vcc, 64, v8
	v_add_co_u32_e64 v14, s[0:1], s12, v14
	v_add_u32_e32 v0, 16, v0
	v_addc_co_u32_e32 v9, vcc, 0, v9, vcc
	v_lshlrev_b64 v[16:17], 3, v[6:7]
	v_addc_co_u32_e64 v15, s[0:1], v1, v15, s[0:1]
	v_cmp_le_i32_e32 vcc, s14, v0
	v_add_co_u32_e64 v16, s[0:1], s2, v16
	v_add_u32_e32 v4, s10, v4
	v_add_u32_e32 v6, s8, v6
	v_addc_co_u32_e64 v17, s[0:1], v10, v17, s[0:1]
	s_or_b64 s[4:5], vcc, s[4:5]
	s_waitcnt vmcnt(1)
	v_subrev_u32_e32 v5, s11, v11
	v_mad_u64_u32 v[18:19], s[0:1], v5, s9, v[2:3]
	global_store_dword v[14:15], v18, off
	s_waitcnt vmcnt(1)
	global_store_dwordx2 v[16:17], v[12:13], off
	s_andn2_b64 exec, exec, s[4:5]
	s_cbranch_execnz .LBB51_5
.LBB51_6:
	s_endpgm
	.section	.rodata,"a",@progbits
	.p2align	6, 0x0
	.amdhsa_kernel _ZN9rocsparseL35gebsr2csr_block_per_row_1_32_kernelILi256ELi2ELi8EdEEv20rocsparse_direction_ii21rocsparse_index_base_PKT2_PKiS7_iiS2_PS3_PiS9_
		.amdhsa_group_segment_fixed_size 0
		.amdhsa_private_segment_fixed_size 0
		.amdhsa_kernarg_size 80
		.amdhsa_user_sgpr_count 6
		.amdhsa_user_sgpr_private_segment_buffer 1
		.amdhsa_user_sgpr_dispatch_ptr 0
		.amdhsa_user_sgpr_queue_ptr 0
		.amdhsa_user_sgpr_kernarg_segment_ptr 1
		.amdhsa_user_sgpr_dispatch_id 0
		.amdhsa_user_sgpr_flat_scratch_init 0
		.amdhsa_user_sgpr_kernarg_preload_length 0
		.amdhsa_user_sgpr_kernarg_preload_offset 0
		.amdhsa_user_sgpr_private_segment_size 0
		.amdhsa_uses_dynamic_stack 0
		.amdhsa_system_sgpr_private_segment_wavefront_offset 0
		.amdhsa_system_sgpr_workgroup_id_x 1
		.amdhsa_system_sgpr_workgroup_id_y 0
		.amdhsa_system_sgpr_workgroup_id_z 0
		.amdhsa_system_sgpr_workgroup_info 0
		.amdhsa_system_vgpr_workitem_id 0
		.amdhsa_next_free_vgpr 20
		.amdhsa_next_free_sgpr 19
		.amdhsa_accum_offset 20
		.amdhsa_reserve_vcc 1
		.amdhsa_reserve_flat_scratch 0
		.amdhsa_float_round_mode_32 0
		.amdhsa_float_round_mode_16_64 0
		.amdhsa_float_denorm_mode_32 3
		.amdhsa_float_denorm_mode_16_64 3
		.amdhsa_dx10_clamp 1
		.amdhsa_ieee_mode 1
		.amdhsa_fp16_overflow 0
		.amdhsa_tg_split 0
		.amdhsa_exception_fp_ieee_invalid_op 0
		.amdhsa_exception_fp_denorm_src 0
		.amdhsa_exception_fp_ieee_div_zero 0
		.amdhsa_exception_fp_ieee_overflow 0
		.amdhsa_exception_fp_ieee_underflow 0
		.amdhsa_exception_fp_ieee_inexact 0
		.amdhsa_exception_int_div_zero 0
	.end_amdhsa_kernel
	.section	.text._ZN9rocsparseL35gebsr2csr_block_per_row_1_32_kernelILi256ELi2ELi8EdEEv20rocsparse_direction_ii21rocsparse_index_base_PKT2_PKiS7_iiS2_PS3_PiS9_,"axG",@progbits,_ZN9rocsparseL35gebsr2csr_block_per_row_1_32_kernelILi256ELi2ELi8EdEEv20rocsparse_direction_ii21rocsparse_index_base_PKT2_PKiS7_iiS2_PS3_PiS9_,comdat
.Lfunc_end51:
	.size	_ZN9rocsparseL35gebsr2csr_block_per_row_1_32_kernelILi256ELi2ELi8EdEEv20rocsparse_direction_ii21rocsparse_index_base_PKT2_PKiS7_iiS2_PS3_PiS9_, .Lfunc_end51-_ZN9rocsparseL35gebsr2csr_block_per_row_1_32_kernelILi256ELi2ELi8EdEEv20rocsparse_direction_ii21rocsparse_index_base_PKT2_PKiS7_iiS2_PS3_PiS9_
                                        ; -- End function
	.section	.AMDGPU.csdata,"",@progbits
; Kernel info:
; codeLenInByte = 564
; NumSgprs: 23
; NumVgprs: 20
; NumAgprs: 0
; TotalNumVgprs: 20
; ScratchSize: 0
; MemoryBound: 0
; FloatMode: 240
; IeeeMode: 1
; LDSByteSize: 0 bytes/workgroup (compile time only)
; SGPRBlocks: 2
; VGPRBlocks: 2
; NumSGPRsForWavesPerEU: 23
; NumVGPRsForWavesPerEU: 20
; AccumOffset: 20
; Occupancy: 8
; WaveLimiterHint : 0
; COMPUTE_PGM_RSRC2:SCRATCH_EN: 0
; COMPUTE_PGM_RSRC2:USER_SGPR: 6
; COMPUTE_PGM_RSRC2:TRAP_HANDLER: 0
; COMPUTE_PGM_RSRC2:TGID_X_EN: 1
; COMPUTE_PGM_RSRC2:TGID_Y_EN: 0
; COMPUTE_PGM_RSRC2:TGID_Z_EN: 0
; COMPUTE_PGM_RSRC2:TIDIG_COMP_CNT: 0
; COMPUTE_PGM_RSRC3_GFX90A:ACCUM_OFFSET: 4
; COMPUTE_PGM_RSRC3_GFX90A:TG_SPLIT: 0
	.section	.text._ZN9rocsparseL35gebsr2csr_block_per_row_1_32_kernelILi256ELi2ELi16EdEEv20rocsparse_direction_ii21rocsparse_index_base_PKT2_PKiS7_iiS2_PS3_PiS9_,"axG",@progbits,_ZN9rocsparseL35gebsr2csr_block_per_row_1_32_kernelILi256ELi2ELi16EdEEv20rocsparse_direction_ii21rocsparse_index_base_PKT2_PKiS7_iiS2_PS3_PiS9_,comdat
	.globl	_ZN9rocsparseL35gebsr2csr_block_per_row_1_32_kernelILi256ELi2ELi16EdEEv20rocsparse_direction_ii21rocsparse_index_base_PKT2_PKiS7_iiS2_PS3_PiS9_ ; -- Begin function _ZN9rocsparseL35gebsr2csr_block_per_row_1_32_kernelILi256ELi2ELi16EdEEv20rocsparse_direction_ii21rocsparse_index_base_PKT2_PKiS7_iiS2_PS3_PiS9_
	.p2align	8
	.type	_ZN9rocsparseL35gebsr2csr_block_per_row_1_32_kernelILi256ELi2ELi16EdEEv20rocsparse_direction_ii21rocsparse_index_base_PKT2_PKiS7_iiS2_PS3_PiS9_,@function
_ZN9rocsparseL35gebsr2csr_block_per_row_1_32_kernelILi256ELi2ELi16EdEEv20rocsparse_direction_ii21rocsparse_index_base_PKT2_PKiS7_iiS2_PS3_PiS9_: ; @_ZN9rocsparseL35gebsr2csr_block_per_row_1_32_kernelILi256ELi2ELi16EdEEv20rocsparse_direction_ii21rocsparse_index_base_PKT2_PKiS7_iiS2_PS3_PiS9_
; %bb.0:
	s_load_dwordx2 s[0:1], s[4:5], 0x18
	s_load_dwordx4 s[8:11], s[4:5], 0x28
	s_load_dwordx2 s[2:3], s[4:5], 0x40
	s_ashr_i32 s7, s6, 31
	s_lshl_b64 s[12:13], s[6:7], 2
	s_waitcnt lgkmcnt(0)
	s_add_u32 s12, s0, s12
	v_or_b32_e32 v1, s6, v0
	s_addc_u32 s13, s1, s13
	v_cmp_eq_u32_e32 vcc, 0, v1
	s_and_saveexec_b64 s[0:1], vcc
	s_cbranch_execz .LBB52_2
; %bb.1:
	v_mov_b32_e32 v1, 0
	v_mov_b32_e32 v2, s10
	global_store_dword v1, v2, s[2:3]
.LBB52_2:
	s_or_b64 exec, exec, s[0:1]
	v_and_b32_e32 v6, 15, v0
	v_bfe_u32 v8, v0, 4, 1
	v_cmp_gt_i32_e32 vcc, s8, v8
	v_cmp_gt_i32_e64 s[0:1], s9, v6
	s_and_b64 s[0:1], vcc, s[0:1]
	s_and_saveexec_b64 s[14:15], s[0:1]
	s_cbranch_execz .LBB52_6
; %bb.3:
	s_load_dwordx2 s[14:15], s[12:13], 0x0
	s_load_dword s11, s[4:5], 0xc
	s_mul_i32 s6, s6, s8
	v_add_u32_e32 v2, s6, v8
	s_mul_i32 s1, s9, s8
	v_ashrrev_i32_e32 v3, 31, v2
	s_waitcnt lgkmcnt(0)
	s_sub_i32 s0, s14, s11
	s_sub_i32 s14, s15, s11
	;; [unrolled: 1-line block ×3, first 2 shown]
	s_mul_i32 s12, s15, s9
	v_lshrrev_b32_e32 v1, 5, v0
	s_mul_i32 s7, s0, s1
	v_mul_lo_u32 v0, s12, v8
	s_add_i32 s12, s12, s10
	v_lshlrev_b64 v[2:3], 2, v[2:3]
	s_add_i32 s12, s12, s7
	v_mov_b32_e32 v4, s3
	v_add_co_u32_e32 v2, vcc, s2, v2
	v_add_u32_e32 v0, s12, v0
	v_addc_co_u32_e32 v3, vcc, v4, v3, vcc
	global_store_dword v[2:3], v0, off offset:4
	v_add_u32_e32 v0, s0, v1
	v_cmp_gt_i32_e32 vcc, s14, v0
	s_and_b64 exec, exec, vcc
	s_cbranch_execz .LBB52_6
; %bb.4:
	s_load_dwordx2 s[16:17], s[4:5], 0x20
	s_load_dwordx2 s[2:3], s[4:5], 0x38
	s_load_dword s18, s[4:5], 0x0
	s_load_dwordx2 s[6:7], s[4:5], 0x10
	s_load_dwordx2 s[12:13], s[4:5], 0x48
	v_mad_u64_u32 v[4:5], s[4:5], v6, s8, v[8:9]
	s_waitcnt lgkmcnt(0)
	s_cmp_eq_u32 s18, 0
	v_mad_u64_u32 v[10:11], s[4:5], v8, s9, v[6:7]
	s_cselect_b64 vcc, -1, 0
	s_mul_i32 s0, s8, s0
	v_mul_lo_u32 v3, s15, v8
	v_cndmask_b32_e32 v4, v4, v10, vcc
	v_add3_u32 v1, v1, s0, v3
	v_add_u32_e32 v2, s10, v6
	v_mad_u64_u32 v[4:5], s[4:5], s1, v0, v[4:5]
	s_lshl_b32 s10, s1, 3
	v_mad_u64_u32 v[6:7], s[0:1], s9, v1, v[6:7]
	v_ashrrev_i32_e32 v1, 31, v0
	v_lshlrev_b64 v[8:9], 2, v[0:1]
	v_mov_b32_e32 v1, s17
	v_add_co_u32_e32 v8, vcc, s16, v8
	s_lshl_b32 s8, s9, 3
	v_addc_co_u32_e32 v9, vcc, v1, v9, vcc
	s_mov_b64 s[4:5], 0
	v_mov_b32_e32 v1, s13
	v_mov_b32_e32 v3, s7
	;; [unrolled: 1-line block ×3, first 2 shown]
.LBB52_5:                               ; =>This Inner Loop Header: Depth=1
	v_ashrrev_i32_e32 v5, 31, v4
	global_load_dword v11, v[8:9], off
	v_lshlrev_b64 v[12:13], 3, v[4:5]
	v_add_co_u32_e32 v12, vcc, s6, v12
	v_addc_co_u32_e32 v13, vcc, v3, v13, vcc
	global_load_dwordx2 v[12:13], v[12:13], off
	v_ashrrev_i32_e32 v7, 31, v6
	v_lshlrev_b64 v[14:15], 2, v[6:7]
	v_add_co_u32_e32 v8, vcc, 32, v8
	v_add_co_u32_e64 v14, s[0:1], s12, v14
	v_add_u32_e32 v0, 8, v0
	v_addc_co_u32_e32 v9, vcc, 0, v9, vcc
	v_lshlrev_b64 v[16:17], 3, v[6:7]
	v_addc_co_u32_e64 v15, s[0:1], v1, v15, s[0:1]
	v_cmp_le_i32_e32 vcc, s14, v0
	v_add_co_u32_e64 v16, s[0:1], s2, v16
	v_add_u32_e32 v4, s10, v4
	v_add_u32_e32 v6, s8, v6
	v_addc_co_u32_e64 v17, s[0:1], v10, v17, s[0:1]
	s_or_b64 s[4:5], vcc, s[4:5]
	s_waitcnt vmcnt(1)
	v_subrev_u32_e32 v5, s11, v11
	v_mad_u64_u32 v[18:19], s[0:1], v5, s9, v[2:3]
	global_store_dword v[14:15], v18, off
	s_waitcnt vmcnt(1)
	global_store_dwordx2 v[16:17], v[12:13], off
	s_andn2_b64 exec, exec, s[4:5]
	s_cbranch_execnz .LBB52_5
.LBB52_6:
	s_endpgm
	.section	.rodata,"a",@progbits
	.p2align	6, 0x0
	.amdhsa_kernel _ZN9rocsparseL35gebsr2csr_block_per_row_1_32_kernelILi256ELi2ELi16EdEEv20rocsparse_direction_ii21rocsparse_index_base_PKT2_PKiS7_iiS2_PS3_PiS9_
		.amdhsa_group_segment_fixed_size 0
		.amdhsa_private_segment_fixed_size 0
		.amdhsa_kernarg_size 80
		.amdhsa_user_sgpr_count 6
		.amdhsa_user_sgpr_private_segment_buffer 1
		.amdhsa_user_sgpr_dispatch_ptr 0
		.amdhsa_user_sgpr_queue_ptr 0
		.amdhsa_user_sgpr_kernarg_segment_ptr 1
		.amdhsa_user_sgpr_dispatch_id 0
		.amdhsa_user_sgpr_flat_scratch_init 0
		.amdhsa_user_sgpr_kernarg_preload_length 0
		.amdhsa_user_sgpr_kernarg_preload_offset 0
		.amdhsa_user_sgpr_private_segment_size 0
		.amdhsa_uses_dynamic_stack 0
		.amdhsa_system_sgpr_private_segment_wavefront_offset 0
		.amdhsa_system_sgpr_workgroup_id_x 1
		.amdhsa_system_sgpr_workgroup_id_y 0
		.amdhsa_system_sgpr_workgroup_id_z 0
		.amdhsa_system_sgpr_workgroup_info 0
		.amdhsa_system_vgpr_workitem_id 0
		.amdhsa_next_free_vgpr 20
		.amdhsa_next_free_sgpr 19
		.amdhsa_accum_offset 20
		.amdhsa_reserve_vcc 1
		.amdhsa_reserve_flat_scratch 0
		.amdhsa_float_round_mode_32 0
		.amdhsa_float_round_mode_16_64 0
		.amdhsa_float_denorm_mode_32 3
		.amdhsa_float_denorm_mode_16_64 3
		.amdhsa_dx10_clamp 1
		.amdhsa_ieee_mode 1
		.amdhsa_fp16_overflow 0
		.amdhsa_tg_split 0
		.amdhsa_exception_fp_ieee_invalid_op 0
		.amdhsa_exception_fp_denorm_src 0
		.amdhsa_exception_fp_ieee_div_zero 0
		.amdhsa_exception_fp_ieee_overflow 0
		.amdhsa_exception_fp_ieee_underflow 0
		.amdhsa_exception_fp_ieee_inexact 0
		.amdhsa_exception_int_div_zero 0
	.end_amdhsa_kernel
	.section	.text._ZN9rocsparseL35gebsr2csr_block_per_row_1_32_kernelILi256ELi2ELi16EdEEv20rocsparse_direction_ii21rocsparse_index_base_PKT2_PKiS7_iiS2_PS3_PiS9_,"axG",@progbits,_ZN9rocsparseL35gebsr2csr_block_per_row_1_32_kernelILi256ELi2ELi16EdEEv20rocsparse_direction_ii21rocsparse_index_base_PKT2_PKiS7_iiS2_PS3_PiS9_,comdat
.Lfunc_end52:
	.size	_ZN9rocsparseL35gebsr2csr_block_per_row_1_32_kernelILi256ELi2ELi16EdEEv20rocsparse_direction_ii21rocsparse_index_base_PKT2_PKiS7_iiS2_PS3_PiS9_, .Lfunc_end52-_ZN9rocsparseL35gebsr2csr_block_per_row_1_32_kernelILi256ELi2ELi16EdEEv20rocsparse_direction_ii21rocsparse_index_base_PKT2_PKiS7_iiS2_PS3_PiS9_
                                        ; -- End function
	.section	.AMDGPU.csdata,"",@progbits
; Kernel info:
; codeLenInByte = 564
; NumSgprs: 23
; NumVgprs: 20
; NumAgprs: 0
; TotalNumVgprs: 20
; ScratchSize: 0
; MemoryBound: 0
; FloatMode: 240
; IeeeMode: 1
; LDSByteSize: 0 bytes/workgroup (compile time only)
; SGPRBlocks: 2
; VGPRBlocks: 2
; NumSGPRsForWavesPerEU: 23
; NumVGPRsForWavesPerEU: 20
; AccumOffset: 20
; Occupancy: 8
; WaveLimiterHint : 0
; COMPUTE_PGM_RSRC2:SCRATCH_EN: 0
; COMPUTE_PGM_RSRC2:USER_SGPR: 6
; COMPUTE_PGM_RSRC2:TRAP_HANDLER: 0
; COMPUTE_PGM_RSRC2:TGID_X_EN: 1
; COMPUTE_PGM_RSRC2:TGID_Y_EN: 0
; COMPUTE_PGM_RSRC2:TGID_Z_EN: 0
; COMPUTE_PGM_RSRC2:TIDIG_COMP_CNT: 0
; COMPUTE_PGM_RSRC3_GFX90A:ACCUM_OFFSET: 4
; COMPUTE_PGM_RSRC3_GFX90A:TG_SPLIT: 0
	.section	.text._ZN9rocsparseL35gebsr2csr_block_per_row_1_32_kernelILi256ELi2ELi32EdEEv20rocsparse_direction_ii21rocsparse_index_base_PKT2_PKiS7_iiS2_PS3_PiS9_,"axG",@progbits,_ZN9rocsparseL35gebsr2csr_block_per_row_1_32_kernelILi256ELi2ELi32EdEEv20rocsparse_direction_ii21rocsparse_index_base_PKT2_PKiS7_iiS2_PS3_PiS9_,comdat
	.globl	_ZN9rocsparseL35gebsr2csr_block_per_row_1_32_kernelILi256ELi2ELi32EdEEv20rocsparse_direction_ii21rocsparse_index_base_PKT2_PKiS7_iiS2_PS3_PiS9_ ; -- Begin function _ZN9rocsparseL35gebsr2csr_block_per_row_1_32_kernelILi256ELi2ELi32EdEEv20rocsparse_direction_ii21rocsparse_index_base_PKT2_PKiS7_iiS2_PS3_PiS9_
	.p2align	8
	.type	_ZN9rocsparseL35gebsr2csr_block_per_row_1_32_kernelILi256ELi2ELi32EdEEv20rocsparse_direction_ii21rocsparse_index_base_PKT2_PKiS7_iiS2_PS3_PiS9_,@function
_ZN9rocsparseL35gebsr2csr_block_per_row_1_32_kernelILi256ELi2ELi32EdEEv20rocsparse_direction_ii21rocsparse_index_base_PKT2_PKiS7_iiS2_PS3_PiS9_: ; @_ZN9rocsparseL35gebsr2csr_block_per_row_1_32_kernelILi256ELi2ELi32EdEEv20rocsparse_direction_ii21rocsparse_index_base_PKT2_PKiS7_iiS2_PS3_PiS9_
; %bb.0:
	s_load_dwordx2 s[0:1], s[4:5], 0x18
	s_load_dwordx4 s[8:11], s[4:5], 0x28
	s_load_dwordx2 s[2:3], s[4:5], 0x40
	s_ashr_i32 s7, s6, 31
	s_lshl_b64 s[12:13], s[6:7], 2
	s_waitcnt lgkmcnt(0)
	s_add_u32 s12, s0, s12
	v_or_b32_e32 v1, s6, v0
	s_addc_u32 s13, s1, s13
	v_cmp_eq_u32_e32 vcc, 0, v1
	s_and_saveexec_b64 s[0:1], vcc
	s_cbranch_execz .LBB53_2
; %bb.1:
	v_mov_b32_e32 v1, 0
	v_mov_b32_e32 v2, s10
	global_store_dword v1, v2, s[2:3]
.LBB53_2:
	s_or_b64 exec, exec, s[0:1]
	v_and_b32_e32 v6, 31, v0
	v_bfe_u32 v8, v0, 5, 1
	v_cmp_gt_i32_e32 vcc, s8, v8
	v_cmp_gt_i32_e64 s[0:1], s9, v6
	s_and_b64 s[0:1], vcc, s[0:1]
	s_and_saveexec_b64 s[14:15], s[0:1]
	s_cbranch_execz .LBB53_6
; %bb.3:
	s_load_dwordx2 s[14:15], s[12:13], 0x0
	s_load_dword s11, s[4:5], 0xc
	s_mul_i32 s6, s6, s8
	v_add_u32_e32 v2, s6, v8
	s_mul_i32 s1, s9, s8
	v_ashrrev_i32_e32 v3, 31, v2
	s_waitcnt lgkmcnt(0)
	s_sub_i32 s0, s14, s11
	s_sub_i32 s14, s15, s11
	;; [unrolled: 1-line block ×3, first 2 shown]
	s_mul_i32 s12, s15, s9
	v_lshrrev_b32_e32 v1, 6, v0
	s_mul_i32 s7, s0, s1
	v_mul_lo_u32 v0, s12, v8
	s_add_i32 s12, s12, s10
	v_lshlrev_b64 v[2:3], 2, v[2:3]
	s_add_i32 s12, s12, s7
	v_mov_b32_e32 v4, s3
	v_add_co_u32_e32 v2, vcc, s2, v2
	v_add_u32_e32 v0, s12, v0
	v_addc_co_u32_e32 v3, vcc, v4, v3, vcc
	global_store_dword v[2:3], v0, off offset:4
	v_add_u32_e32 v0, s0, v1
	v_cmp_gt_i32_e32 vcc, s14, v0
	s_and_b64 exec, exec, vcc
	s_cbranch_execz .LBB53_6
; %bb.4:
	s_load_dwordx2 s[16:17], s[4:5], 0x20
	s_load_dwordx2 s[2:3], s[4:5], 0x38
	s_load_dword s18, s[4:5], 0x0
	s_load_dwordx2 s[6:7], s[4:5], 0x10
	s_load_dwordx2 s[12:13], s[4:5], 0x48
	v_mad_u64_u32 v[4:5], s[4:5], v6, s8, v[8:9]
	s_waitcnt lgkmcnt(0)
	s_cmp_eq_u32 s18, 0
	v_mad_u64_u32 v[10:11], s[4:5], v8, s9, v[6:7]
	s_cselect_b64 vcc, -1, 0
	s_mul_i32 s0, s8, s0
	v_mul_lo_u32 v3, s15, v8
	v_cndmask_b32_e32 v4, v4, v10, vcc
	v_add3_u32 v1, v1, s0, v3
	v_add_u32_e32 v2, s10, v6
	v_mad_u64_u32 v[4:5], s[4:5], s1, v0, v[4:5]
	s_lshl_b32 s10, s1, 2
	v_mad_u64_u32 v[6:7], s[0:1], s9, v1, v[6:7]
	v_ashrrev_i32_e32 v1, 31, v0
	v_lshlrev_b64 v[8:9], 2, v[0:1]
	v_mov_b32_e32 v1, s17
	v_add_co_u32_e32 v8, vcc, s16, v8
	s_lshl_b32 s8, s9, 2
	v_addc_co_u32_e32 v9, vcc, v1, v9, vcc
	s_mov_b64 s[4:5], 0
	v_mov_b32_e32 v1, s13
	v_mov_b32_e32 v3, s7
	v_mov_b32_e32 v10, s3
.LBB53_5:                               ; =>This Inner Loop Header: Depth=1
	v_ashrrev_i32_e32 v5, 31, v4
	global_load_dword v11, v[8:9], off
	v_lshlrev_b64 v[12:13], 3, v[4:5]
	v_add_co_u32_e32 v12, vcc, s6, v12
	v_addc_co_u32_e32 v13, vcc, v3, v13, vcc
	global_load_dwordx2 v[12:13], v[12:13], off
	v_ashrrev_i32_e32 v7, 31, v6
	v_lshlrev_b64 v[14:15], 2, v[6:7]
	v_add_co_u32_e32 v8, vcc, 16, v8
	v_add_co_u32_e64 v14, s[0:1], s12, v14
	v_add_u32_e32 v0, 4, v0
	v_addc_co_u32_e32 v9, vcc, 0, v9, vcc
	v_lshlrev_b64 v[16:17], 3, v[6:7]
	v_addc_co_u32_e64 v15, s[0:1], v1, v15, s[0:1]
	v_cmp_le_i32_e32 vcc, s14, v0
	v_add_co_u32_e64 v16, s[0:1], s2, v16
	v_add_u32_e32 v4, s10, v4
	v_add_u32_e32 v6, s8, v6
	v_addc_co_u32_e64 v17, s[0:1], v10, v17, s[0:1]
	s_or_b64 s[4:5], vcc, s[4:5]
	s_waitcnt vmcnt(1)
	v_subrev_u32_e32 v5, s11, v11
	v_mad_u64_u32 v[18:19], s[0:1], v5, s9, v[2:3]
	global_store_dword v[14:15], v18, off
	s_waitcnt vmcnt(1)
	global_store_dwordx2 v[16:17], v[12:13], off
	s_andn2_b64 exec, exec, s[4:5]
	s_cbranch_execnz .LBB53_5
.LBB53_6:
	s_endpgm
	.section	.rodata,"a",@progbits
	.p2align	6, 0x0
	.amdhsa_kernel _ZN9rocsparseL35gebsr2csr_block_per_row_1_32_kernelILi256ELi2ELi32EdEEv20rocsparse_direction_ii21rocsparse_index_base_PKT2_PKiS7_iiS2_PS3_PiS9_
		.amdhsa_group_segment_fixed_size 0
		.amdhsa_private_segment_fixed_size 0
		.amdhsa_kernarg_size 80
		.amdhsa_user_sgpr_count 6
		.amdhsa_user_sgpr_private_segment_buffer 1
		.amdhsa_user_sgpr_dispatch_ptr 0
		.amdhsa_user_sgpr_queue_ptr 0
		.amdhsa_user_sgpr_kernarg_segment_ptr 1
		.amdhsa_user_sgpr_dispatch_id 0
		.amdhsa_user_sgpr_flat_scratch_init 0
		.amdhsa_user_sgpr_kernarg_preload_length 0
		.amdhsa_user_sgpr_kernarg_preload_offset 0
		.amdhsa_user_sgpr_private_segment_size 0
		.amdhsa_uses_dynamic_stack 0
		.amdhsa_system_sgpr_private_segment_wavefront_offset 0
		.amdhsa_system_sgpr_workgroup_id_x 1
		.amdhsa_system_sgpr_workgroup_id_y 0
		.amdhsa_system_sgpr_workgroup_id_z 0
		.amdhsa_system_sgpr_workgroup_info 0
		.amdhsa_system_vgpr_workitem_id 0
		.amdhsa_next_free_vgpr 20
		.amdhsa_next_free_sgpr 19
		.amdhsa_accum_offset 20
		.amdhsa_reserve_vcc 1
		.amdhsa_reserve_flat_scratch 0
		.amdhsa_float_round_mode_32 0
		.amdhsa_float_round_mode_16_64 0
		.amdhsa_float_denorm_mode_32 3
		.amdhsa_float_denorm_mode_16_64 3
		.amdhsa_dx10_clamp 1
		.amdhsa_ieee_mode 1
		.amdhsa_fp16_overflow 0
		.amdhsa_tg_split 0
		.amdhsa_exception_fp_ieee_invalid_op 0
		.amdhsa_exception_fp_denorm_src 0
		.amdhsa_exception_fp_ieee_div_zero 0
		.amdhsa_exception_fp_ieee_overflow 0
		.amdhsa_exception_fp_ieee_underflow 0
		.amdhsa_exception_fp_ieee_inexact 0
		.amdhsa_exception_int_div_zero 0
	.end_amdhsa_kernel
	.section	.text._ZN9rocsparseL35gebsr2csr_block_per_row_1_32_kernelILi256ELi2ELi32EdEEv20rocsparse_direction_ii21rocsparse_index_base_PKT2_PKiS7_iiS2_PS3_PiS9_,"axG",@progbits,_ZN9rocsparseL35gebsr2csr_block_per_row_1_32_kernelILi256ELi2ELi32EdEEv20rocsparse_direction_ii21rocsparse_index_base_PKT2_PKiS7_iiS2_PS3_PiS9_,comdat
.Lfunc_end53:
	.size	_ZN9rocsparseL35gebsr2csr_block_per_row_1_32_kernelILi256ELi2ELi32EdEEv20rocsparse_direction_ii21rocsparse_index_base_PKT2_PKiS7_iiS2_PS3_PiS9_, .Lfunc_end53-_ZN9rocsparseL35gebsr2csr_block_per_row_1_32_kernelILi256ELi2ELi32EdEEv20rocsparse_direction_ii21rocsparse_index_base_PKT2_PKiS7_iiS2_PS3_PiS9_
                                        ; -- End function
	.section	.AMDGPU.csdata,"",@progbits
; Kernel info:
; codeLenInByte = 564
; NumSgprs: 23
; NumVgprs: 20
; NumAgprs: 0
; TotalNumVgprs: 20
; ScratchSize: 0
; MemoryBound: 0
; FloatMode: 240
; IeeeMode: 1
; LDSByteSize: 0 bytes/workgroup (compile time only)
; SGPRBlocks: 2
; VGPRBlocks: 2
; NumSGPRsForWavesPerEU: 23
; NumVGPRsForWavesPerEU: 20
; AccumOffset: 20
; Occupancy: 8
; WaveLimiterHint : 0
; COMPUTE_PGM_RSRC2:SCRATCH_EN: 0
; COMPUTE_PGM_RSRC2:USER_SGPR: 6
; COMPUTE_PGM_RSRC2:TRAP_HANDLER: 0
; COMPUTE_PGM_RSRC2:TGID_X_EN: 1
; COMPUTE_PGM_RSRC2:TGID_Y_EN: 0
; COMPUTE_PGM_RSRC2:TGID_Z_EN: 0
; COMPUTE_PGM_RSRC2:TIDIG_COMP_CNT: 0
; COMPUTE_PGM_RSRC3_GFX90A:ACCUM_OFFSET: 4
; COMPUTE_PGM_RSRC3_GFX90A:TG_SPLIT: 0
	.section	.text._ZN9rocsparseL37gebsr2csr_block_per_row_33_128_kernelILi256ELi2ELi64ELi2ELi32EdEEv20rocsparse_direction_ii21rocsparse_index_base_PKT4_PKiS7_iiS2_PS3_PiS9_,"axG",@progbits,_ZN9rocsparseL37gebsr2csr_block_per_row_33_128_kernelILi256ELi2ELi64ELi2ELi32EdEEv20rocsparse_direction_ii21rocsparse_index_base_PKT4_PKiS7_iiS2_PS3_PiS9_,comdat
	.globl	_ZN9rocsparseL37gebsr2csr_block_per_row_33_128_kernelILi256ELi2ELi64ELi2ELi32EdEEv20rocsparse_direction_ii21rocsparse_index_base_PKT4_PKiS7_iiS2_PS3_PiS9_ ; -- Begin function _ZN9rocsparseL37gebsr2csr_block_per_row_33_128_kernelILi256ELi2ELi64ELi2ELi32EdEEv20rocsparse_direction_ii21rocsparse_index_base_PKT4_PKiS7_iiS2_PS3_PiS9_
	.p2align	8
	.type	_ZN9rocsparseL37gebsr2csr_block_per_row_33_128_kernelILi256ELi2ELi64ELi2ELi32EdEEv20rocsparse_direction_ii21rocsparse_index_base_PKT4_PKiS7_iiS2_PS3_PiS9_,@function
_ZN9rocsparseL37gebsr2csr_block_per_row_33_128_kernelILi256ELi2ELi64ELi2ELi32EdEEv20rocsparse_direction_ii21rocsparse_index_base_PKT4_PKiS7_iiS2_PS3_PiS9_: ; @_ZN9rocsparseL37gebsr2csr_block_per_row_33_128_kernelILi256ELi2ELi64ELi2ELi32EdEEv20rocsparse_direction_ii21rocsparse_index_base_PKT4_PKiS7_iiS2_PS3_PiS9_
; %bb.0:
	s_load_dwordx2 s[0:1], s[4:5], 0x18
	s_load_dwordx4 s[8:11], s[4:5], 0x28
	s_load_dwordx2 s[2:3], s[4:5], 0x40
	s_ashr_i32 s7, s6, 31
	s_lshl_b64 s[12:13], s[6:7], 2
	s_waitcnt lgkmcnt(0)
	s_add_u32 s0, s0, s12
	s_addc_u32 s1, s1, s13
	s_load_dwordx2 s[14:15], s[0:1], 0x0
	v_or_b32_e32 v1, s6, v0
	v_cmp_eq_u32_e32 vcc, 0, v1
	s_and_saveexec_b64 s[0:1], vcc
	s_cbranch_execz .LBB54_2
; %bb.1:
	v_mov_b32_e32 v1, 0
	v_mov_b32_e32 v2, s10
	global_store_dword v1, v2, s[2:3]
.LBB54_2:
	s_or_b64 exec, exec, s[0:1]
	s_load_dword s11, s[4:5], 0xc
	v_lshrrev_b32_e32 v4, 5, v0
	v_cmp_gt_i32_e64 s[0:1], s8, v4
	s_mul_i32 s23, s9, s8
	s_waitcnt lgkmcnt(0)
	s_sub_i32 s12, s14, s11
	s_sub_i32 s22, s15, s11
	s_and_saveexec_b64 s[16:17], s[0:1]
	s_cbranch_execz .LBB54_4
; %bb.3:
	s_mul_i32 s6, s6, s8
	v_add_u32_e32 v2, s6, v4
	s_mul_i32 s7, s23, s12
	s_sub_i32 s13, s22, s12
	v_ashrrev_i32_e32 v3, 31, v2
	s_mul_i32 s13, s13, s9
	s_add_i32 s7, s7, s10
	v_lshlrev_b64 v[2:3], 2, v[2:3]
	v_mul_lo_u32 v1, s13, v4
	s_add_i32 s7, s7, s13
	v_mov_b32_e32 v5, s3
	v_add_co_u32_e32 v2, vcc, s2, v2
	v_add_u32_e32 v1, s7, v1
	v_addc_co_u32_e32 v3, vcc, v5, v3, vcc
	global_store_dword v[2:3], v1, off offset:4
.LBB54_4:
	s_or_b64 exec, exec, s[16:17]
	s_cmp_ge_i32 s14, s15
	s_cbranch_scc1 .LBB54_11
; %bb.5:
	s_load_dwordx2 s[18:19], s[4:5], 0x20
	s_load_dwordx2 s[6:7], s[4:5], 0x38
	;; [unrolled: 1-line block ×4, first 2 shown]
	s_load_dword s2, s[4:5], 0x0
	s_mul_i32 s13, s8, s12
	v_and_b32_e32 v0, 31, v0
	v_add_u32_e32 v1, s13, v4
	v_mad_u64_u32 v[2:3], s[4:5], s9, v1, v[0:1]
	s_mul_i32 s4, s9, s12
	s_sub_i32 s3, s22, s12
	v_add_u32_e32 v3, s4, v0
	v_mul_lo_u32 v6, s3, v4
	s_waitcnt lgkmcnt(0)
	s_cmp_eq_u32 s2, 0
	v_cmp_gt_i32_e64 s[2:3], s9, v0
	v_mad_u64_u32 v[8:9], s[4:5], s8, v3, v[4:5]
	v_or_b32_e32 v1, 32, v0
	s_cselect_b64 vcc, -1, 0
	s_and_b64 s[4:5], s[0:1], s[2:3]
	v_cmp_gt_i32_e64 s[2:3], s9, v1
	v_add_u32_e32 v3, 32, v3
	s_and_b64 s[2:3], s[0:1], s[2:3]
	v_mad_u64_u32 v[4:5], s[0:1], s8, v3, v[4:5]
	v_add_u32_e32 v3, s13, v6
	v_mad_u64_u32 v[6:7], s[0:1], s9, v3, v[0:1]
	s_ashr_i32 s13, s12, 31
	s_lshl_b64 s[0:1], s[12:13], 2
	s_add_u32 s18, s18, s0
	s_mov_b32 s24, 0
	s_addc_u32 s19, s19, s1
	v_cndmask_b32_e32 v3, v8, v2, vcc
	s_branch .LBB54_7
.LBB54_6:                               ;   in Loop: Header=BB54_7 Depth=1
	s_or_b64 exec, exec, s[20:21]
	s_add_i32 s12, s12, 1
	s_add_i32 s24, s24, s23
	s_add_u32 s18, s18, 4
	s_addc_u32 s19, s19, 0
	s_cmp_ge_i32 s12, s22
	v_add_u32_e32 v6, s9, v6
	s_cbranch_scc1 .LBB54_11
.LBB54_7:                               ; =>This Inner Loop Header: Depth=1
	s_load_dword s0, s[18:19], 0x0
	s_waitcnt lgkmcnt(0)
	s_sub_i32 s0, s0, s11
	s_mul_i32 s8, s0, s9
	s_add_i32 s8, s8, s10
	s_and_saveexec_b64 s[20:21], s[4:5]
	s_cbranch_execz .LBB54_9
; %bb.8:                                ;   in Loop: Header=BB54_7 Depth=1
	v_add_u32_e32 v8, s24, v3
	v_ashrrev_i32_e32 v9, 31, v8
	v_lshlrev_b64 v[8:9], 3, v[8:9]
	v_mov_b32_e32 v5, s17
	v_add_co_u32_e64 v8, s[0:1], s16, v8
	v_addc_co_u32_e64 v9, s[0:1], v5, v9, s[0:1]
	global_load_dwordx2 v[8:9], v[8:9], off
	v_ashrrev_i32_e32 v7, 31, v6
	v_lshlrev_b64 v[10:11], 2, v[6:7]
	v_mov_b32_e32 v12, s15
	v_add_co_u32_e64 v10, s[0:1], s14, v10
	v_add_u32_e32 v5, s8, v0
	v_addc_co_u32_e64 v11, s[0:1], v12, v11, s[0:1]
	global_store_dword v[10:11], v5, off
	v_lshlrev_b64 v[10:11], 3, v[6:7]
	v_mov_b32_e32 v5, s7
	v_add_co_u32_e64 v10, s[0:1], s6, v10
	v_addc_co_u32_e64 v11, s[0:1], v5, v11, s[0:1]
	s_waitcnt vmcnt(1)
	global_store_dwordx2 v[10:11], v[8:9], off
.LBB54_9:                               ;   in Loop: Header=BB54_7 Depth=1
	s_or_b64 exec, exec, s[20:21]
	s_and_saveexec_b64 s[20:21], s[2:3]
	s_cbranch_execz .LBB54_6
; %bb.10:                               ;   in Loop: Header=BB54_7 Depth=1
	v_add3_u32 v5, v2, s24, 32
	v_add_u32_e32 v7, s24, v4
	v_cndmask_b32_e32 v8, v7, v5, vcc
	v_ashrrev_i32_e32 v9, 31, v8
	v_lshlrev_b64 v[8:9], 3, v[8:9]
	v_mov_b32_e32 v5, s17
	v_add_co_u32_e64 v8, s[0:1], s16, v8
	v_addc_co_u32_e64 v9, s[0:1], v5, v9, s[0:1]
	global_load_dwordx2 v[8:9], v[8:9], off
	v_add_u32_e32 v10, 32, v6
	v_ashrrev_i32_e32 v11, 31, v10
	v_lshlrev_b64 v[12:13], 2, v[10:11]
	v_mov_b32_e32 v7, s15
	v_add_co_u32_e64 v12, s[0:1], s14, v12
	v_add_u32_e32 v5, s8, v1
	v_addc_co_u32_e64 v13, s[0:1], v7, v13, s[0:1]
	v_lshlrev_b64 v[10:11], 3, v[10:11]
	global_store_dword v[12:13], v5, off
	v_mov_b32_e32 v5, s7
	v_add_co_u32_e64 v10, s[0:1], s6, v10
	v_addc_co_u32_e64 v11, s[0:1], v5, v11, s[0:1]
	s_waitcnt vmcnt(1)
	global_store_dwordx2 v[10:11], v[8:9], off
	s_branch .LBB54_6
.LBB54_11:
	s_endpgm
	.section	.rodata,"a",@progbits
	.p2align	6, 0x0
	.amdhsa_kernel _ZN9rocsparseL37gebsr2csr_block_per_row_33_128_kernelILi256ELi2ELi64ELi2ELi32EdEEv20rocsparse_direction_ii21rocsparse_index_base_PKT4_PKiS7_iiS2_PS3_PiS9_
		.amdhsa_group_segment_fixed_size 0
		.amdhsa_private_segment_fixed_size 0
		.amdhsa_kernarg_size 80
		.amdhsa_user_sgpr_count 6
		.amdhsa_user_sgpr_private_segment_buffer 1
		.amdhsa_user_sgpr_dispatch_ptr 0
		.amdhsa_user_sgpr_queue_ptr 0
		.amdhsa_user_sgpr_kernarg_segment_ptr 1
		.amdhsa_user_sgpr_dispatch_id 0
		.amdhsa_user_sgpr_flat_scratch_init 0
		.amdhsa_user_sgpr_kernarg_preload_length 0
		.amdhsa_user_sgpr_kernarg_preload_offset 0
		.amdhsa_user_sgpr_private_segment_size 0
		.amdhsa_uses_dynamic_stack 0
		.amdhsa_system_sgpr_private_segment_wavefront_offset 0
		.amdhsa_system_sgpr_workgroup_id_x 1
		.amdhsa_system_sgpr_workgroup_id_y 0
		.amdhsa_system_sgpr_workgroup_id_z 0
		.amdhsa_system_sgpr_workgroup_info 0
		.amdhsa_system_vgpr_workitem_id 0
		.amdhsa_next_free_vgpr 14
		.amdhsa_next_free_sgpr 25
		.amdhsa_accum_offset 16
		.amdhsa_reserve_vcc 1
		.amdhsa_reserve_flat_scratch 0
		.amdhsa_float_round_mode_32 0
		.amdhsa_float_round_mode_16_64 0
		.amdhsa_float_denorm_mode_32 3
		.amdhsa_float_denorm_mode_16_64 3
		.amdhsa_dx10_clamp 1
		.amdhsa_ieee_mode 1
		.amdhsa_fp16_overflow 0
		.amdhsa_tg_split 0
		.amdhsa_exception_fp_ieee_invalid_op 0
		.amdhsa_exception_fp_denorm_src 0
		.amdhsa_exception_fp_ieee_div_zero 0
		.amdhsa_exception_fp_ieee_overflow 0
		.amdhsa_exception_fp_ieee_underflow 0
		.amdhsa_exception_fp_ieee_inexact 0
		.amdhsa_exception_int_div_zero 0
	.end_amdhsa_kernel
	.section	.text._ZN9rocsparseL37gebsr2csr_block_per_row_33_128_kernelILi256ELi2ELi64ELi2ELi32EdEEv20rocsparse_direction_ii21rocsparse_index_base_PKT4_PKiS7_iiS2_PS3_PiS9_,"axG",@progbits,_ZN9rocsparseL37gebsr2csr_block_per_row_33_128_kernelILi256ELi2ELi64ELi2ELi32EdEEv20rocsparse_direction_ii21rocsparse_index_base_PKT4_PKiS7_iiS2_PS3_PiS9_,comdat
.Lfunc_end54:
	.size	_ZN9rocsparseL37gebsr2csr_block_per_row_33_128_kernelILi256ELi2ELi64ELi2ELi32EdEEv20rocsparse_direction_ii21rocsparse_index_base_PKT4_PKiS7_iiS2_PS3_PiS9_, .Lfunc_end54-_ZN9rocsparseL37gebsr2csr_block_per_row_33_128_kernelILi256ELi2ELi64ELi2ELi32EdEEv20rocsparse_direction_ii21rocsparse_index_base_PKT4_PKiS7_iiS2_PS3_PiS9_
                                        ; -- End function
	.section	.AMDGPU.csdata,"",@progbits
; Kernel info:
; codeLenInByte = 752
; NumSgprs: 29
; NumVgprs: 14
; NumAgprs: 0
; TotalNumVgprs: 14
; ScratchSize: 0
; MemoryBound: 0
; FloatMode: 240
; IeeeMode: 1
; LDSByteSize: 0 bytes/workgroup (compile time only)
; SGPRBlocks: 3
; VGPRBlocks: 1
; NumSGPRsForWavesPerEU: 29
; NumVGPRsForWavesPerEU: 14
; AccumOffset: 16
; Occupancy: 8
; WaveLimiterHint : 1
; COMPUTE_PGM_RSRC2:SCRATCH_EN: 0
; COMPUTE_PGM_RSRC2:USER_SGPR: 6
; COMPUTE_PGM_RSRC2:TRAP_HANDLER: 0
; COMPUTE_PGM_RSRC2:TGID_X_EN: 1
; COMPUTE_PGM_RSRC2:TGID_Y_EN: 0
; COMPUTE_PGM_RSRC2:TGID_Z_EN: 0
; COMPUTE_PGM_RSRC2:TIDIG_COMP_CNT: 0
; COMPUTE_PGM_RSRC3_GFX90A:ACCUM_OFFSET: 3
; COMPUTE_PGM_RSRC3_GFX90A:TG_SPLIT: 0
	.section	.text._ZN9rocsparseL37gebsr2csr_block_per_row_33_128_kernelILi256ELi2ELi128ELi2ELi32EdEEv20rocsparse_direction_ii21rocsparse_index_base_PKT4_PKiS7_iiS2_PS3_PiS9_,"axG",@progbits,_ZN9rocsparseL37gebsr2csr_block_per_row_33_128_kernelILi256ELi2ELi128ELi2ELi32EdEEv20rocsparse_direction_ii21rocsparse_index_base_PKT4_PKiS7_iiS2_PS3_PiS9_,comdat
	.globl	_ZN9rocsparseL37gebsr2csr_block_per_row_33_128_kernelILi256ELi2ELi128ELi2ELi32EdEEv20rocsparse_direction_ii21rocsparse_index_base_PKT4_PKiS7_iiS2_PS3_PiS9_ ; -- Begin function _ZN9rocsparseL37gebsr2csr_block_per_row_33_128_kernelILi256ELi2ELi128ELi2ELi32EdEEv20rocsparse_direction_ii21rocsparse_index_base_PKT4_PKiS7_iiS2_PS3_PiS9_
	.p2align	8
	.type	_ZN9rocsparseL37gebsr2csr_block_per_row_33_128_kernelILi256ELi2ELi128ELi2ELi32EdEEv20rocsparse_direction_ii21rocsparse_index_base_PKT4_PKiS7_iiS2_PS3_PiS9_,@function
_ZN9rocsparseL37gebsr2csr_block_per_row_33_128_kernelILi256ELi2ELi128ELi2ELi32EdEEv20rocsparse_direction_ii21rocsparse_index_base_PKT4_PKiS7_iiS2_PS3_PiS9_: ; @_ZN9rocsparseL37gebsr2csr_block_per_row_33_128_kernelILi256ELi2ELi128ELi2ELi32EdEEv20rocsparse_direction_ii21rocsparse_index_base_PKT4_PKiS7_iiS2_PS3_PiS9_
; %bb.0:
	s_load_dwordx2 s[0:1], s[4:5], 0x18
	s_load_dwordx4 s[8:11], s[4:5], 0x28
	s_load_dwordx2 s[2:3], s[4:5], 0x40
	s_ashr_i32 s7, s6, 31
	s_lshl_b64 s[12:13], s[6:7], 2
	s_waitcnt lgkmcnt(0)
	s_add_u32 s0, s0, s12
	s_addc_u32 s1, s1, s13
	s_load_dwordx2 s[14:15], s[0:1], 0x0
	v_or_b32_e32 v1, s6, v0
	v_cmp_eq_u32_e32 vcc, 0, v1
	s_and_saveexec_b64 s[0:1], vcc
	s_cbranch_execz .LBB55_2
; %bb.1:
	v_mov_b32_e32 v1, 0
	v_mov_b32_e32 v2, s10
	global_store_dword v1, v2, s[2:3]
.LBB55_2:
	s_or_b64 exec, exec, s[0:1]
	s_load_dword s11, s[4:5], 0xc
	v_lshrrev_b32_e32 v1, 5, v0
	v_cmp_gt_i32_e64 s[0:1], s8, v1
	s_mul_i32 s27, s9, s8
	s_waitcnt lgkmcnt(0)
	s_sub_i32 s12, s14, s11
	s_sub_i32 s26, s15, s11
	s_and_saveexec_b64 s[16:17], s[0:1]
	s_cbranch_execz .LBB55_4
; %bb.3:
	s_mul_i32 s7, s27, s12
	s_sub_i32 s13, s26, s12
	s_mul_i32 s13, s13, s9
	s_add_i32 s7, s7, s10
	v_mul_lo_u32 v2, s13, v1
	s_add_i32 s7, s7, s13
	s_mul_i32 s6, s6, s8
	v_add_u32_e32 v4, s7, v2
	v_add_u32_e32 v2, s6, v1
	v_ashrrev_i32_e32 v3, 31, v2
	v_lshlrev_b64 v[2:3], 2, v[2:3]
	v_mov_b32_e32 v5, s3
	v_add_co_u32_e32 v2, vcc, s2, v2
	v_addc_co_u32_e32 v3, vcc, v5, v3, vcc
	global_store_dword v[2:3], v4, off offset:4
.LBB55_4:
	s_or_b64 exec, exec, s[16:17]
	s_cmp_ge_i32 s14, s15
	s_cbranch_scc1 .LBB55_15
; %bb.5:
	s_load_dwordx2 s[22:23], s[4:5], 0x20
	s_load_dwordx2 s[6:7], s[4:5], 0x38
	;; [unrolled: 1-line block ×3, first 2 shown]
	s_load_dword s2, s[4:5], 0x0
	s_load_dwordx2 s[16:17], s[4:5], 0x48
	v_and_b32_e32 v0, 31, v0
	s_sub_i32 s3, s26, s12
	v_mul_lo_u32 v10, s3, v1
	s_waitcnt lgkmcnt(0)
	s_cmp_eq_u32 s2, 0
	v_cmp_gt_i32_e64 s[2:3], s9, v0
	v_or_b32_e32 v2, 32, v0
	s_cselect_b64 vcc, -1, 0
	s_and_b64 s[4:5], s[0:1], s[2:3]
	v_cmp_gt_i32_e64 s[2:3], s9, v2
	v_or_b32_e32 v3, 64, v0
	s_and_b64 s[18:19], s[0:1], s[2:3]
	v_cmp_gt_i32_e64 s[2:3], s9, v3
	v_or_b32_e32 v4, 0x60, v0
	s_and_b64 s[20:21], s[0:1], s[2:3]
	v_cmp_gt_i32_e64 s[2:3], s9, v4
	s_and_b64 s[2:3], s[0:1], s[2:3]
	s_mul_i32 s0, s8, s12
	s_mul_i32 s1, s9, s12
	s_ashr_i32 s13, s12, 31
	v_add_u32_e32 v5, s0, v1
	v_add_u32_e32 v9, s1, v0
	;; [unrolled: 1-line block ×3, first 2 shown]
	s_lshl_b64 s[0:1], s[12:13], 2
	v_add_u32_e32 v6, 0x60, v9
	v_add_u32_e32 v7, 64, v9
	;; [unrolled: 1-line block ×3, first 2 shown]
	s_add_u32 s22, s22, s0
	s_movk_i32 s28, 0x60
	v_mul_lo_u32 v5, s9, v5
	v_mul_lo_u32 v6, s8, v6
	;; [unrolled: 1-line block ×6, first 2 shown]
	s_addc_u32 s23, s23, s1
	s_branch .LBB55_7
.LBB55_6:                               ;   in Loop: Header=BB55_7 Depth=1
	s_or_b64 exec, exec, s[24:25]
	s_add_i32 s12, s12, 1
	s_add_u32 s22, s22, 4
	s_addc_u32 s23, s23, 0
	v_add_u32_e32 v5, s27, v5
	v_add_u32_e32 v1, s27, v1
	s_cmp_ge_i32 s12, s26
	v_add_u32_e32 v10, s9, v10
	s_cbranch_scc1 .LBB55_15
.LBB55_7:                               ; =>This Inner Loop Header: Depth=1
	s_load_dword s0, s[22:23], 0x0
	s_waitcnt lgkmcnt(0)
	s_sub_i32 s0, s0, s11
	s_mul_i32 s8, s0, s9
	s_add_i32 s8, s8, s10
	s_and_saveexec_b64 s[24:25], s[4:5]
	s_cbranch_execnz .LBB55_11
; %bb.8:                                ;   in Loop: Header=BB55_7 Depth=1
	s_or_b64 exec, exec, s[24:25]
	s_and_saveexec_b64 s[24:25], s[18:19]
	s_cbranch_execnz .LBB55_12
.LBB55_9:                               ;   in Loop: Header=BB55_7 Depth=1
	s_or_b64 exec, exec, s[24:25]
	s_and_saveexec_b64 s[24:25], s[20:21]
	s_cbranch_execnz .LBB55_13
.LBB55_10:                              ;   in Loop: Header=BB55_7 Depth=1
	s_or_b64 exec, exec, s[24:25]
	s_and_saveexec_b64 s[24:25], s[2:3]
	s_cbranch_execz .LBB55_6
	s_branch .LBB55_14
.LBB55_11:                              ;   in Loop: Header=BB55_7 Depth=1
	v_add_u32_e32 v11, v0, v5
	v_add_u32_e32 v12, v9, v1
	v_cndmask_b32_e32 v12, v12, v11, vcc
	v_ashrrev_i32_e32 v13, 31, v12
	v_lshlrev_b64 v[12:13], 3, v[12:13]
	v_mov_b32_e32 v11, s15
	v_add_co_u32_e64 v12, s[0:1], s14, v12
	v_addc_co_u32_e64 v13, s[0:1], v11, v13, s[0:1]
	global_load_dwordx2 v[12:13], v[12:13], off
	v_add_u32_e32 v14, v0, v10
	v_ashrrev_i32_e32 v15, 31, v14
	v_lshlrev_b64 v[16:17], 2, v[14:15]
	v_mov_b32_e32 v18, s17
	v_add_co_u32_e64 v16, s[0:1], s16, v16
	v_add_u32_e32 v11, s8, v0
	v_addc_co_u32_e64 v17, s[0:1], v18, v17, s[0:1]
	v_lshlrev_b64 v[14:15], 3, v[14:15]
	global_store_dword v[16:17], v11, off
	v_mov_b32_e32 v11, s7
	v_add_co_u32_e64 v14, s[0:1], s6, v14
	v_addc_co_u32_e64 v15, s[0:1], v11, v15, s[0:1]
	s_waitcnt vmcnt(1)
	global_store_dwordx2 v[14:15], v[12:13], off
	s_or_b64 exec, exec, s[24:25]
	s_and_saveexec_b64 s[24:25], s[18:19]
	s_cbranch_execz .LBB55_9
.LBB55_12:                              ;   in Loop: Header=BB55_7 Depth=1
	v_add3_u32 v11, v0, v5, 32
	v_add_u32_e32 v12, v8, v1
	v_cndmask_b32_e32 v12, v12, v11, vcc
	v_ashrrev_i32_e32 v13, 31, v12
	v_lshlrev_b64 v[12:13], 3, v[12:13]
	v_mov_b32_e32 v11, s15
	v_add_co_u32_e64 v12, s[0:1], s14, v12
	v_addc_co_u32_e64 v13, s[0:1], v11, v13, s[0:1]
	global_load_dwordx2 v[12:13], v[12:13], off
	v_add3_u32 v14, v0, v10, 32
	v_ashrrev_i32_e32 v15, 31, v14
	v_lshlrev_b64 v[16:17], 2, v[14:15]
	v_mov_b32_e32 v18, s17
	v_add_co_u32_e64 v16, s[0:1], s16, v16
	v_add_u32_e32 v11, s8, v2
	v_addc_co_u32_e64 v17, s[0:1], v18, v17, s[0:1]
	v_lshlrev_b64 v[14:15], 3, v[14:15]
	global_store_dword v[16:17], v11, off
	v_mov_b32_e32 v11, s7
	v_add_co_u32_e64 v14, s[0:1], s6, v14
	v_addc_co_u32_e64 v15, s[0:1], v11, v15, s[0:1]
	s_waitcnt vmcnt(1)
	global_store_dwordx2 v[14:15], v[12:13], off
	s_or_b64 exec, exec, s[24:25]
	s_and_saveexec_b64 s[24:25], s[20:21]
	s_cbranch_execz .LBB55_10
.LBB55_13:                              ;   in Loop: Header=BB55_7 Depth=1
	v_add3_u32 v11, v0, v5, 64
	v_add_u32_e32 v12, v7, v1
	v_cndmask_b32_e32 v12, v12, v11, vcc
	v_ashrrev_i32_e32 v13, 31, v12
	v_lshlrev_b64 v[12:13], 3, v[12:13]
	v_mov_b32_e32 v11, s15
	v_add_co_u32_e64 v12, s[0:1], s14, v12
	v_addc_co_u32_e64 v13, s[0:1], v11, v13, s[0:1]
	global_load_dwordx2 v[12:13], v[12:13], off
	v_add3_u32 v14, v0, v10, 64
	v_ashrrev_i32_e32 v15, 31, v14
	v_lshlrev_b64 v[16:17], 2, v[14:15]
	v_mov_b32_e32 v18, s17
	v_add_co_u32_e64 v16, s[0:1], s16, v16
	v_add_u32_e32 v11, s8, v3
	v_addc_co_u32_e64 v17, s[0:1], v18, v17, s[0:1]
	v_lshlrev_b64 v[14:15], 3, v[14:15]
	global_store_dword v[16:17], v11, off
	v_mov_b32_e32 v11, s7
	v_add_co_u32_e64 v14, s[0:1], s6, v14
	v_addc_co_u32_e64 v15, s[0:1], v11, v15, s[0:1]
	s_waitcnt vmcnt(1)
	global_store_dwordx2 v[14:15], v[12:13], off
	s_or_b64 exec, exec, s[24:25]
	s_and_saveexec_b64 s[24:25], s[2:3]
	s_cbranch_execz .LBB55_6
.LBB55_14:                              ;   in Loop: Header=BB55_7 Depth=1
	v_add3_u32 v11, v0, v5, s28
	v_add_u32_e32 v12, v6, v1
	v_cndmask_b32_e32 v12, v12, v11, vcc
	v_ashrrev_i32_e32 v13, 31, v12
	v_lshlrev_b64 v[12:13], 3, v[12:13]
	v_mov_b32_e32 v11, s15
	v_add_co_u32_e64 v12, s[0:1], s14, v12
	v_addc_co_u32_e64 v13, s[0:1], v11, v13, s[0:1]
	global_load_dwordx2 v[12:13], v[12:13], off
	v_add3_u32 v14, v0, v10, s28
	v_ashrrev_i32_e32 v15, 31, v14
	v_lshlrev_b64 v[16:17], 2, v[14:15]
	v_mov_b32_e32 v18, s17
	v_add_co_u32_e64 v16, s[0:1], s16, v16
	v_add_u32_e32 v11, s8, v4
	v_addc_co_u32_e64 v17, s[0:1], v18, v17, s[0:1]
	v_lshlrev_b64 v[14:15], 3, v[14:15]
	global_store_dword v[16:17], v11, off
	v_mov_b32_e32 v11, s7
	v_add_co_u32_e64 v14, s[0:1], s6, v14
	v_addc_co_u32_e64 v15, s[0:1], v11, v15, s[0:1]
	s_waitcnt vmcnt(1)
	global_store_dwordx2 v[14:15], v[12:13], off
	s_branch .LBB55_6
.LBB55_15:
	s_endpgm
	.section	.rodata,"a",@progbits
	.p2align	6, 0x0
	.amdhsa_kernel _ZN9rocsparseL37gebsr2csr_block_per_row_33_128_kernelILi256ELi2ELi128ELi2ELi32EdEEv20rocsparse_direction_ii21rocsparse_index_base_PKT4_PKiS7_iiS2_PS3_PiS9_
		.amdhsa_group_segment_fixed_size 0
		.amdhsa_private_segment_fixed_size 0
		.amdhsa_kernarg_size 80
		.amdhsa_user_sgpr_count 6
		.amdhsa_user_sgpr_private_segment_buffer 1
		.amdhsa_user_sgpr_dispatch_ptr 0
		.amdhsa_user_sgpr_queue_ptr 0
		.amdhsa_user_sgpr_kernarg_segment_ptr 1
		.amdhsa_user_sgpr_dispatch_id 0
		.amdhsa_user_sgpr_flat_scratch_init 0
		.amdhsa_user_sgpr_kernarg_preload_length 0
		.amdhsa_user_sgpr_kernarg_preload_offset 0
		.amdhsa_user_sgpr_private_segment_size 0
		.amdhsa_uses_dynamic_stack 0
		.amdhsa_system_sgpr_private_segment_wavefront_offset 0
		.amdhsa_system_sgpr_workgroup_id_x 1
		.amdhsa_system_sgpr_workgroup_id_y 0
		.amdhsa_system_sgpr_workgroup_id_z 0
		.amdhsa_system_sgpr_workgroup_info 0
		.amdhsa_system_vgpr_workitem_id 0
		.amdhsa_next_free_vgpr 19
		.amdhsa_next_free_sgpr 29
		.amdhsa_accum_offset 20
		.amdhsa_reserve_vcc 1
		.amdhsa_reserve_flat_scratch 0
		.amdhsa_float_round_mode_32 0
		.amdhsa_float_round_mode_16_64 0
		.amdhsa_float_denorm_mode_32 3
		.amdhsa_float_denorm_mode_16_64 3
		.amdhsa_dx10_clamp 1
		.amdhsa_ieee_mode 1
		.amdhsa_fp16_overflow 0
		.amdhsa_tg_split 0
		.amdhsa_exception_fp_ieee_invalid_op 0
		.amdhsa_exception_fp_denorm_src 0
		.amdhsa_exception_fp_ieee_div_zero 0
		.amdhsa_exception_fp_ieee_overflow 0
		.amdhsa_exception_fp_ieee_underflow 0
		.amdhsa_exception_fp_ieee_inexact 0
		.amdhsa_exception_int_div_zero 0
	.end_amdhsa_kernel
	.section	.text._ZN9rocsparseL37gebsr2csr_block_per_row_33_128_kernelILi256ELi2ELi128ELi2ELi32EdEEv20rocsparse_direction_ii21rocsparse_index_base_PKT4_PKiS7_iiS2_PS3_PiS9_,"axG",@progbits,_ZN9rocsparseL37gebsr2csr_block_per_row_33_128_kernelILi256ELi2ELi128ELi2ELi32EdEEv20rocsparse_direction_ii21rocsparse_index_base_PKT4_PKiS7_iiS2_PS3_PiS9_,comdat
.Lfunc_end55:
	.size	_ZN9rocsparseL37gebsr2csr_block_per_row_33_128_kernelILi256ELi2ELi128ELi2ELi32EdEEv20rocsparse_direction_ii21rocsparse_index_base_PKT4_PKiS7_iiS2_PS3_PiS9_, .Lfunc_end55-_ZN9rocsparseL37gebsr2csr_block_per_row_33_128_kernelILi256ELi2ELi128ELi2ELi32EdEEv20rocsparse_direction_ii21rocsparse_index_base_PKT4_PKiS7_iiS2_PS3_PiS9_
                                        ; -- End function
	.section	.AMDGPU.csdata,"",@progbits
; Kernel info:
; codeLenInByte = 1192
; NumSgprs: 33
; NumVgprs: 19
; NumAgprs: 0
; TotalNumVgprs: 19
; ScratchSize: 0
; MemoryBound: 0
; FloatMode: 240
; IeeeMode: 1
; LDSByteSize: 0 bytes/workgroup (compile time only)
; SGPRBlocks: 4
; VGPRBlocks: 2
; NumSGPRsForWavesPerEU: 33
; NumVGPRsForWavesPerEU: 19
; AccumOffset: 20
; Occupancy: 8
; WaveLimiterHint : 1
; COMPUTE_PGM_RSRC2:SCRATCH_EN: 0
; COMPUTE_PGM_RSRC2:USER_SGPR: 6
; COMPUTE_PGM_RSRC2:TRAP_HANDLER: 0
; COMPUTE_PGM_RSRC2:TGID_X_EN: 1
; COMPUTE_PGM_RSRC2:TGID_Y_EN: 0
; COMPUTE_PGM_RSRC2:TGID_Z_EN: 0
; COMPUTE_PGM_RSRC2:TIDIG_COMP_CNT: 0
; COMPUTE_PGM_RSRC3_GFX90A:ACCUM_OFFSET: 4
; COMPUTE_PGM_RSRC3_GFX90A:TG_SPLIT: 0
	.section	.text._ZN9rocsparseL35gebsr2csr_block_per_row_1_32_kernelILi256ELi4ELi2EdEEv20rocsparse_direction_ii21rocsparse_index_base_PKT2_PKiS7_iiS2_PS3_PiS9_,"axG",@progbits,_ZN9rocsparseL35gebsr2csr_block_per_row_1_32_kernelILi256ELi4ELi2EdEEv20rocsparse_direction_ii21rocsparse_index_base_PKT2_PKiS7_iiS2_PS3_PiS9_,comdat
	.globl	_ZN9rocsparseL35gebsr2csr_block_per_row_1_32_kernelILi256ELi4ELi2EdEEv20rocsparse_direction_ii21rocsparse_index_base_PKT2_PKiS7_iiS2_PS3_PiS9_ ; -- Begin function _ZN9rocsparseL35gebsr2csr_block_per_row_1_32_kernelILi256ELi4ELi2EdEEv20rocsparse_direction_ii21rocsparse_index_base_PKT2_PKiS7_iiS2_PS3_PiS9_
	.p2align	8
	.type	_ZN9rocsparseL35gebsr2csr_block_per_row_1_32_kernelILi256ELi4ELi2EdEEv20rocsparse_direction_ii21rocsparse_index_base_PKT2_PKiS7_iiS2_PS3_PiS9_,@function
_ZN9rocsparseL35gebsr2csr_block_per_row_1_32_kernelILi256ELi4ELi2EdEEv20rocsparse_direction_ii21rocsparse_index_base_PKT2_PKiS7_iiS2_PS3_PiS9_: ; @_ZN9rocsparseL35gebsr2csr_block_per_row_1_32_kernelILi256ELi4ELi2EdEEv20rocsparse_direction_ii21rocsparse_index_base_PKT2_PKiS7_iiS2_PS3_PiS9_
; %bb.0:
	s_load_dwordx2 s[0:1], s[4:5], 0x18
	s_load_dwordx4 s[8:11], s[4:5], 0x28
	s_load_dwordx2 s[2:3], s[4:5], 0x40
	s_ashr_i32 s7, s6, 31
	s_lshl_b64 s[12:13], s[6:7], 2
	s_waitcnt lgkmcnt(0)
	s_add_u32 s12, s0, s12
	v_or_b32_e32 v1, s6, v0
	s_addc_u32 s13, s1, s13
	v_cmp_eq_u32_e32 vcc, 0, v1
	s_and_saveexec_b64 s[0:1], vcc
	s_cbranch_execz .LBB56_2
; %bb.1:
	v_mov_b32_e32 v1, 0
	v_mov_b32_e32 v2, s10
	global_store_dword v1, v2, s[2:3]
.LBB56_2:
	s_or_b64 exec, exec, s[0:1]
	v_and_b32_e32 v6, 1, v0
	v_bfe_u32 v8, v0, 1, 2
	v_cmp_gt_i32_e32 vcc, s8, v8
	v_cmp_gt_i32_e64 s[0:1], s9, v6
	s_and_b64 s[0:1], vcc, s[0:1]
	s_and_saveexec_b64 s[14:15], s[0:1]
	s_cbranch_execz .LBB56_6
; %bb.3:
	s_load_dwordx2 s[14:15], s[12:13], 0x0
	s_load_dword s11, s[4:5], 0xc
	s_mul_i32 s6, s6, s8
	v_add_u32_e32 v2, s6, v8
	s_mul_i32 s1, s9, s8
	v_ashrrev_i32_e32 v3, 31, v2
	s_waitcnt lgkmcnt(0)
	s_sub_i32 s0, s14, s11
	s_sub_i32 s14, s15, s11
	;; [unrolled: 1-line block ×3, first 2 shown]
	s_mul_i32 s12, s15, s9
	v_lshrrev_b32_e32 v1, 3, v0
	s_mul_i32 s7, s0, s1
	v_mul_lo_u32 v0, s12, v8
	s_add_i32 s12, s12, s10
	v_lshlrev_b64 v[2:3], 2, v[2:3]
	s_add_i32 s12, s12, s7
	v_mov_b32_e32 v4, s3
	v_add_co_u32_e32 v2, vcc, s2, v2
	v_add_u32_e32 v0, s12, v0
	v_addc_co_u32_e32 v3, vcc, v4, v3, vcc
	global_store_dword v[2:3], v0, off offset:4
	v_add_u32_e32 v0, s0, v1
	v_cmp_gt_i32_e32 vcc, s14, v0
	s_and_b64 exec, exec, vcc
	s_cbranch_execz .LBB56_6
; %bb.4:
	s_load_dwordx2 s[16:17], s[4:5], 0x20
	s_load_dwordx2 s[2:3], s[4:5], 0x38
	s_load_dword s18, s[4:5], 0x0
	s_load_dwordx2 s[6:7], s[4:5], 0x10
	s_load_dwordx2 s[12:13], s[4:5], 0x48
	v_mad_u64_u32 v[4:5], s[4:5], v6, s8, v[8:9]
	s_waitcnt lgkmcnt(0)
	s_cmp_eq_u32 s18, 0
	v_mad_u64_u32 v[10:11], s[4:5], v8, s9, v[6:7]
	s_cselect_b64 vcc, -1, 0
	s_mul_i32 s0, s8, s0
	v_mul_lo_u32 v3, s15, v8
	v_cndmask_b32_e32 v4, v4, v10, vcc
	v_add3_u32 v1, v1, s0, v3
	v_add_u32_e32 v2, s10, v6
	v_mad_u64_u32 v[4:5], s[4:5], s1, v0, v[4:5]
	s_lshl_b32 s10, s1, 5
	v_mad_u64_u32 v[6:7], s[0:1], s9, v1, v[6:7]
	v_ashrrev_i32_e32 v1, 31, v0
	v_lshlrev_b64 v[8:9], 2, v[0:1]
	v_mov_b32_e32 v1, s17
	v_add_co_u32_e32 v8, vcc, s16, v8
	s_lshl_b32 s8, s9, 5
	v_addc_co_u32_e32 v9, vcc, v1, v9, vcc
	s_mov_b64 s[4:5], 0
	v_mov_b32_e32 v1, s13
	v_mov_b32_e32 v3, s7
	;; [unrolled: 1-line block ×3, first 2 shown]
.LBB56_5:                               ; =>This Inner Loop Header: Depth=1
	v_ashrrev_i32_e32 v5, 31, v4
	global_load_dword v11, v[8:9], off
	v_lshlrev_b64 v[12:13], 3, v[4:5]
	v_add_co_u32_e32 v12, vcc, s6, v12
	v_addc_co_u32_e32 v13, vcc, v3, v13, vcc
	global_load_dwordx2 v[12:13], v[12:13], off
	v_ashrrev_i32_e32 v7, 31, v6
	v_lshlrev_b64 v[14:15], 2, v[6:7]
	v_add_co_u32_e32 v8, vcc, 0x80, v8
	v_add_co_u32_e64 v14, s[0:1], s12, v14
	v_add_u32_e32 v0, 32, v0
	v_lshlrev_b64 v[16:17], 3, v[6:7]
	v_addc_co_u32_e32 v9, vcc, 0, v9, vcc
	v_addc_co_u32_e64 v15, s[0:1], v1, v15, s[0:1]
	v_cmp_le_i32_e32 vcc, s14, v0
	v_add_co_u32_e64 v16, s[0:1], s2, v16
	v_add_u32_e32 v4, s10, v4
	v_add_u32_e32 v6, s8, v6
	v_addc_co_u32_e64 v17, s[0:1], v10, v17, s[0:1]
	s_or_b64 s[4:5], vcc, s[4:5]
	s_waitcnt vmcnt(1)
	v_subrev_u32_e32 v5, s11, v11
	v_mad_u64_u32 v[18:19], s[0:1], v5, s9, v[2:3]
	global_store_dword v[14:15], v18, off
	s_waitcnt vmcnt(1)
	global_store_dwordx2 v[16:17], v[12:13], off
	s_andn2_b64 exec, exec, s[4:5]
	s_cbranch_execnz .LBB56_5
.LBB56_6:
	s_endpgm
	.section	.rodata,"a",@progbits
	.p2align	6, 0x0
	.amdhsa_kernel _ZN9rocsparseL35gebsr2csr_block_per_row_1_32_kernelILi256ELi4ELi2EdEEv20rocsparse_direction_ii21rocsparse_index_base_PKT2_PKiS7_iiS2_PS3_PiS9_
		.amdhsa_group_segment_fixed_size 0
		.amdhsa_private_segment_fixed_size 0
		.amdhsa_kernarg_size 80
		.amdhsa_user_sgpr_count 6
		.amdhsa_user_sgpr_private_segment_buffer 1
		.amdhsa_user_sgpr_dispatch_ptr 0
		.amdhsa_user_sgpr_queue_ptr 0
		.amdhsa_user_sgpr_kernarg_segment_ptr 1
		.amdhsa_user_sgpr_dispatch_id 0
		.amdhsa_user_sgpr_flat_scratch_init 0
		.amdhsa_user_sgpr_kernarg_preload_length 0
		.amdhsa_user_sgpr_kernarg_preload_offset 0
		.amdhsa_user_sgpr_private_segment_size 0
		.amdhsa_uses_dynamic_stack 0
		.amdhsa_system_sgpr_private_segment_wavefront_offset 0
		.amdhsa_system_sgpr_workgroup_id_x 1
		.amdhsa_system_sgpr_workgroup_id_y 0
		.amdhsa_system_sgpr_workgroup_id_z 0
		.amdhsa_system_sgpr_workgroup_info 0
		.amdhsa_system_vgpr_workitem_id 0
		.amdhsa_next_free_vgpr 20
		.amdhsa_next_free_sgpr 19
		.amdhsa_accum_offset 20
		.amdhsa_reserve_vcc 1
		.amdhsa_reserve_flat_scratch 0
		.amdhsa_float_round_mode_32 0
		.amdhsa_float_round_mode_16_64 0
		.amdhsa_float_denorm_mode_32 3
		.amdhsa_float_denorm_mode_16_64 3
		.amdhsa_dx10_clamp 1
		.amdhsa_ieee_mode 1
		.amdhsa_fp16_overflow 0
		.amdhsa_tg_split 0
		.amdhsa_exception_fp_ieee_invalid_op 0
		.amdhsa_exception_fp_denorm_src 0
		.amdhsa_exception_fp_ieee_div_zero 0
		.amdhsa_exception_fp_ieee_overflow 0
		.amdhsa_exception_fp_ieee_underflow 0
		.amdhsa_exception_fp_ieee_inexact 0
		.amdhsa_exception_int_div_zero 0
	.end_amdhsa_kernel
	.section	.text._ZN9rocsparseL35gebsr2csr_block_per_row_1_32_kernelILi256ELi4ELi2EdEEv20rocsparse_direction_ii21rocsparse_index_base_PKT2_PKiS7_iiS2_PS3_PiS9_,"axG",@progbits,_ZN9rocsparseL35gebsr2csr_block_per_row_1_32_kernelILi256ELi4ELi2EdEEv20rocsparse_direction_ii21rocsparse_index_base_PKT2_PKiS7_iiS2_PS3_PiS9_,comdat
.Lfunc_end56:
	.size	_ZN9rocsparseL35gebsr2csr_block_per_row_1_32_kernelILi256ELi4ELi2EdEEv20rocsparse_direction_ii21rocsparse_index_base_PKT2_PKiS7_iiS2_PS3_PiS9_, .Lfunc_end56-_ZN9rocsparseL35gebsr2csr_block_per_row_1_32_kernelILi256ELi4ELi2EdEEv20rocsparse_direction_ii21rocsparse_index_base_PKT2_PKiS7_iiS2_PS3_PiS9_
                                        ; -- End function
	.section	.AMDGPU.csdata,"",@progbits
; Kernel info:
; codeLenInByte = 568
; NumSgprs: 23
; NumVgprs: 20
; NumAgprs: 0
; TotalNumVgprs: 20
; ScratchSize: 0
; MemoryBound: 0
; FloatMode: 240
; IeeeMode: 1
; LDSByteSize: 0 bytes/workgroup (compile time only)
; SGPRBlocks: 2
; VGPRBlocks: 2
; NumSGPRsForWavesPerEU: 23
; NumVGPRsForWavesPerEU: 20
; AccumOffset: 20
; Occupancy: 8
; WaveLimiterHint : 0
; COMPUTE_PGM_RSRC2:SCRATCH_EN: 0
; COMPUTE_PGM_RSRC2:USER_SGPR: 6
; COMPUTE_PGM_RSRC2:TRAP_HANDLER: 0
; COMPUTE_PGM_RSRC2:TGID_X_EN: 1
; COMPUTE_PGM_RSRC2:TGID_Y_EN: 0
; COMPUTE_PGM_RSRC2:TGID_Z_EN: 0
; COMPUTE_PGM_RSRC2:TIDIG_COMP_CNT: 0
; COMPUTE_PGM_RSRC3_GFX90A:ACCUM_OFFSET: 4
; COMPUTE_PGM_RSRC3_GFX90A:TG_SPLIT: 0
	.section	.text._ZN9rocsparseL35gebsr2csr_block_per_row_1_32_kernelILi256ELi4ELi4EdEEv20rocsparse_direction_ii21rocsparse_index_base_PKT2_PKiS7_iiS2_PS3_PiS9_,"axG",@progbits,_ZN9rocsparseL35gebsr2csr_block_per_row_1_32_kernelILi256ELi4ELi4EdEEv20rocsparse_direction_ii21rocsparse_index_base_PKT2_PKiS7_iiS2_PS3_PiS9_,comdat
	.globl	_ZN9rocsparseL35gebsr2csr_block_per_row_1_32_kernelILi256ELi4ELi4EdEEv20rocsparse_direction_ii21rocsparse_index_base_PKT2_PKiS7_iiS2_PS3_PiS9_ ; -- Begin function _ZN9rocsparseL35gebsr2csr_block_per_row_1_32_kernelILi256ELi4ELi4EdEEv20rocsparse_direction_ii21rocsparse_index_base_PKT2_PKiS7_iiS2_PS3_PiS9_
	.p2align	8
	.type	_ZN9rocsparseL35gebsr2csr_block_per_row_1_32_kernelILi256ELi4ELi4EdEEv20rocsparse_direction_ii21rocsparse_index_base_PKT2_PKiS7_iiS2_PS3_PiS9_,@function
_ZN9rocsparseL35gebsr2csr_block_per_row_1_32_kernelILi256ELi4ELi4EdEEv20rocsparse_direction_ii21rocsparse_index_base_PKT2_PKiS7_iiS2_PS3_PiS9_: ; @_ZN9rocsparseL35gebsr2csr_block_per_row_1_32_kernelILi256ELi4ELi4EdEEv20rocsparse_direction_ii21rocsparse_index_base_PKT2_PKiS7_iiS2_PS3_PiS9_
; %bb.0:
	s_load_dwordx2 s[0:1], s[4:5], 0x18
	s_load_dwordx4 s[8:11], s[4:5], 0x28
	s_load_dwordx2 s[2:3], s[4:5], 0x40
	s_ashr_i32 s7, s6, 31
	s_lshl_b64 s[12:13], s[6:7], 2
	s_waitcnt lgkmcnt(0)
	s_add_u32 s12, s0, s12
	v_or_b32_e32 v1, s6, v0
	s_addc_u32 s13, s1, s13
	v_cmp_eq_u32_e32 vcc, 0, v1
	s_and_saveexec_b64 s[0:1], vcc
	s_cbranch_execz .LBB57_2
; %bb.1:
	v_mov_b32_e32 v1, 0
	v_mov_b32_e32 v2, s10
	global_store_dword v1, v2, s[2:3]
.LBB57_2:
	s_or_b64 exec, exec, s[0:1]
	v_and_b32_e32 v6, 3, v0
	v_bfe_u32 v8, v0, 2, 2
	v_cmp_gt_i32_e32 vcc, s8, v8
	v_cmp_gt_i32_e64 s[0:1], s9, v6
	s_and_b64 s[0:1], vcc, s[0:1]
	s_and_saveexec_b64 s[14:15], s[0:1]
	s_cbranch_execz .LBB57_6
; %bb.3:
	s_load_dwordx2 s[14:15], s[12:13], 0x0
	s_load_dword s11, s[4:5], 0xc
	s_mul_i32 s6, s6, s8
	v_add_u32_e32 v2, s6, v8
	s_mul_i32 s1, s9, s8
	v_ashrrev_i32_e32 v3, 31, v2
	s_waitcnt lgkmcnt(0)
	s_sub_i32 s0, s14, s11
	s_sub_i32 s14, s15, s11
	;; [unrolled: 1-line block ×3, first 2 shown]
	s_mul_i32 s12, s15, s9
	v_lshrrev_b32_e32 v1, 4, v0
	s_mul_i32 s7, s0, s1
	v_mul_lo_u32 v0, s12, v8
	s_add_i32 s12, s12, s10
	v_lshlrev_b64 v[2:3], 2, v[2:3]
	s_add_i32 s12, s12, s7
	v_mov_b32_e32 v4, s3
	v_add_co_u32_e32 v2, vcc, s2, v2
	v_add_u32_e32 v0, s12, v0
	v_addc_co_u32_e32 v3, vcc, v4, v3, vcc
	global_store_dword v[2:3], v0, off offset:4
	v_add_u32_e32 v0, s0, v1
	v_cmp_gt_i32_e32 vcc, s14, v0
	s_and_b64 exec, exec, vcc
	s_cbranch_execz .LBB57_6
; %bb.4:
	s_load_dwordx2 s[16:17], s[4:5], 0x20
	s_load_dwordx2 s[2:3], s[4:5], 0x38
	s_load_dword s18, s[4:5], 0x0
	s_load_dwordx2 s[6:7], s[4:5], 0x10
	s_load_dwordx2 s[12:13], s[4:5], 0x48
	v_mad_u64_u32 v[4:5], s[4:5], v6, s8, v[8:9]
	s_waitcnt lgkmcnt(0)
	s_cmp_eq_u32 s18, 0
	v_mad_u64_u32 v[10:11], s[4:5], v8, s9, v[6:7]
	s_cselect_b64 vcc, -1, 0
	s_mul_i32 s0, s8, s0
	v_mul_lo_u32 v3, s15, v8
	v_cndmask_b32_e32 v4, v4, v10, vcc
	v_add3_u32 v1, v1, s0, v3
	v_add_u32_e32 v2, s10, v6
	v_mad_u64_u32 v[4:5], s[4:5], s1, v0, v[4:5]
	s_lshl_b32 s10, s1, 4
	v_mad_u64_u32 v[6:7], s[0:1], s9, v1, v[6:7]
	v_ashrrev_i32_e32 v1, 31, v0
	v_lshlrev_b64 v[8:9], 2, v[0:1]
	v_mov_b32_e32 v1, s17
	v_add_co_u32_e32 v8, vcc, s16, v8
	s_lshl_b32 s8, s9, 4
	v_addc_co_u32_e32 v9, vcc, v1, v9, vcc
	s_mov_b64 s[4:5], 0
	v_mov_b32_e32 v1, s13
	v_mov_b32_e32 v3, s7
	v_mov_b32_e32 v10, s3
.LBB57_5:                               ; =>This Inner Loop Header: Depth=1
	v_ashrrev_i32_e32 v5, 31, v4
	global_load_dword v11, v[8:9], off
	v_lshlrev_b64 v[12:13], 3, v[4:5]
	v_add_co_u32_e32 v12, vcc, s6, v12
	v_addc_co_u32_e32 v13, vcc, v3, v13, vcc
	global_load_dwordx2 v[12:13], v[12:13], off
	v_ashrrev_i32_e32 v7, 31, v6
	v_lshlrev_b64 v[14:15], 2, v[6:7]
	v_add_co_u32_e32 v8, vcc, 64, v8
	v_add_co_u32_e64 v14, s[0:1], s12, v14
	v_add_u32_e32 v0, 16, v0
	v_addc_co_u32_e32 v9, vcc, 0, v9, vcc
	v_lshlrev_b64 v[16:17], 3, v[6:7]
	v_addc_co_u32_e64 v15, s[0:1], v1, v15, s[0:1]
	v_cmp_le_i32_e32 vcc, s14, v0
	v_add_co_u32_e64 v16, s[0:1], s2, v16
	v_add_u32_e32 v4, s10, v4
	v_add_u32_e32 v6, s8, v6
	v_addc_co_u32_e64 v17, s[0:1], v10, v17, s[0:1]
	s_or_b64 s[4:5], vcc, s[4:5]
	s_waitcnt vmcnt(1)
	v_subrev_u32_e32 v5, s11, v11
	v_mad_u64_u32 v[18:19], s[0:1], v5, s9, v[2:3]
	global_store_dword v[14:15], v18, off
	s_waitcnt vmcnt(1)
	global_store_dwordx2 v[16:17], v[12:13], off
	s_andn2_b64 exec, exec, s[4:5]
	s_cbranch_execnz .LBB57_5
.LBB57_6:
	s_endpgm
	.section	.rodata,"a",@progbits
	.p2align	6, 0x0
	.amdhsa_kernel _ZN9rocsparseL35gebsr2csr_block_per_row_1_32_kernelILi256ELi4ELi4EdEEv20rocsparse_direction_ii21rocsparse_index_base_PKT2_PKiS7_iiS2_PS3_PiS9_
		.amdhsa_group_segment_fixed_size 0
		.amdhsa_private_segment_fixed_size 0
		.amdhsa_kernarg_size 80
		.amdhsa_user_sgpr_count 6
		.amdhsa_user_sgpr_private_segment_buffer 1
		.amdhsa_user_sgpr_dispatch_ptr 0
		.amdhsa_user_sgpr_queue_ptr 0
		.amdhsa_user_sgpr_kernarg_segment_ptr 1
		.amdhsa_user_sgpr_dispatch_id 0
		.amdhsa_user_sgpr_flat_scratch_init 0
		.amdhsa_user_sgpr_kernarg_preload_length 0
		.amdhsa_user_sgpr_kernarg_preload_offset 0
		.amdhsa_user_sgpr_private_segment_size 0
		.amdhsa_uses_dynamic_stack 0
		.amdhsa_system_sgpr_private_segment_wavefront_offset 0
		.amdhsa_system_sgpr_workgroup_id_x 1
		.amdhsa_system_sgpr_workgroup_id_y 0
		.amdhsa_system_sgpr_workgroup_id_z 0
		.amdhsa_system_sgpr_workgroup_info 0
		.amdhsa_system_vgpr_workitem_id 0
		.amdhsa_next_free_vgpr 20
		.amdhsa_next_free_sgpr 19
		.amdhsa_accum_offset 20
		.amdhsa_reserve_vcc 1
		.amdhsa_reserve_flat_scratch 0
		.amdhsa_float_round_mode_32 0
		.amdhsa_float_round_mode_16_64 0
		.amdhsa_float_denorm_mode_32 3
		.amdhsa_float_denorm_mode_16_64 3
		.amdhsa_dx10_clamp 1
		.amdhsa_ieee_mode 1
		.amdhsa_fp16_overflow 0
		.amdhsa_tg_split 0
		.amdhsa_exception_fp_ieee_invalid_op 0
		.amdhsa_exception_fp_denorm_src 0
		.amdhsa_exception_fp_ieee_div_zero 0
		.amdhsa_exception_fp_ieee_overflow 0
		.amdhsa_exception_fp_ieee_underflow 0
		.amdhsa_exception_fp_ieee_inexact 0
		.amdhsa_exception_int_div_zero 0
	.end_amdhsa_kernel
	.section	.text._ZN9rocsparseL35gebsr2csr_block_per_row_1_32_kernelILi256ELi4ELi4EdEEv20rocsparse_direction_ii21rocsparse_index_base_PKT2_PKiS7_iiS2_PS3_PiS9_,"axG",@progbits,_ZN9rocsparseL35gebsr2csr_block_per_row_1_32_kernelILi256ELi4ELi4EdEEv20rocsparse_direction_ii21rocsparse_index_base_PKT2_PKiS7_iiS2_PS3_PiS9_,comdat
.Lfunc_end57:
	.size	_ZN9rocsparseL35gebsr2csr_block_per_row_1_32_kernelILi256ELi4ELi4EdEEv20rocsparse_direction_ii21rocsparse_index_base_PKT2_PKiS7_iiS2_PS3_PiS9_, .Lfunc_end57-_ZN9rocsparseL35gebsr2csr_block_per_row_1_32_kernelILi256ELi4ELi4EdEEv20rocsparse_direction_ii21rocsparse_index_base_PKT2_PKiS7_iiS2_PS3_PiS9_
                                        ; -- End function
	.section	.AMDGPU.csdata,"",@progbits
; Kernel info:
; codeLenInByte = 564
; NumSgprs: 23
; NumVgprs: 20
; NumAgprs: 0
; TotalNumVgprs: 20
; ScratchSize: 0
; MemoryBound: 0
; FloatMode: 240
; IeeeMode: 1
; LDSByteSize: 0 bytes/workgroup (compile time only)
; SGPRBlocks: 2
; VGPRBlocks: 2
; NumSGPRsForWavesPerEU: 23
; NumVGPRsForWavesPerEU: 20
; AccumOffset: 20
; Occupancy: 8
; WaveLimiterHint : 0
; COMPUTE_PGM_RSRC2:SCRATCH_EN: 0
; COMPUTE_PGM_RSRC2:USER_SGPR: 6
; COMPUTE_PGM_RSRC2:TRAP_HANDLER: 0
; COMPUTE_PGM_RSRC2:TGID_X_EN: 1
; COMPUTE_PGM_RSRC2:TGID_Y_EN: 0
; COMPUTE_PGM_RSRC2:TGID_Z_EN: 0
; COMPUTE_PGM_RSRC2:TIDIG_COMP_CNT: 0
; COMPUTE_PGM_RSRC3_GFX90A:ACCUM_OFFSET: 4
; COMPUTE_PGM_RSRC3_GFX90A:TG_SPLIT: 0
	.section	.text._ZN9rocsparseL35gebsr2csr_block_per_row_1_32_kernelILi256ELi4ELi8EdEEv20rocsparse_direction_ii21rocsparse_index_base_PKT2_PKiS7_iiS2_PS3_PiS9_,"axG",@progbits,_ZN9rocsparseL35gebsr2csr_block_per_row_1_32_kernelILi256ELi4ELi8EdEEv20rocsparse_direction_ii21rocsparse_index_base_PKT2_PKiS7_iiS2_PS3_PiS9_,comdat
	.globl	_ZN9rocsparseL35gebsr2csr_block_per_row_1_32_kernelILi256ELi4ELi8EdEEv20rocsparse_direction_ii21rocsparse_index_base_PKT2_PKiS7_iiS2_PS3_PiS9_ ; -- Begin function _ZN9rocsparseL35gebsr2csr_block_per_row_1_32_kernelILi256ELi4ELi8EdEEv20rocsparse_direction_ii21rocsparse_index_base_PKT2_PKiS7_iiS2_PS3_PiS9_
	.p2align	8
	.type	_ZN9rocsparseL35gebsr2csr_block_per_row_1_32_kernelILi256ELi4ELi8EdEEv20rocsparse_direction_ii21rocsparse_index_base_PKT2_PKiS7_iiS2_PS3_PiS9_,@function
_ZN9rocsparseL35gebsr2csr_block_per_row_1_32_kernelILi256ELi4ELi8EdEEv20rocsparse_direction_ii21rocsparse_index_base_PKT2_PKiS7_iiS2_PS3_PiS9_: ; @_ZN9rocsparseL35gebsr2csr_block_per_row_1_32_kernelILi256ELi4ELi8EdEEv20rocsparse_direction_ii21rocsparse_index_base_PKT2_PKiS7_iiS2_PS3_PiS9_
; %bb.0:
	s_load_dwordx2 s[0:1], s[4:5], 0x18
	s_load_dwordx4 s[8:11], s[4:5], 0x28
	s_load_dwordx2 s[2:3], s[4:5], 0x40
	s_ashr_i32 s7, s6, 31
	s_lshl_b64 s[12:13], s[6:7], 2
	s_waitcnt lgkmcnt(0)
	s_add_u32 s12, s0, s12
	v_or_b32_e32 v1, s6, v0
	s_addc_u32 s13, s1, s13
	v_cmp_eq_u32_e32 vcc, 0, v1
	s_and_saveexec_b64 s[0:1], vcc
	s_cbranch_execz .LBB58_2
; %bb.1:
	v_mov_b32_e32 v1, 0
	v_mov_b32_e32 v2, s10
	global_store_dword v1, v2, s[2:3]
.LBB58_2:
	s_or_b64 exec, exec, s[0:1]
	v_and_b32_e32 v6, 7, v0
	v_bfe_u32 v8, v0, 3, 2
	v_cmp_gt_i32_e32 vcc, s8, v8
	v_cmp_gt_i32_e64 s[0:1], s9, v6
	s_and_b64 s[0:1], vcc, s[0:1]
	s_and_saveexec_b64 s[14:15], s[0:1]
	s_cbranch_execz .LBB58_6
; %bb.3:
	s_load_dwordx2 s[14:15], s[12:13], 0x0
	s_load_dword s11, s[4:5], 0xc
	s_mul_i32 s6, s6, s8
	v_add_u32_e32 v2, s6, v8
	s_mul_i32 s1, s9, s8
	v_ashrrev_i32_e32 v3, 31, v2
	s_waitcnt lgkmcnt(0)
	s_sub_i32 s0, s14, s11
	s_sub_i32 s14, s15, s11
	;; [unrolled: 1-line block ×3, first 2 shown]
	s_mul_i32 s12, s15, s9
	v_lshrrev_b32_e32 v1, 5, v0
	s_mul_i32 s7, s0, s1
	v_mul_lo_u32 v0, s12, v8
	s_add_i32 s12, s12, s10
	v_lshlrev_b64 v[2:3], 2, v[2:3]
	s_add_i32 s12, s12, s7
	v_mov_b32_e32 v4, s3
	v_add_co_u32_e32 v2, vcc, s2, v2
	v_add_u32_e32 v0, s12, v0
	v_addc_co_u32_e32 v3, vcc, v4, v3, vcc
	global_store_dword v[2:3], v0, off offset:4
	v_add_u32_e32 v0, s0, v1
	v_cmp_gt_i32_e32 vcc, s14, v0
	s_and_b64 exec, exec, vcc
	s_cbranch_execz .LBB58_6
; %bb.4:
	s_load_dwordx2 s[16:17], s[4:5], 0x20
	s_load_dwordx2 s[2:3], s[4:5], 0x38
	s_load_dword s18, s[4:5], 0x0
	s_load_dwordx2 s[6:7], s[4:5], 0x10
	s_load_dwordx2 s[12:13], s[4:5], 0x48
	v_mad_u64_u32 v[4:5], s[4:5], v6, s8, v[8:9]
	s_waitcnt lgkmcnt(0)
	s_cmp_eq_u32 s18, 0
	v_mad_u64_u32 v[10:11], s[4:5], v8, s9, v[6:7]
	s_cselect_b64 vcc, -1, 0
	s_mul_i32 s0, s8, s0
	v_mul_lo_u32 v3, s15, v8
	v_cndmask_b32_e32 v4, v4, v10, vcc
	v_add3_u32 v1, v1, s0, v3
	v_add_u32_e32 v2, s10, v6
	v_mad_u64_u32 v[4:5], s[4:5], s1, v0, v[4:5]
	s_lshl_b32 s10, s1, 3
	v_mad_u64_u32 v[6:7], s[0:1], s9, v1, v[6:7]
	v_ashrrev_i32_e32 v1, 31, v0
	v_lshlrev_b64 v[8:9], 2, v[0:1]
	v_mov_b32_e32 v1, s17
	v_add_co_u32_e32 v8, vcc, s16, v8
	s_lshl_b32 s8, s9, 3
	v_addc_co_u32_e32 v9, vcc, v1, v9, vcc
	s_mov_b64 s[4:5], 0
	v_mov_b32_e32 v1, s13
	v_mov_b32_e32 v3, s7
	;; [unrolled: 1-line block ×3, first 2 shown]
.LBB58_5:                               ; =>This Inner Loop Header: Depth=1
	v_ashrrev_i32_e32 v5, 31, v4
	global_load_dword v11, v[8:9], off
	v_lshlrev_b64 v[12:13], 3, v[4:5]
	v_add_co_u32_e32 v12, vcc, s6, v12
	v_addc_co_u32_e32 v13, vcc, v3, v13, vcc
	global_load_dwordx2 v[12:13], v[12:13], off
	v_ashrrev_i32_e32 v7, 31, v6
	v_lshlrev_b64 v[14:15], 2, v[6:7]
	v_add_co_u32_e32 v8, vcc, 32, v8
	v_add_co_u32_e64 v14, s[0:1], s12, v14
	v_add_u32_e32 v0, 8, v0
	v_addc_co_u32_e32 v9, vcc, 0, v9, vcc
	v_lshlrev_b64 v[16:17], 3, v[6:7]
	v_addc_co_u32_e64 v15, s[0:1], v1, v15, s[0:1]
	v_cmp_le_i32_e32 vcc, s14, v0
	v_add_co_u32_e64 v16, s[0:1], s2, v16
	v_add_u32_e32 v4, s10, v4
	v_add_u32_e32 v6, s8, v6
	v_addc_co_u32_e64 v17, s[0:1], v10, v17, s[0:1]
	s_or_b64 s[4:5], vcc, s[4:5]
	s_waitcnt vmcnt(1)
	v_subrev_u32_e32 v5, s11, v11
	v_mad_u64_u32 v[18:19], s[0:1], v5, s9, v[2:3]
	global_store_dword v[14:15], v18, off
	s_waitcnt vmcnt(1)
	global_store_dwordx2 v[16:17], v[12:13], off
	s_andn2_b64 exec, exec, s[4:5]
	s_cbranch_execnz .LBB58_5
.LBB58_6:
	s_endpgm
	.section	.rodata,"a",@progbits
	.p2align	6, 0x0
	.amdhsa_kernel _ZN9rocsparseL35gebsr2csr_block_per_row_1_32_kernelILi256ELi4ELi8EdEEv20rocsparse_direction_ii21rocsparse_index_base_PKT2_PKiS7_iiS2_PS3_PiS9_
		.amdhsa_group_segment_fixed_size 0
		.amdhsa_private_segment_fixed_size 0
		.amdhsa_kernarg_size 80
		.amdhsa_user_sgpr_count 6
		.amdhsa_user_sgpr_private_segment_buffer 1
		.amdhsa_user_sgpr_dispatch_ptr 0
		.amdhsa_user_sgpr_queue_ptr 0
		.amdhsa_user_sgpr_kernarg_segment_ptr 1
		.amdhsa_user_sgpr_dispatch_id 0
		.amdhsa_user_sgpr_flat_scratch_init 0
		.amdhsa_user_sgpr_kernarg_preload_length 0
		.amdhsa_user_sgpr_kernarg_preload_offset 0
		.amdhsa_user_sgpr_private_segment_size 0
		.amdhsa_uses_dynamic_stack 0
		.amdhsa_system_sgpr_private_segment_wavefront_offset 0
		.amdhsa_system_sgpr_workgroup_id_x 1
		.amdhsa_system_sgpr_workgroup_id_y 0
		.amdhsa_system_sgpr_workgroup_id_z 0
		.amdhsa_system_sgpr_workgroup_info 0
		.amdhsa_system_vgpr_workitem_id 0
		.amdhsa_next_free_vgpr 20
		.amdhsa_next_free_sgpr 19
		.amdhsa_accum_offset 20
		.amdhsa_reserve_vcc 1
		.amdhsa_reserve_flat_scratch 0
		.amdhsa_float_round_mode_32 0
		.amdhsa_float_round_mode_16_64 0
		.amdhsa_float_denorm_mode_32 3
		.amdhsa_float_denorm_mode_16_64 3
		.amdhsa_dx10_clamp 1
		.amdhsa_ieee_mode 1
		.amdhsa_fp16_overflow 0
		.amdhsa_tg_split 0
		.amdhsa_exception_fp_ieee_invalid_op 0
		.amdhsa_exception_fp_denorm_src 0
		.amdhsa_exception_fp_ieee_div_zero 0
		.amdhsa_exception_fp_ieee_overflow 0
		.amdhsa_exception_fp_ieee_underflow 0
		.amdhsa_exception_fp_ieee_inexact 0
		.amdhsa_exception_int_div_zero 0
	.end_amdhsa_kernel
	.section	.text._ZN9rocsparseL35gebsr2csr_block_per_row_1_32_kernelILi256ELi4ELi8EdEEv20rocsparse_direction_ii21rocsparse_index_base_PKT2_PKiS7_iiS2_PS3_PiS9_,"axG",@progbits,_ZN9rocsparseL35gebsr2csr_block_per_row_1_32_kernelILi256ELi4ELi8EdEEv20rocsparse_direction_ii21rocsparse_index_base_PKT2_PKiS7_iiS2_PS3_PiS9_,comdat
.Lfunc_end58:
	.size	_ZN9rocsparseL35gebsr2csr_block_per_row_1_32_kernelILi256ELi4ELi8EdEEv20rocsparse_direction_ii21rocsparse_index_base_PKT2_PKiS7_iiS2_PS3_PiS9_, .Lfunc_end58-_ZN9rocsparseL35gebsr2csr_block_per_row_1_32_kernelILi256ELi4ELi8EdEEv20rocsparse_direction_ii21rocsparse_index_base_PKT2_PKiS7_iiS2_PS3_PiS9_
                                        ; -- End function
	.section	.AMDGPU.csdata,"",@progbits
; Kernel info:
; codeLenInByte = 564
; NumSgprs: 23
; NumVgprs: 20
; NumAgprs: 0
; TotalNumVgprs: 20
; ScratchSize: 0
; MemoryBound: 0
; FloatMode: 240
; IeeeMode: 1
; LDSByteSize: 0 bytes/workgroup (compile time only)
; SGPRBlocks: 2
; VGPRBlocks: 2
; NumSGPRsForWavesPerEU: 23
; NumVGPRsForWavesPerEU: 20
; AccumOffset: 20
; Occupancy: 8
; WaveLimiterHint : 0
; COMPUTE_PGM_RSRC2:SCRATCH_EN: 0
; COMPUTE_PGM_RSRC2:USER_SGPR: 6
; COMPUTE_PGM_RSRC2:TRAP_HANDLER: 0
; COMPUTE_PGM_RSRC2:TGID_X_EN: 1
; COMPUTE_PGM_RSRC2:TGID_Y_EN: 0
; COMPUTE_PGM_RSRC2:TGID_Z_EN: 0
; COMPUTE_PGM_RSRC2:TIDIG_COMP_CNT: 0
; COMPUTE_PGM_RSRC3_GFX90A:ACCUM_OFFSET: 4
; COMPUTE_PGM_RSRC3_GFX90A:TG_SPLIT: 0
	.section	.text._ZN9rocsparseL35gebsr2csr_block_per_row_1_32_kernelILi1024ELi4ELi16EdEEv20rocsparse_direction_ii21rocsparse_index_base_PKT2_PKiS7_iiS2_PS3_PiS9_,"axG",@progbits,_ZN9rocsparseL35gebsr2csr_block_per_row_1_32_kernelILi1024ELi4ELi16EdEEv20rocsparse_direction_ii21rocsparse_index_base_PKT2_PKiS7_iiS2_PS3_PiS9_,comdat
	.globl	_ZN9rocsparseL35gebsr2csr_block_per_row_1_32_kernelILi1024ELi4ELi16EdEEv20rocsparse_direction_ii21rocsparse_index_base_PKT2_PKiS7_iiS2_PS3_PiS9_ ; -- Begin function _ZN9rocsparseL35gebsr2csr_block_per_row_1_32_kernelILi1024ELi4ELi16EdEEv20rocsparse_direction_ii21rocsparse_index_base_PKT2_PKiS7_iiS2_PS3_PiS9_
	.p2align	8
	.type	_ZN9rocsparseL35gebsr2csr_block_per_row_1_32_kernelILi1024ELi4ELi16EdEEv20rocsparse_direction_ii21rocsparse_index_base_PKT2_PKiS7_iiS2_PS3_PiS9_,@function
_ZN9rocsparseL35gebsr2csr_block_per_row_1_32_kernelILi1024ELi4ELi16EdEEv20rocsparse_direction_ii21rocsparse_index_base_PKT2_PKiS7_iiS2_PS3_PiS9_: ; @_ZN9rocsparseL35gebsr2csr_block_per_row_1_32_kernelILi1024ELi4ELi16EdEEv20rocsparse_direction_ii21rocsparse_index_base_PKT2_PKiS7_iiS2_PS3_PiS9_
; %bb.0:
	s_load_dwordx2 s[0:1], s[4:5], 0x18
	s_load_dwordx4 s[8:11], s[4:5], 0x28
	s_load_dwordx2 s[2:3], s[4:5], 0x40
	s_ashr_i32 s7, s6, 31
	s_lshl_b64 s[12:13], s[6:7], 2
	s_waitcnt lgkmcnt(0)
	s_add_u32 s12, s0, s12
	v_or_b32_e32 v1, s6, v0
	s_addc_u32 s13, s1, s13
	v_cmp_eq_u32_e32 vcc, 0, v1
	s_and_saveexec_b64 s[0:1], vcc
	s_cbranch_execz .LBB59_2
; %bb.1:
	v_mov_b32_e32 v1, 0
	v_mov_b32_e32 v2, s10
	global_store_dword v1, v2, s[2:3]
.LBB59_2:
	s_or_b64 exec, exec, s[0:1]
	v_and_b32_e32 v6, 15, v0
	v_bfe_u32 v8, v0, 4, 2
	v_cmp_gt_i32_e32 vcc, s8, v8
	v_cmp_gt_i32_e64 s[0:1], s9, v6
	s_and_b64 s[0:1], vcc, s[0:1]
	s_and_saveexec_b64 s[14:15], s[0:1]
	s_cbranch_execz .LBB59_6
; %bb.3:
	s_load_dwordx2 s[14:15], s[12:13], 0x0
	s_load_dword s11, s[4:5], 0xc
	s_mul_i32 s6, s6, s8
	v_add_u32_e32 v2, s6, v8
	s_mul_i32 s1, s9, s8
	v_ashrrev_i32_e32 v3, 31, v2
	s_waitcnt lgkmcnt(0)
	s_sub_i32 s0, s14, s11
	s_sub_i32 s14, s15, s11
	;; [unrolled: 1-line block ×3, first 2 shown]
	s_mul_i32 s12, s15, s9
	v_lshrrev_b32_e32 v1, 6, v0
	s_mul_i32 s7, s0, s1
	v_mul_lo_u32 v0, s12, v8
	s_add_i32 s12, s12, s10
	v_lshlrev_b64 v[2:3], 2, v[2:3]
	s_add_i32 s12, s12, s7
	v_mov_b32_e32 v4, s3
	v_add_co_u32_e32 v2, vcc, s2, v2
	v_add_u32_e32 v0, s12, v0
	v_addc_co_u32_e32 v3, vcc, v4, v3, vcc
	global_store_dword v[2:3], v0, off offset:4
	v_add_u32_e32 v0, s0, v1
	v_cmp_gt_i32_e32 vcc, s14, v0
	s_and_b64 exec, exec, vcc
	s_cbranch_execz .LBB59_6
; %bb.4:
	s_load_dwordx2 s[16:17], s[4:5], 0x20
	s_load_dwordx2 s[2:3], s[4:5], 0x38
	s_load_dword s18, s[4:5], 0x0
	s_load_dwordx2 s[6:7], s[4:5], 0x10
	s_load_dwordx2 s[12:13], s[4:5], 0x48
	v_mad_u64_u32 v[4:5], s[4:5], v6, s8, v[8:9]
	s_waitcnt lgkmcnt(0)
	s_cmp_eq_u32 s18, 0
	v_mad_u64_u32 v[10:11], s[4:5], v8, s9, v[6:7]
	s_cselect_b64 vcc, -1, 0
	s_mul_i32 s0, s8, s0
	v_mul_lo_u32 v3, s15, v8
	v_cndmask_b32_e32 v4, v4, v10, vcc
	v_add3_u32 v1, v1, s0, v3
	v_add_u32_e32 v2, s10, v6
	v_mad_u64_u32 v[4:5], s[4:5], s1, v0, v[4:5]
	s_lshl_b32 s10, s1, 4
	v_mad_u64_u32 v[6:7], s[0:1], s9, v1, v[6:7]
	v_ashrrev_i32_e32 v1, 31, v0
	v_lshlrev_b64 v[8:9], 2, v[0:1]
	v_mov_b32_e32 v1, s17
	v_add_co_u32_e32 v8, vcc, s16, v8
	s_lshl_b32 s8, s9, 4
	v_addc_co_u32_e32 v9, vcc, v1, v9, vcc
	s_mov_b64 s[4:5], 0
	v_mov_b32_e32 v1, s13
	v_mov_b32_e32 v3, s7
	;; [unrolled: 1-line block ×3, first 2 shown]
.LBB59_5:                               ; =>This Inner Loop Header: Depth=1
	v_ashrrev_i32_e32 v5, 31, v4
	global_load_dword v11, v[8:9], off
	v_lshlrev_b64 v[12:13], 3, v[4:5]
	v_add_co_u32_e32 v12, vcc, s6, v12
	v_addc_co_u32_e32 v13, vcc, v3, v13, vcc
	global_load_dwordx2 v[12:13], v[12:13], off
	v_ashrrev_i32_e32 v7, 31, v6
	v_lshlrev_b64 v[14:15], 2, v[6:7]
	v_add_co_u32_e32 v8, vcc, 64, v8
	v_add_co_u32_e64 v14, s[0:1], s12, v14
	v_add_u32_e32 v0, 16, v0
	v_addc_co_u32_e32 v9, vcc, 0, v9, vcc
	v_lshlrev_b64 v[16:17], 3, v[6:7]
	v_addc_co_u32_e64 v15, s[0:1], v1, v15, s[0:1]
	v_cmp_le_i32_e32 vcc, s14, v0
	v_add_co_u32_e64 v16, s[0:1], s2, v16
	v_add_u32_e32 v4, s10, v4
	v_add_u32_e32 v6, s8, v6
	v_addc_co_u32_e64 v17, s[0:1], v10, v17, s[0:1]
	s_or_b64 s[4:5], vcc, s[4:5]
	s_waitcnt vmcnt(1)
	v_subrev_u32_e32 v5, s11, v11
	v_mad_u64_u32 v[18:19], s[0:1], v5, s9, v[2:3]
	global_store_dword v[14:15], v18, off
	s_waitcnt vmcnt(1)
	global_store_dwordx2 v[16:17], v[12:13], off
	s_andn2_b64 exec, exec, s[4:5]
	s_cbranch_execnz .LBB59_5
.LBB59_6:
	s_endpgm
	.section	.rodata,"a",@progbits
	.p2align	6, 0x0
	.amdhsa_kernel _ZN9rocsparseL35gebsr2csr_block_per_row_1_32_kernelILi1024ELi4ELi16EdEEv20rocsparse_direction_ii21rocsparse_index_base_PKT2_PKiS7_iiS2_PS3_PiS9_
		.amdhsa_group_segment_fixed_size 0
		.amdhsa_private_segment_fixed_size 0
		.amdhsa_kernarg_size 80
		.amdhsa_user_sgpr_count 6
		.amdhsa_user_sgpr_private_segment_buffer 1
		.amdhsa_user_sgpr_dispatch_ptr 0
		.amdhsa_user_sgpr_queue_ptr 0
		.amdhsa_user_sgpr_kernarg_segment_ptr 1
		.amdhsa_user_sgpr_dispatch_id 0
		.amdhsa_user_sgpr_flat_scratch_init 0
		.amdhsa_user_sgpr_kernarg_preload_length 0
		.amdhsa_user_sgpr_kernarg_preload_offset 0
		.amdhsa_user_sgpr_private_segment_size 0
		.amdhsa_uses_dynamic_stack 0
		.amdhsa_system_sgpr_private_segment_wavefront_offset 0
		.amdhsa_system_sgpr_workgroup_id_x 1
		.amdhsa_system_sgpr_workgroup_id_y 0
		.amdhsa_system_sgpr_workgroup_id_z 0
		.amdhsa_system_sgpr_workgroup_info 0
		.amdhsa_system_vgpr_workitem_id 0
		.amdhsa_next_free_vgpr 20
		.amdhsa_next_free_sgpr 19
		.amdhsa_accum_offset 20
		.amdhsa_reserve_vcc 1
		.amdhsa_reserve_flat_scratch 0
		.amdhsa_float_round_mode_32 0
		.amdhsa_float_round_mode_16_64 0
		.amdhsa_float_denorm_mode_32 3
		.amdhsa_float_denorm_mode_16_64 3
		.amdhsa_dx10_clamp 1
		.amdhsa_ieee_mode 1
		.amdhsa_fp16_overflow 0
		.amdhsa_tg_split 0
		.amdhsa_exception_fp_ieee_invalid_op 0
		.amdhsa_exception_fp_denorm_src 0
		.amdhsa_exception_fp_ieee_div_zero 0
		.amdhsa_exception_fp_ieee_overflow 0
		.amdhsa_exception_fp_ieee_underflow 0
		.amdhsa_exception_fp_ieee_inexact 0
		.amdhsa_exception_int_div_zero 0
	.end_amdhsa_kernel
	.section	.text._ZN9rocsparseL35gebsr2csr_block_per_row_1_32_kernelILi1024ELi4ELi16EdEEv20rocsparse_direction_ii21rocsparse_index_base_PKT2_PKiS7_iiS2_PS3_PiS9_,"axG",@progbits,_ZN9rocsparseL35gebsr2csr_block_per_row_1_32_kernelILi1024ELi4ELi16EdEEv20rocsparse_direction_ii21rocsparse_index_base_PKT2_PKiS7_iiS2_PS3_PiS9_,comdat
.Lfunc_end59:
	.size	_ZN9rocsparseL35gebsr2csr_block_per_row_1_32_kernelILi1024ELi4ELi16EdEEv20rocsparse_direction_ii21rocsparse_index_base_PKT2_PKiS7_iiS2_PS3_PiS9_, .Lfunc_end59-_ZN9rocsparseL35gebsr2csr_block_per_row_1_32_kernelILi1024ELi4ELi16EdEEv20rocsparse_direction_ii21rocsparse_index_base_PKT2_PKiS7_iiS2_PS3_PiS9_
                                        ; -- End function
	.section	.AMDGPU.csdata,"",@progbits
; Kernel info:
; codeLenInByte = 564
; NumSgprs: 23
; NumVgprs: 20
; NumAgprs: 0
; TotalNumVgprs: 20
; ScratchSize: 0
; MemoryBound: 0
; FloatMode: 240
; IeeeMode: 1
; LDSByteSize: 0 bytes/workgroup (compile time only)
; SGPRBlocks: 2
; VGPRBlocks: 2
; NumSGPRsForWavesPerEU: 23
; NumVGPRsForWavesPerEU: 20
; AccumOffset: 20
; Occupancy: 8
; WaveLimiterHint : 0
; COMPUTE_PGM_RSRC2:SCRATCH_EN: 0
; COMPUTE_PGM_RSRC2:USER_SGPR: 6
; COMPUTE_PGM_RSRC2:TRAP_HANDLER: 0
; COMPUTE_PGM_RSRC2:TGID_X_EN: 1
; COMPUTE_PGM_RSRC2:TGID_Y_EN: 0
; COMPUTE_PGM_RSRC2:TGID_Z_EN: 0
; COMPUTE_PGM_RSRC2:TIDIG_COMP_CNT: 0
; COMPUTE_PGM_RSRC3_GFX90A:ACCUM_OFFSET: 4
; COMPUTE_PGM_RSRC3_GFX90A:TG_SPLIT: 0
	.section	.text._ZN9rocsparseL35gebsr2csr_block_per_row_1_32_kernelILi1024ELi4ELi32EdEEv20rocsparse_direction_ii21rocsparse_index_base_PKT2_PKiS7_iiS2_PS3_PiS9_,"axG",@progbits,_ZN9rocsparseL35gebsr2csr_block_per_row_1_32_kernelILi1024ELi4ELi32EdEEv20rocsparse_direction_ii21rocsparse_index_base_PKT2_PKiS7_iiS2_PS3_PiS9_,comdat
	.globl	_ZN9rocsparseL35gebsr2csr_block_per_row_1_32_kernelILi1024ELi4ELi32EdEEv20rocsparse_direction_ii21rocsparse_index_base_PKT2_PKiS7_iiS2_PS3_PiS9_ ; -- Begin function _ZN9rocsparseL35gebsr2csr_block_per_row_1_32_kernelILi1024ELi4ELi32EdEEv20rocsparse_direction_ii21rocsparse_index_base_PKT2_PKiS7_iiS2_PS3_PiS9_
	.p2align	8
	.type	_ZN9rocsparseL35gebsr2csr_block_per_row_1_32_kernelILi1024ELi4ELi32EdEEv20rocsparse_direction_ii21rocsparse_index_base_PKT2_PKiS7_iiS2_PS3_PiS9_,@function
_ZN9rocsparseL35gebsr2csr_block_per_row_1_32_kernelILi1024ELi4ELi32EdEEv20rocsparse_direction_ii21rocsparse_index_base_PKT2_PKiS7_iiS2_PS3_PiS9_: ; @_ZN9rocsparseL35gebsr2csr_block_per_row_1_32_kernelILi1024ELi4ELi32EdEEv20rocsparse_direction_ii21rocsparse_index_base_PKT2_PKiS7_iiS2_PS3_PiS9_
; %bb.0:
	s_load_dwordx2 s[0:1], s[4:5], 0x18
	s_load_dwordx4 s[8:11], s[4:5], 0x28
	s_load_dwordx2 s[2:3], s[4:5], 0x40
	s_ashr_i32 s7, s6, 31
	s_lshl_b64 s[12:13], s[6:7], 2
	s_waitcnt lgkmcnt(0)
	s_add_u32 s12, s0, s12
	v_or_b32_e32 v1, s6, v0
	s_addc_u32 s13, s1, s13
	v_cmp_eq_u32_e32 vcc, 0, v1
	s_and_saveexec_b64 s[0:1], vcc
	s_cbranch_execz .LBB60_2
; %bb.1:
	v_mov_b32_e32 v1, 0
	v_mov_b32_e32 v2, s10
	global_store_dword v1, v2, s[2:3]
.LBB60_2:
	s_or_b64 exec, exec, s[0:1]
	v_and_b32_e32 v6, 31, v0
	v_bfe_u32 v8, v0, 5, 2
	v_cmp_gt_i32_e32 vcc, s8, v8
	v_cmp_gt_i32_e64 s[0:1], s9, v6
	s_and_b64 s[0:1], vcc, s[0:1]
	s_and_saveexec_b64 s[14:15], s[0:1]
	s_cbranch_execz .LBB60_6
; %bb.3:
	s_load_dwordx2 s[14:15], s[12:13], 0x0
	s_load_dword s11, s[4:5], 0xc
	s_mul_i32 s6, s6, s8
	v_add_u32_e32 v2, s6, v8
	s_mul_i32 s1, s9, s8
	v_ashrrev_i32_e32 v3, 31, v2
	s_waitcnt lgkmcnt(0)
	s_sub_i32 s0, s14, s11
	s_sub_i32 s14, s15, s11
	;; [unrolled: 1-line block ×3, first 2 shown]
	s_mul_i32 s12, s15, s9
	v_lshrrev_b32_e32 v1, 7, v0
	s_mul_i32 s7, s0, s1
	v_mul_lo_u32 v0, s12, v8
	s_add_i32 s12, s12, s10
	v_lshlrev_b64 v[2:3], 2, v[2:3]
	s_add_i32 s12, s12, s7
	v_mov_b32_e32 v4, s3
	v_add_co_u32_e32 v2, vcc, s2, v2
	v_add_u32_e32 v0, s12, v0
	v_addc_co_u32_e32 v3, vcc, v4, v3, vcc
	global_store_dword v[2:3], v0, off offset:4
	v_add_u32_e32 v0, s0, v1
	v_cmp_gt_i32_e32 vcc, s14, v0
	s_and_b64 exec, exec, vcc
	s_cbranch_execz .LBB60_6
; %bb.4:
	s_load_dwordx2 s[16:17], s[4:5], 0x20
	s_load_dwordx2 s[2:3], s[4:5], 0x38
	s_load_dword s18, s[4:5], 0x0
	s_load_dwordx2 s[6:7], s[4:5], 0x10
	s_load_dwordx2 s[12:13], s[4:5], 0x48
	v_mad_u64_u32 v[4:5], s[4:5], v6, s8, v[8:9]
	s_waitcnt lgkmcnt(0)
	s_cmp_eq_u32 s18, 0
	v_mad_u64_u32 v[10:11], s[4:5], v8, s9, v[6:7]
	s_cselect_b64 vcc, -1, 0
	s_mul_i32 s0, s8, s0
	v_mul_lo_u32 v3, s15, v8
	v_cndmask_b32_e32 v4, v4, v10, vcc
	v_add3_u32 v1, v1, s0, v3
	v_add_u32_e32 v2, s10, v6
	v_mad_u64_u32 v[4:5], s[4:5], s1, v0, v[4:5]
	s_lshl_b32 s10, s1, 3
	v_mad_u64_u32 v[6:7], s[0:1], s9, v1, v[6:7]
	v_ashrrev_i32_e32 v1, 31, v0
	v_lshlrev_b64 v[8:9], 2, v[0:1]
	v_mov_b32_e32 v1, s17
	v_add_co_u32_e32 v8, vcc, s16, v8
	s_lshl_b32 s8, s9, 3
	v_addc_co_u32_e32 v9, vcc, v1, v9, vcc
	s_mov_b64 s[4:5], 0
	v_mov_b32_e32 v1, s13
	v_mov_b32_e32 v3, s7
	;; [unrolled: 1-line block ×3, first 2 shown]
.LBB60_5:                               ; =>This Inner Loop Header: Depth=1
	v_ashrrev_i32_e32 v5, 31, v4
	global_load_dword v11, v[8:9], off
	v_lshlrev_b64 v[12:13], 3, v[4:5]
	v_add_co_u32_e32 v12, vcc, s6, v12
	v_addc_co_u32_e32 v13, vcc, v3, v13, vcc
	global_load_dwordx2 v[12:13], v[12:13], off
	v_ashrrev_i32_e32 v7, 31, v6
	v_lshlrev_b64 v[14:15], 2, v[6:7]
	v_add_co_u32_e32 v8, vcc, 32, v8
	v_add_co_u32_e64 v14, s[0:1], s12, v14
	v_add_u32_e32 v0, 8, v0
	v_addc_co_u32_e32 v9, vcc, 0, v9, vcc
	v_lshlrev_b64 v[16:17], 3, v[6:7]
	v_addc_co_u32_e64 v15, s[0:1], v1, v15, s[0:1]
	v_cmp_le_i32_e32 vcc, s14, v0
	v_add_co_u32_e64 v16, s[0:1], s2, v16
	v_add_u32_e32 v4, s10, v4
	v_add_u32_e32 v6, s8, v6
	v_addc_co_u32_e64 v17, s[0:1], v10, v17, s[0:1]
	s_or_b64 s[4:5], vcc, s[4:5]
	s_waitcnt vmcnt(1)
	v_subrev_u32_e32 v5, s11, v11
	v_mad_u64_u32 v[18:19], s[0:1], v5, s9, v[2:3]
	global_store_dword v[14:15], v18, off
	s_waitcnt vmcnt(1)
	global_store_dwordx2 v[16:17], v[12:13], off
	s_andn2_b64 exec, exec, s[4:5]
	s_cbranch_execnz .LBB60_5
.LBB60_6:
	s_endpgm
	.section	.rodata,"a",@progbits
	.p2align	6, 0x0
	.amdhsa_kernel _ZN9rocsparseL35gebsr2csr_block_per_row_1_32_kernelILi1024ELi4ELi32EdEEv20rocsparse_direction_ii21rocsparse_index_base_PKT2_PKiS7_iiS2_PS3_PiS9_
		.amdhsa_group_segment_fixed_size 0
		.amdhsa_private_segment_fixed_size 0
		.amdhsa_kernarg_size 80
		.amdhsa_user_sgpr_count 6
		.amdhsa_user_sgpr_private_segment_buffer 1
		.amdhsa_user_sgpr_dispatch_ptr 0
		.amdhsa_user_sgpr_queue_ptr 0
		.amdhsa_user_sgpr_kernarg_segment_ptr 1
		.amdhsa_user_sgpr_dispatch_id 0
		.amdhsa_user_sgpr_flat_scratch_init 0
		.amdhsa_user_sgpr_kernarg_preload_length 0
		.amdhsa_user_sgpr_kernarg_preload_offset 0
		.amdhsa_user_sgpr_private_segment_size 0
		.amdhsa_uses_dynamic_stack 0
		.amdhsa_system_sgpr_private_segment_wavefront_offset 0
		.amdhsa_system_sgpr_workgroup_id_x 1
		.amdhsa_system_sgpr_workgroup_id_y 0
		.amdhsa_system_sgpr_workgroup_id_z 0
		.amdhsa_system_sgpr_workgroup_info 0
		.amdhsa_system_vgpr_workitem_id 0
		.amdhsa_next_free_vgpr 20
		.amdhsa_next_free_sgpr 19
		.amdhsa_accum_offset 20
		.amdhsa_reserve_vcc 1
		.amdhsa_reserve_flat_scratch 0
		.amdhsa_float_round_mode_32 0
		.amdhsa_float_round_mode_16_64 0
		.amdhsa_float_denorm_mode_32 3
		.amdhsa_float_denorm_mode_16_64 3
		.amdhsa_dx10_clamp 1
		.amdhsa_ieee_mode 1
		.amdhsa_fp16_overflow 0
		.amdhsa_tg_split 0
		.amdhsa_exception_fp_ieee_invalid_op 0
		.amdhsa_exception_fp_denorm_src 0
		.amdhsa_exception_fp_ieee_div_zero 0
		.amdhsa_exception_fp_ieee_overflow 0
		.amdhsa_exception_fp_ieee_underflow 0
		.amdhsa_exception_fp_ieee_inexact 0
		.amdhsa_exception_int_div_zero 0
	.end_amdhsa_kernel
	.section	.text._ZN9rocsparseL35gebsr2csr_block_per_row_1_32_kernelILi1024ELi4ELi32EdEEv20rocsparse_direction_ii21rocsparse_index_base_PKT2_PKiS7_iiS2_PS3_PiS9_,"axG",@progbits,_ZN9rocsparseL35gebsr2csr_block_per_row_1_32_kernelILi1024ELi4ELi32EdEEv20rocsparse_direction_ii21rocsparse_index_base_PKT2_PKiS7_iiS2_PS3_PiS9_,comdat
.Lfunc_end60:
	.size	_ZN9rocsparseL35gebsr2csr_block_per_row_1_32_kernelILi1024ELi4ELi32EdEEv20rocsparse_direction_ii21rocsparse_index_base_PKT2_PKiS7_iiS2_PS3_PiS9_, .Lfunc_end60-_ZN9rocsparseL35gebsr2csr_block_per_row_1_32_kernelILi1024ELi4ELi32EdEEv20rocsparse_direction_ii21rocsparse_index_base_PKT2_PKiS7_iiS2_PS3_PiS9_
                                        ; -- End function
	.section	.AMDGPU.csdata,"",@progbits
; Kernel info:
; codeLenInByte = 564
; NumSgprs: 23
; NumVgprs: 20
; NumAgprs: 0
; TotalNumVgprs: 20
; ScratchSize: 0
; MemoryBound: 0
; FloatMode: 240
; IeeeMode: 1
; LDSByteSize: 0 bytes/workgroup (compile time only)
; SGPRBlocks: 2
; VGPRBlocks: 2
; NumSGPRsForWavesPerEU: 23
; NumVGPRsForWavesPerEU: 20
; AccumOffset: 20
; Occupancy: 8
; WaveLimiterHint : 0
; COMPUTE_PGM_RSRC2:SCRATCH_EN: 0
; COMPUTE_PGM_RSRC2:USER_SGPR: 6
; COMPUTE_PGM_RSRC2:TRAP_HANDLER: 0
; COMPUTE_PGM_RSRC2:TGID_X_EN: 1
; COMPUTE_PGM_RSRC2:TGID_Y_EN: 0
; COMPUTE_PGM_RSRC2:TGID_Z_EN: 0
; COMPUTE_PGM_RSRC2:TIDIG_COMP_CNT: 0
; COMPUTE_PGM_RSRC3_GFX90A:ACCUM_OFFSET: 4
; COMPUTE_PGM_RSRC3_GFX90A:TG_SPLIT: 0
	.section	.text._ZN9rocsparseL37gebsr2csr_block_per_row_33_128_kernelILi1024ELi4ELi64ELi4ELi32EdEEv20rocsparse_direction_ii21rocsparse_index_base_PKT4_PKiS7_iiS2_PS3_PiS9_,"axG",@progbits,_ZN9rocsparseL37gebsr2csr_block_per_row_33_128_kernelILi1024ELi4ELi64ELi4ELi32EdEEv20rocsparse_direction_ii21rocsparse_index_base_PKT4_PKiS7_iiS2_PS3_PiS9_,comdat
	.globl	_ZN9rocsparseL37gebsr2csr_block_per_row_33_128_kernelILi1024ELi4ELi64ELi4ELi32EdEEv20rocsparse_direction_ii21rocsparse_index_base_PKT4_PKiS7_iiS2_PS3_PiS9_ ; -- Begin function _ZN9rocsparseL37gebsr2csr_block_per_row_33_128_kernelILi1024ELi4ELi64ELi4ELi32EdEEv20rocsparse_direction_ii21rocsparse_index_base_PKT4_PKiS7_iiS2_PS3_PiS9_
	.p2align	8
	.type	_ZN9rocsparseL37gebsr2csr_block_per_row_33_128_kernelILi1024ELi4ELi64ELi4ELi32EdEEv20rocsparse_direction_ii21rocsparse_index_base_PKT4_PKiS7_iiS2_PS3_PiS9_,@function
_ZN9rocsparseL37gebsr2csr_block_per_row_33_128_kernelILi1024ELi4ELi64ELi4ELi32EdEEv20rocsparse_direction_ii21rocsparse_index_base_PKT4_PKiS7_iiS2_PS3_PiS9_: ; @_ZN9rocsparseL37gebsr2csr_block_per_row_33_128_kernelILi1024ELi4ELi64ELi4ELi32EdEEv20rocsparse_direction_ii21rocsparse_index_base_PKT4_PKiS7_iiS2_PS3_PiS9_
; %bb.0:
	s_load_dwordx2 s[0:1], s[4:5], 0x18
	s_load_dwordx4 s[8:11], s[4:5], 0x28
	s_load_dwordx2 s[2:3], s[4:5], 0x40
	s_ashr_i32 s7, s6, 31
	s_lshl_b64 s[12:13], s[6:7], 2
	s_waitcnt lgkmcnt(0)
	s_add_u32 s0, s0, s12
	s_addc_u32 s1, s1, s13
	s_load_dwordx2 s[14:15], s[0:1], 0x0
	v_or_b32_e32 v1, s6, v0
	v_cmp_eq_u32_e32 vcc, 0, v1
	s_and_saveexec_b64 s[0:1], vcc
	s_cbranch_execz .LBB61_2
; %bb.1:
	v_mov_b32_e32 v1, 0
	v_mov_b32_e32 v2, s10
	global_store_dword v1, v2, s[2:3]
.LBB61_2:
	s_or_b64 exec, exec, s[0:1]
	s_load_dword s11, s[4:5], 0xc
	v_lshrrev_b32_e32 v4, 5, v0
	v_cmp_gt_i32_e64 s[0:1], s8, v4
	s_mul_i32 s23, s9, s8
	s_waitcnt lgkmcnt(0)
	s_sub_i32 s12, s14, s11
	s_sub_i32 s22, s15, s11
	s_and_saveexec_b64 s[16:17], s[0:1]
	s_cbranch_execz .LBB61_4
; %bb.3:
	s_mul_i32 s6, s6, s8
	v_add_u32_e32 v2, s6, v4
	s_mul_i32 s7, s23, s12
	s_sub_i32 s13, s22, s12
	v_ashrrev_i32_e32 v3, 31, v2
	s_mul_i32 s13, s13, s9
	s_add_i32 s7, s7, s10
	v_lshlrev_b64 v[2:3], 2, v[2:3]
	v_mul_lo_u32 v1, s13, v4
	s_add_i32 s7, s7, s13
	v_mov_b32_e32 v5, s3
	v_add_co_u32_e32 v2, vcc, s2, v2
	v_add_u32_e32 v1, s7, v1
	v_addc_co_u32_e32 v3, vcc, v5, v3, vcc
	global_store_dword v[2:3], v1, off offset:4
.LBB61_4:
	s_or_b64 exec, exec, s[16:17]
	s_cmp_ge_i32 s14, s15
	s_cbranch_scc1 .LBB61_11
; %bb.5:
	s_load_dwordx2 s[18:19], s[4:5], 0x20
	s_load_dwordx2 s[6:7], s[4:5], 0x38
	;; [unrolled: 1-line block ×4, first 2 shown]
	s_load_dword s2, s[4:5], 0x0
	s_mul_i32 s13, s8, s12
	v_and_b32_e32 v0, 31, v0
	v_add_u32_e32 v1, s13, v4
	v_mad_u64_u32 v[2:3], s[4:5], s9, v1, v[0:1]
	s_mul_i32 s4, s9, s12
	s_sub_i32 s3, s22, s12
	v_add_u32_e32 v3, s4, v0
	v_mul_lo_u32 v6, s3, v4
	s_waitcnt lgkmcnt(0)
	s_cmp_eq_u32 s2, 0
	v_cmp_gt_i32_e64 s[2:3], s9, v0
	v_mad_u64_u32 v[8:9], s[4:5], s8, v3, v[4:5]
	v_or_b32_e32 v1, 32, v0
	s_cselect_b64 vcc, -1, 0
	s_and_b64 s[4:5], s[0:1], s[2:3]
	v_cmp_gt_i32_e64 s[2:3], s9, v1
	v_add_u32_e32 v3, 32, v3
	s_and_b64 s[2:3], s[0:1], s[2:3]
	v_mad_u64_u32 v[4:5], s[0:1], s8, v3, v[4:5]
	v_add_u32_e32 v3, s13, v6
	v_mad_u64_u32 v[6:7], s[0:1], s9, v3, v[0:1]
	s_ashr_i32 s13, s12, 31
	s_lshl_b64 s[0:1], s[12:13], 2
	s_add_u32 s18, s18, s0
	s_mov_b32 s24, 0
	s_addc_u32 s19, s19, s1
	v_cndmask_b32_e32 v3, v8, v2, vcc
	s_branch .LBB61_7
.LBB61_6:                               ;   in Loop: Header=BB61_7 Depth=1
	s_or_b64 exec, exec, s[20:21]
	s_add_i32 s12, s12, 1
	s_add_i32 s24, s24, s23
	s_add_u32 s18, s18, 4
	s_addc_u32 s19, s19, 0
	s_cmp_ge_i32 s12, s22
	v_add_u32_e32 v6, s9, v6
	s_cbranch_scc1 .LBB61_11
.LBB61_7:                               ; =>This Inner Loop Header: Depth=1
	s_load_dword s0, s[18:19], 0x0
	s_waitcnt lgkmcnt(0)
	s_sub_i32 s0, s0, s11
	s_mul_i32 s8, s0, s9
	s_add_i32 s8, s8, s10
	s_and_saveexec_b64 s[20:21], s[4:5]
	s_cbranch_execz .LBB61_9
; %bb.8:                                ;   in Loop: Header=BB61_7 Depth=1
	v_add_u32_e32 v8, s24, v3
	v_ashrrev_i32_e32 v9, 31, v8
	v_lshlrev_b64 v[8:9], 3, v[8:9]
	v_mov_b32_e32 v5, s17
	v_add_co_u32_e64 v8, s[0:1], s16, v8
	v_addc_co_u32_e64 v9, s[0:1], v5, v9, s[0:1]
	global_load_dwordx2 v[8:9], v[8:9], off
	v_ashrrev_i32_e32 v7, 31, v6
	v_lshlrev_b64 v[10:11], 2, v[6:7]
	v_mov_b32_e32 v12, s15
	v_add_co_u32_e64 v10, s[0:1], s14, v10
	v_add_u32_e32 v5, s8, v0
	v_addc_co_u32_e64 v11, s[0:1], v12, v11, s[0:1]
	global_store_dword v[10:11], v5, off
	v_lshlrev_b64 v[10:11], 3, v[6:7]
	v_mov_b32_e32 v5, s7
	v_add_co_u32_e64 v10, s[0:1], s6, v10
	v_addc_co_u32_e64 v11, s[0:1], v5, v11, s[0:1]
	s_waitcnt vmcnt(1)
	global_store_dwordx2 v[10:11], v[8:9], off
.LBB61_9:                               ;   in Loop: Header=BB61_7 Depth=1
	s_or_b64 exec, exec, s[20:21]
	s_and_saveexec_b64 s[20:21], s[2:3]
	s_cbranch_execz .LBB61_6
; %bb.10:                               ;   in Loop: Header=BB61_7 Depth=1
	v_add3_u32 v5, v2, s24, 32
	v_add_u32_e32 v7, s24, v4
	v_cndmask_b32_e32 v8, v7, v5, vcc
	v_ashrrev_i32_e32 v9, 31, v8
	v_lshlrev_b64 v[8:9], 3, v[8:9]
	v_mov_b32_e32 v5, s17
	v_add_co_u32_e64 v8, s[0:1], s16, v8
	v_addc_co_u32_e64 v9, s[0:1], v5, v9, s[0:1]
	global_load_dwordx2 v[8:9], v[8:9], off
	v_add_u32_e32 v10, 32, v6
	v_ashrrev_i32_e32 v11, 31, v10
	v_lshlrev_b64 v[12:13], 2, v[10:11]
	v_mov_b32_e32 v7, s15
	v_add_co_u32_e64 v12, s[0:1], s14, v12
	v_add_u32_e32 v5, s8, v1
	v_addc_co_u32_e64 v13, s[0:1], v7, v13, s[0:1]
	v_lshlrev_b64 v[10:11], 3, v[10:11]
	global_store_dword v[12:13], v5, off
	v_mov_b32_e32 v5, s7
	v_add_co_u32_e64 v10, s[0:1], s6, v10
	v_addc_co_u32_e64 v11, s[0:1], v5, v11, s[0:1]
	s_waitcnt vmcnt(1)
	global_store_dwordx2 v[10:11], v[8:9], off
	s_branch .LBB61_6
.LBB61_11:
	s_endpgm
	.section	.rodata,"a",@progbits
	.p2align	6, 0x0
	.amdhsa_kernel _ZN9rocsparseL37gebsr2csr_block_per_row_33_128_kernelILi1024ELi4ELi64ELi4ELi32EdEEv20rocsparse_direction_ii21rocsparse_index_base_PKT4_PKiS7_iiS2_PS3_PiS9_
		.amdhsa_group_segment_fixed_size 0
		.amdhsa_private_segment_fixed_size 0
		.amdhsa_kernarg_size 80
		.amdhsa_user_sgpr_count 6
		.amdhsa_user_sgpr_private_segment_buffer 1
		.amdhsa_user_sgpr_dispatch_ptr 0
		.amdhsa_user_sgpr_queue_ptr 0
		.amdhsa_user_sgpr_kernarg_segment_ptr 1
		.amdhsa_user_sgpr_dispatch_id 0
		.amdhsa_user_sgpr_flat_scratch_init 0
		.amdhsa_user_sgpr_kernarg_preload_length 0
		.amdhsa_user_sgpr_kernarg_preload_offset 0
		.amdhsa_user_sgpr_private_segment_size 0
		.amdhsa_uses_dynamic_stack 0
		.amdhsa_system_sgpr_private_segment_wavefront_offset 0
		.amdhsa_system_sgpr_workgroup_id_x 1
		.amdhsa_system_sgpr_workgroup_id_y 0
		.amdhsa_system_sgpr_workgroup_id_z 0
		.amdhsa_system_sgpr_workgroup_info 0
		.amdhsa_system_vgpr_workitem_id 0
		.amdhsa_next_free_vgpr 14
		.amdhsa_next_free_sgpr 25
		.amdhsa_accum_offset 16
		.amdhsa_reserve_vcc 1
		.amdhsa_reserve_flat_scratch 0
		.amdhsa_float_round_mode_32 0
		.amdhsa_float_round_mode_16_64 0
		.amdhsa_float_denorm_mode_32 3
		.amdhsa_float_denorm_mode_16_64 3
		.amdhsa_dx10_clamp 1
		.amdhsa_ieee_mode 1
		.amdhsa_fp16_overflow 0
		.amdhsa_tg_split 0
		.amdhsa_exception_fp_ieee_invalid_op 0
		.amdhsa_exception_fp_denorm_src 0
		.amdhsa_exception_fp_ieee_div_zero 0
		.amdhsa_exception_fp_ieee_overflow 0
		.amdhsa_exception_fp_ieee_underflow 0
		.amdhsa_exception_fp_ieee_inexact 0
		.amdhsa_exception_int_div_zero 0
	.end_amdhsa_kernel
	.section	.text._ZN9rocsparseL37gebsr2csr_block_per_row_33_128_kernelILi1024ELi4ELi64ELi4ELi32EdEEv20rocsparse_direction_ii21rocsparse_index_base_PKT4_PKiS7_iiS2_PS3_PiS9_,"axG",@progbits,_ZN9rocsparseL37gebsr2csr_block_per_row_33_128_kernelILi1024ELi4ELi64ELi4ELi32EdEEv20rocsparse_direction_ii21rocsparse_index_base_PKT4_PKiS7_iiS2_PS3_PiS9_,comdat
.Lfunc_end61:
	.size	_ZN9rocsparseL37gebsr2csr_block_per_row_33_128_kernelILi1024ELi4ELi64ELi4ELi32EdEEv20rocsparse_direction_ii21rocsparse_index_base_PKT4_PKiS7_iiS2_PS3_PiS9_, .Lfunc_end61-_ZN9rocsparseL37gebsr2csr_block_per_row_33_128_kernelILi1024ELi4ELi64ELi4ELi32EdEEv20rocsparse_direction_ii21rocsparse_index_base_PKT4_PKiS7_iiS2_PS3_PiS9_
                                        ; -- End function
	.section	.AMDGPU.csdata,"",@progbits
; Kernel info:
; codeLenInByte = 752
; NumSgprs: 29
; NumVgprs: 14
; NumAgprs: 0
; TotalNumVgprs: 14
; ScratchSize: 0
; MemoryBound: 0
; FloatMode: 240
; IeeeMode: 1
; LDSByteSize: 0 bytes/workgroup (compile time only)
; SGPRBlocks: 3
; VGPRBlocks: 1
; NumSGPRsForWavesPerEU: 29
; NumVGPRsForWavesPerEU: 14
; AccumOffset: 16
; Occupancy: 8
; WaveLimiterHint : 1
; COMPUTE_PGM_RSRC2:SCRATCH_EN: 0
; COMPUTE_PGM_RSRC2:USER_SGPR: 6
; COMPUTE_PGM_RSRC2:TRAP_HANDLER: 0
; COMPUTE_PGM_RSRC2:TGID_X_EN: 1
; COMPUTE_PGM_RSRC2:TGID_Y_EN: 0
; COMPUTE_PGM_RSRC2:TGID_Z_EN: 0
; COMPUTE_PGM_RSRC2:TIDIG_COMP_CNT: 0
; COMPUTE_PGM_RSRC3_GFX90A:ACCUM_OFFSET: 3
; COMPUTE_PGM_RSRC3_GFX90A:TG_SPLIT: 0
	.section	.text._ZN9rocsparseL37gebsr2csr_block_per_row_33_128_kernelILi1024ELi4ELi128ELi4ELi32EdEEv20rocsparse_direction_ii21rocsparse_index_base_PKT4_PKiS7_iiS2_PS3_PiS9_,"axG",@progbits,_ZN9rocsparseL37gebsr2csr_block_per_row_33_128_kernelILi1024ELi4ELi128ELi4ELi32EdEEv20rocsparse_direction_ii21rocsparse_index_base_PKT4_PKiS7_iiS2_PS3_PiS9_,comdat
	.globl	_ZN9rocsparseL37gebsr2csr_block_per_row_33_128_kernelILi1024ELi4ELi128ELi4ELi32EdEEv20rocsparse_direction_ii21rocsparse_index_base_PKT4_PKiS7_iiS2_PS3_PiS9_ ; -- Begin function _ZN9rocsparseL37gebsr2csr_block_per_row_33_128_kernelILi1024ELi4ELi128ELi4ELi32EdEEv20rocsparse_direction_ii21rocsparse_index_base_PKT4_PKiS7_iiS2_PS3_PiS9_
	.p2align	8
	.type	_ZN9rocsparseL37gebsr2csr_block_per_row_33_128_kernelILi1024ELi4ELi128ELi4ELi32EdEEv20rocsparse_direction_ii21rocsparse_index_base_PKT4_PKiS7_iiS2_PS3_PiS9_,@function
_ZN9rocsparseL37gebsr2csr_block_per_row_33_128_kernelILi1024ELi4ELi128ELi4ELi32EdEEv20rocsparse_direction_ii21rocsparse_index_base_PKT4_PKiS7_iiS2_PS3_PiS9_: ; @_ZN9rocsparseL37gebsr2csr_block_per_row_33_128_kernelILi1024ELi4ELi128ELi4ELi32EdEEv20rocsparse_direction_ii21rocsparse_index_base_PKT4_PKiS7_iiS2_PS3_PiS9_
; %bb.0:
	s_load_dwordx2 s[0:1], s[4:5], 0x18
	s_load_dwordx4 s[8:11], s[4:5], 0x28
	s_load_dwordx2 s[2:3], s[4:5], 0x40
	s_ashr_i32 s7, s6, 31
	s_lshl_b64 s[12:13], s[6:7], 2
	s_waitcnt lgkmcnt(0)
	s_add_u32 s0, s0, s12
	s_addc_u32 s1, s1, s13
	s_load_dwordx2 s[14:15], s[0:1], 0x0
	v_or_b32_e32 v1, s6, v0
	v_cmp_eq_u32_e32 vcc, 0, v1
	s_and_saveexec_b64 s[0:1], vcc
	s_cbranch_execz .LBB62_2
; %bb.1:
	v_mov_b32_e32 v1, 0
	v_mov_b32_e32 v2, s10
	global_store_dword v1, v2, s[2:3]
.LBB62_2:
	s_or_b64 exec, exec, s[0:1]
	s_load_dword s11, s[4:5], 0xc
	v_lshrrev_b32_e32 v1, 5, v0
	v_cmp_gt_i32_e64 s[0:1], s8, v1
	s_mul_i32 s27, s9, s8
	s_waitcnt lgkmcnt(0)
	s_sub_i32 s12, s14, s11
	s_sub_i32 s26, s15, s11
	s_and_saveexec_b64 s[16:17], s[0:1]
	s_cbranch_execz .LBB62_4
; %bb.3:
	s_mul_i32 s7, s27, s12
	s_sub_i32 s13, s26, s12
	s_mul_i32 s13, s13, s9
	s_add_i32 s7, s7, s10
	v_mul_lo_u32 v2, s13, v1
	s_add_i32 s7, s7, s13
	s_mul_i32 s6, s6, s8
	v_add_u32_e32 v4, s7, v2
	v_add_u32_e32 v2, s6, v1
	v_ashrrev_i32_e32 v3, 31, v2
	v_lshlrev_b64 v[2:3], 2, v[2:3]
	v_mov_b32_e32 v5, s3
	v_add_co_u32_e32 v2, vcc, s2, v2
	v_addc_co_u32_e32 v3, vcc, v5, v3, vcc
	global_store_dword v[2:3], v4, off offset:4
.LBB62_4:
	s_or_b64 exec, exec, s[16:17]
	s_cmp_ge_i32 s14, s15
	s_cbranch_scc1 .LBB62_15
; %bb.5:
	s_load_dwordx2 s[22:23], s[4:5], 0x20
	s_load_dwordx2 s[6:7], s[4:5], 0x38
	;; [unrolled: 1-line block ×3, first 2 shown]
	s_load_dword s2, s[4:5], 0x0
	s_load_dwordx2 s[16:17], s[4:5], 0x48
	v_and_b32_e32 v0, 31, v0
	s_sub_i32 s3, s26, s12
	v_mul_lo_u32 v10, s3, v1
	s_waitcnt lgkmcnt(0)
	s_cmp_eq_u32 s2, 0
	v_cmp_gt_i32_e64 s[2:3], s9, v0
	v_or_b32_e32 v2, 32, v0
	s_cselect_b64 vcc, -1, 0
	s_and_b64 s[4:5], s[0:1], s[2:3]
	v_cmp_gt_i32_e64 s[2:3], s9, v2
	v_or_b32_e32 v3, 64, v0
	s_and_b64 s[18:19], s[0:1], s[2:3]
	v_cmp_gt_i32_e64 s[2:3], s9, v3
	v_or_b32_e32 v4, 0x60, v0
	s_and_b64 s[20:21], s[0:1], s[2:3]
	v_cmp_gt_i32_e64 s[2:3], s9, v4
	s_and_b64 s[2:3], s[0:1], s[2:3]
	s_mul_i32 s0, s8, s12
	s_mul_i32 s1, s9, s12
	s_ashr_i32 s13, s12, 31
	v_add_u32_e32 v5, s0, v1
	v_add_u32_e32 v9, s1, v0
	;; [unrolled: 1-line block ×3, first 2 shown]
	s_lshl_b64 s[0:1], s[12:13], 2
	v_add_u32_e32 v6, 0x60, v9
	v_add_u32_e32 v7, 64, v9
	;; [unrolled: 1-line block ×3, first 2 shown]
	s_add_u32 s22, s22, s0
	s_movk_i32 s28, 0x60
	v_mul_lo_u32 v5, s9, v5
	v_mul_lo_u32 v6, s8, v6
	;; [unrolled: 1-line block ×6, first 2 shown]
	s_addc_u32 s23, s23, s1
	s_branch .LBB62_7
.LBB62_6:                               ;   in Loop: Header=BB62_7 Depth=1
	s_or_b64 exec, exec, s[24:25]
	s_add_i32 s12, s12, 1
	s_add_u32 s22, s22, 4
	s_addc_u32 s23, s23, 0
	v_add_u32_e32 v5, s27, v5
	v_add_u32_e32 v1, s27, v1
	s_cmp_ge_i32 s12, s26
	v_add_u32_e32 v10, s9, v10
	s_cbranch_scc1 .LBB62_15
.LBB62_7:                               ; =>This Inner Loop Header: Depth=1
	s_load_dword s0, s[22:23], 0x0
	s_waitcnt lgkmcnt(0)
	s_sub_i32 s0, s0, s11
	s_mul_i32 s8, s0, s9
	s_add_i32 s8, s8, s10
	s_and_saveexec_b64 s[24:25], s[4:5]
	s_cbranch_execnz .LBB62_11
; %bb.8:                                ;   in Loop: Header=BB62_7 Depth=1
	s_or_b64 exec, exec, s[24:25]
	s_and_saveexec_b64 s[24:25], s[18:19]
	s_cbranch_execnz .LBB62_12
.LBB62_9:                               ;   in Loop: Header=BB62_7 Depth=1
	s_or_b64 exec, exec, s[24:25]
	s_and_saveexec_b64 s[24:25], s[20:21]
	s_cbranch_execnz .LBB62_13
.LBB62_10:                              ;   in Loop: Header=BB62_7 Depth=1
	s_or_b64 exec, exec, s[24:25]
	s_and_saveexec_b64 s[24:25], s[2:3]
	s_cbranch_execz .LBB62_6
	s_branch .LBB62_14
.LBB62_11:                              ;   in Loop: Header=BB62_7 Depth=1
	v_add_u32_e32 v11, v0, v5
	v_add_u32_e32 v12, v9, v1
	v_cndmask_b32_e32 v12, v12, v11, vcc
	v_ashrrev_i32_e32 v13, 31, v12
	v_lshlrev_b64 v[12:13], 3, v[12:13]
	v_mov_b32_e32 v11, s15
	v_add_co_u32_e64 v12, s[0:1], s14, v12
	v_addc_co_u32_e64 v13, s[0:1], v11, v13, s[0:1]
	global_load_dwordx2 v[12:13], v[12:13], off
	v_add_u32_e32 v14, v0, v10
	v_ashrrev_i32_e32 v15, 31, v14
	v_lshlrev_b64 v[16:17], 2, v[14:15]
	v_mov_b32_e32 v18, s17
	v_add_co_u32_e64 v16, s[0:1], s16, v16
	v_add_u32_e32 v11, s8, v0
	v_addc_co_u32_e64 v17, s[0:1], v18, v17, s[0:1]
	v_lshlrev_b64 v[14:15], 3, v[14:15]
	global_store_dword v[16:17], v11, off
	v_mov_b32_e32 v11, s7
	v_add_co_u32_e64 v14, s[0:1], s6, v14
	v_addc_co_u32_e64 v15, s[0:1], v11, v15, s[0:1]
	s_waitcnt vmcnt(1)
	global_store_dwordx2 v[14:15], v[12:13], off
	s_or_b64 exec, exec, s[24:25]
	s_and_saveexec_b64 s[24:25], s[18:19]
	s_cbranch_execz .LBB62_9
.LBB62_12:                              ;   in Loop: Header=BB62_7 Depth=1
	v_add3_u32 v11, v0, v5, 32
	v_add_u32_e32 v12, v8, v1
	v_cndmask_b32_e32 v12, v12, v11, vcc
	v_ashrrev_i32_e32 v13, 31, v12
	v_lshlrev_b64 v[12:13], 3, v[12:13]
	v_mov_b32_e32 v11, s15
	v_add_co_u32_e64 v12, s[0:1], s14, v12
	v_addc_co_u32_e64 v13, s[0:1], v11, v13, s[0:1]
	global_load_dwordx2 v[12:13], v[12:13], off
	v_add3_u32 v14, v0, v10, 32
	v_ashrrev_i32_e32 v15, 31, v14
	v_lshlrev_b64 v[16:17], 2, v[14:15]
	v_mov_b32_e32 v18, s17
	v_add_co_u32_e64 v16, s[0:1], s16, v16
	v_add_u32_e32 v11, s8, v2
	v_addc_co_u32_e64 v17, s[0:1], v18, v17, s[0:1]
	v_lshlrev_b64 v[14:15], 3, v[14:15]
	global_store_dword v[16:17], v11, off
	v_mov_b32_e32 v11, s7
	v_add_co_u32_e64 v14, s[0:1], s6, v14
	v_addc_co_u32_e64 v15, s[0:1], v11, v15, s[0:1]
	s_waitcnt vmcnt(1)
	global_store_dwordx2 v[14:15], v[12:13], off
	s_or_b64 exec, exec, s[24:25]
	s_and_saveexec_b64 s[24:25], s[20:21]
	s_cbranch_execz .LBB62_10
.LBB62_13:                              ;   in Loop: Header=BB62_7 Depth=1
	v_add3_u32 v11, v0, v5, 64
	v_add_u32_e32 v12, v7, v1
	v_cndmask_b32_e32 v12, v12, v11, vcc
	v_ashrrev_i32_e32 v13, 31, v12
	v_lshlrev_b64 v[12:13], 3, v[12:13]
	v_mov_b32_e32 v11, s15
	v_add_co_u32_e64 v12, s[0:1], s14, v12
	v_addc_co_u32_e64 v13, s[0:1], v11, v13, s[0:1]
	global_load_dwordx2 v[12:13], v[12:13], off
	v_add3_u32 v14, v0, v10, 64
	v_ashrrev_i32_e32 v15, 31, v14
	v_lshlrev_b64 v[16:17], 2, v[14:15]
	v_mov_b32_e32 v18, s17
	v_add_co_u32_e64 v16, s[0:1], s16, v16
	v_add_u32_e32 v11, s8, v3
	v_addc_co_u32_e64 v17, s[0:1], v18, v17, s[0:1]
	v_lshlrev_b64 v[14:15], 3, v[14:15]
	global_store_dword v[16:17], v11, off
	v_mov_b32_e32 v11, s7
	v_add_co_u32_e64 v14, s[0:1], s6, v14
	v_addc_co_u32_e64 v15, s[0:1], v11, v15, s[0:1]
	s_waitcnt vmcnt(1)
	global_store_dwordx2 v[14:15], v[12:13], off
	s_or_b64 exec, exec, s[24:25]
	s_and_saveexec_b64 s[24:25], s[2:3]
	s_cbranch_execz .LBB62_6
.LBB62_14:                              ;   in Loop: Header=BB62_7 Depth=1
	v_add3_u32 v11, v0, v5, s28
	v_add_u32_e32 v12, v6, v1
	v_cndmask_b32_e32 v12, v12, v11, vcc
	v_ashrrev_i32_e32 v13, 31, v12
	v_lshlrev_b64 v[12:13], 3, v[12:13]
	v_mov_b32_e32 v11, s15
	v_add_co_u32_e64 v12, s[0:1], s14, v12
	v_addc_co_u32_e64 v13, s[0:1], v11, v13, s[0:1]
	global_load_dwordx2 v[12:13], v[12:13], off
	v_add3_u32 v14, v0, v10, s28
	v_ashrrev_i32_e32 v15, 31, v14
	v_lshlrev_b64 v[16:17], 2, v[14:15]
	v_mov_b32_e32 v18, s17
	v_add_co_u32_e64 v16, s[0:1], s16, v16
	v_add_u32_e32 v11, s8, v4
	v_addc_co_u32_e64 v17, s[0:1], v18, v17, s[0:1]
	v_lshlrev_b64 v[14:15], 3, v[14:15]
	global_store_dword v[16:17], v11, off
	v_mov_b32_e32 v11, s7
	v_add_co_u32_e64 v14, s[0:1], s6, v14
	v_addc_co_u32_e64 v15, s[0:1], v11, v15, s[0:1]
	s_waitcnt vmcnt(1)
	global_store_dwordx2 v[14:15], v[12:13], off
	s_branch .LBB62_6
.LBB62_15:
	s_endpgm
	.section	.rodata,"a",@progbits
	.p2align	6, 0x0
	.amdhsa_kernel _ZN9rocsparseL37gebsr2csr_block_per_row_33_128_kernelILi1024ELi4ELi128ELi4ELi32EdEEv20rocsparse_direction_ii21rocsparse_index_base_PKT4_PKiS7_iiS2_PS3_PiS9_
		.amdhsa_group_segment_fixed_size 0
		.amdhsa_private_segment_fixed_size 0
		.amdhsa_kernarg_size 80
		.amdhsa_user_sgpr_count 6
		.amdhsa_user_sgpr_private_segment_buffer 1
		.amdhsa_user_sgpr_dispatch_ptr 0
		.amdhsa_user_sgpr_queue_ptr 0
		.amdhsa_user_sgpr_kernarg_segment_ptr 1
		.amdhsa_user_sgpr_dispatch_id 0
		.amdhsa_user_sgpr_flat_scratch_init 0
		.amdhsa_user_sgpr_kernarg_preload_length 0
		.amdhsa_user_sgpr_kernarg_preload_offset 0
		.amdhsa_user_sgpr_private_segment_size 0
		.amdhsa_uses_dynamic_stack 0
		.amdhsa_system_sgpr_private_segment_wavefront_offset 0
		.amdhsa_system_sgpr_workgroup_id_x 1
		.amdhsa_system_sgpr_workgroup_id_y 0
		.amdhsa_system_sgpr_workgroup_id_z 0
		.amdhsa_system_sgpr_workgroup_info 0
		.amdhsa_system_vgpr_workitem_id 0
		.amdhsa_next_free_vgpr 19
		.amdhsa_next_free_sgpr 29
		.amdhsa_accum_offset 20
		.amdhsa_reserve_vcc 1
		.amdhsa_reserve_flat_scratch 0
		.amdhsa_float_round_mode_32 0
		.amdhsa_float_round_mode_16_64 0
		.amdhsa_float_denorm_mode_32 3
		.amdhsa_float_denorm_mode_16_64 3
		.amdhsa_dx10_clamp 1
		.amdhsa_ieee_mode 1
		.amdhsa_fp16_overflow 0
		.amdhsa_tg_split 0
		.amdhsa_exception_fp_ieee_invalid_op 0
		.amdhsa_exception_fp_denorm_src 0
		.amdhsa_exception_fp_ieee_div_zero 0
		.amdhsa_exception_fp_ieee_overflow 0
		.amdhsa_exception_fp_ieee_underflow 0
		.amdhsa_exception_fp_ieee_inexact 0
		.amdhsa_exception_int_div_zero 0
	.end_amdhsa_kernel
	.section	.text._ZN9rocsparseL37gebsr2csr_block_per_row_33_128_kernelILi1024ELi4ELi128ELi4ELi32EdEEv20rocsparse_direction_ii21rocsparse_index_base_PKT4_PKiS7_iiS2_PS3_PiS9_,"axG",@progbits,_ZN9rocsparseL37gebsr2csr_block_per_row_33_128_kernelILi1024ELi4ELi128ELi4ELi32EdEEv20rocsparse_direction_ii21rocsparse_index_base_PKT4_PKiS7_iiS2_PS3_PiS9_,comdat
.Lfunc_end62:
	.size	_ZN9rocsparseL37gebsr2csr_block_per_row_33_128_kernelILi1024ELi4ELi128ELi4ELi32EdEEv20rocsparse_direction_ii21rocsparse_index_base_PKT4_PKiS7_iiS2_PS3_PiS9_, .Lfunc_end62-_ZN9rocsparseL37gebsr2csr_block_per_row_33_128_kernelILi1024ELi4ELi128ELi4ELi32EdEEv20rocsparse_direction_ii21rocsparse_index_base_PKT4_PKiS7_iiS2_PS3_PiS9_
                                        ; -- End function
	.section	.AMDGPU.csdata,"",@progbits
; Kernel info:
; codeLenInByte = 1192
; NumSgprs: 33
; NumVgprs: 19
; NumAgprs: 0
; TotalNumVgprs: 19
; ScratchSize: 0
; MemoryBound: 0
; FloatMode: 240
; IeeeMode: 1
; LDSByteSize: 0 bytes/workgroup (compile time only)
; SGPRBlocks: 4
; VGPRBlocks: 2
; NumSGPRsForWavesPerEU: 33
; NumVGPRsForWavesPerEU: 19
; AccumOffset: 20
; Occupancy: 8
; WaveLimiterHint : 1
; COMPUTE_PGM_RSRC2:SCRATCH_EN: 0
; COMPUTE_PGM_RSRC2:USER_SGPR: 6
; COMPUTE_PGM_RSRC2:TRAP_HANDLER: 0
; COMPUTE_PGM_RSRC2:TGID_X_EN: 1
; COMPUTE_PGM_RSRC2:TGID_Y_EN: 0
; COMPUTE_PGM_RSRC2:TGID_Z_EN: 0
; COMPUTE_PGM_RSRC2:TIDIG_COMP_CNT: 0
; COMPUTE_PGM_RSRC3_GFX90A:ACCUM_OFFSET: 4
; COMPUTE_PGM_RSRC3_GFX90A:TG_SPLIT: 0
	.section	.text._ZN9rocsparseL35gebsr2csr_block_per_row_1_32_kernelILi1024ELi8ELi2EdEEv20rocsparse_direction_ii21rocsparse_index_base_PKT2_PKiS7_iiS2_PS3_PiS9_,"axG",@progbits,_ZN9rocsparseL35gebsr2csr_block_per_row_1_32_kernelILi1024ELi8ELi2EdEEv20rocsparse_direction_ii21rocsparse_index_base_PKT2_PKiS7_iiS2_PS3_PiS9_,comdat
	.globl	_ZN9rocsparseL35gebsr2csr_block_per_row_1_32_kernelILi1024ELi8ELi2EdEEv20rocsparse_direction_ii21rocsparse_index_base_PKT2_PKiS7_iiS2_PS3_PiS9_ ; -- Begin function _ZN9rocsparseL35gebsr2csr_block_per_row_1_32_kernelILi1024ELi8ELi2EdEEv20rocsparse_direction_ii21rocsparse_index_base_PKT2_PKiS7_iiS2_PS3_PiS9_
	.p2align	8
	.type	_ZN9rocsparseL35gebsr2csr_block_per_row_1_32_kernelILi1024ELi8ELi2EdEEv20rocsparse_direction_ii21rocsparse_index_base_PKT2_PKiS7_iiS2_PS3_PiS9_,@function
_ZN9rocsparseL35gebsr2csr_block_per_row_1_32_kernelILi1024ELi8ELi2EdEEv20rocsparse_direction_ii21rocsparse_index_base_PKT2_PKiS7_iiS2_PS3_PiS9_: ; @_ZN9rocsparseL35gebsr2csr_block_per_row_1_32_kernelILi1024ELi8ELi2EdEEv20rocsparse_direction_ii21rocsparse_index_base_PKT2_PKiS7_iiS2_PS3_PiS9_
; %bb.0:
	s_load_dwordx2 s[0:1], s[4:5], 0x18
	s_load_dwordx4 s[8:11], s[4:5], 0x28
	s_load_dwordx2 s[2:3], s[4:5], 0x40
	s_ashr_i32 s7, s6, 31
	s_lshl_b64 s[12:13], s[6:7], 2
	s_waitcnt lgkmcnt(0)
	s_add_u32 s12, s0, s12
	v_or_b32_e32 v1, s6, v0
	s_addc_u32 s13, s1, s13
	v_cmp_eq_u32_e32 vcc, 0, v1
	s_and_saveexec_b64 s[0:1], vcc
	s_cbranch_execz .LBB63_2
; %bb.1:
	v_mov_b32_e32 v1, 0
	v_mov_b32_e32 v2, s10
	global_store_dword v1, v2, s[2:3]
.LBB63_2:
	s_or_b64 exec, exec, s[0:1]
	v_and_b32_e32 v6, 1, v0
	v_bfe_u32 v8, v0, 1, 3
	v_cmp_gt_i32_e32 vcc, s8, v8
	v_cmp_gt_i32_e64 s[0:1], s9, v6
	s_and_b64 s[0:1], vcc, s[0:1]
	s_and_saveexec_b64 s[14:15], s[0:1]
	s_cbranch_execz .LBB63_6
; %bb.3:
	s_load_dwordx2 s[14:15], s[12:13], 0x0
	s_load_dword s11, s[4:5], 0xc
	s_mul_i32 s6, s6, s8
	v_add_u32_e32 v2, s6, v8
	s_mul_i32 s1, s9, s8
	v_ashrrev_i32_e32 v3, 31, v2
	s_waitcnt lgkmcnt(0)
	s_sub_i32 s0, s14, s11
	s_sub_i32 s14, s15, s11
	;; [unrolled: 1-line block ×3, first 2 shown]
	s_mul_i32 s12, s15, s9
	v_lshrrev_b32_e32 v1, 4, v0
	s_mul_i32 s7, s0, s1
	v_mul_lo_u32 v0, s12, v8
	s_add_i32 s12, s12, s10
	v_lshlrev_b64 v[2:3], 2, v[2:3]
	s_add_i32 s12, s12, s7
	v_mov_b32_e32 v4, s3
	v_add_co_u32_e32 v2, vcc, s2, v2
	v_add_u32_e32 v0, s12, v0
	v_addc_co_u32_e32 v3, vcc, v4, v3, vcc
	global_store_dword v[2:3], v0, off offset:4
	v_add_u32_e32 v0, s0, v1
	v_cmp_gt_i32_e32 vcc, s14, v0
	s_and_b64 exec, exec, vcc
	s_cbranch_execz .LBB63_6
; %bb.4:
	s_load_dwordx2 s[16:17], s[4:5], 0x20
	s_load_dwordx2 s[2:3], s[4:5], 0x38
	s_load_dword s18, s[4:5], 0x0
	s_load_dwordx2 s[6:7], s[4:5], 0x10
	s_load_dwordx2 s[12:13], s[4:5], 0x48
	v_mad_u64_u32 v[4:5], s[4:5], v6, s8, v[8:9]
	s_waitcnt lgkmcnt(0)
	s_cmp_eq_u32 s18, 0
	v_mad_u64_u32 v[10:11], s[4:5], v8, s9, v[6:7]
	s_cselect_b64 vcc, -1, 0
	s_mul_i32 s0, s8, s0
	v_mul_lo_u32 v3, s15, v8
	v_cndmask_b32_e32 v4, v4, v10, vcc
	v_add3_u32 v1, v1, s0, v3
	v_add_u32_e32 v2, s10, v6
	v_mad_u64_u32 v[4:5], s[4:5], s1, v0, v[4:5]
	s_lshl_b32 s10, s1, 6
	v_mad_u64_u32 v[6:7], s[0:1], s9, v1, v[6:7]
	v_ashrrev_i32_e32 v1, 31, v0
	v_lshlrev_b64 v[8:9], 2, v[0:1]
	v_mov_b32_e32 v1, s17
	v_add_co_u32_e32 v8, vcc, s16, v8
	s_lshl_b32 s8, s9, 6
	v_addc_co_u32_e32 v9, vcc, v1, v9, vcc
	s_mov_b64 s[4:5], 0
	v_mov_b32_e32 v1, s13
	v_mov_b32_e32 v3, s7
	;; [unrolled: 1-line block ×3, first 2 shown]
.LBB63_5:                               ; =>This Inner Loop Header: Depth=1
	v_ashrrev_i32_e32 v5, 31, v4
	global_load_dword v11, v[8:9], off
	v_lshlrev_b64 v[12:13], 3, v[4:5]
	v_add_co_u32_e32 v12, vcc, s6, v12
	v_addc_co_u32_e32 v13, vcc, v3, v13, vcc
	global_load_dwordx2 v[12:13], v[12:13], off
	v_ashrrev_i32_e32 v7, 31, v6
	v_lshlrev_b64 v[14:15], 2, v[6:7]
	v_add_co_u32_e32 v8, vcc, 0x100, v8
	v_add_co_u32_e64 v14, s[0:1], s12, v14
	v_add_u32_e32 v0, 64, v0
	v_lshlrev_b64 v[16:17], 3, v[6:7]
	v_addc_co_u32_e32 v9, vcc, 0, v9, vcc
	v_addc_co_u32_e64 v15, s[0:1], v1, v15, s[0:1]
	v_cmp_le_i32_e32 vcc, s14, v0
	v_add_co_u32_e64 v16, s[0:1], s2, v16
	v_add_u32_e32 v4, s10, v4
	v_add_u32_e32 v6, s8, v6
	v_addc_co_u32_e64 v17, s[0:1], v10, v17, s[0:1]
	s_or_b64 s[4:5], vcc, s[4:5]
	s_waitcnt vmcnt(1)
	v_subrev_u32_e32 v5, s11, v11
	v_mad_u64_u32 v[18:19], s[0:1], v5, s9, v[2:3]
	global_store_dword v[14:15], v18, off
	s_waitcnt vmcnt(1)
	global_store_dwordx2 v[16:17], v[12:13], off
	s_andn2_b64 exec, exec, s[4:5]
	s_cbranch_execnz .LBB63_5
.LBB63_6:
	s_endpgm
	.section	.rodata,"a",@progbits
	.p2align	6, 0x0
	.amdhsa_kernel _ZN9rocsparseL35gebsr2csr_block_per_row_1_32_kernelILi1024ELi8ELi2EdEEv20rocsparse_direction_ii21rocsparse_index_base_PKT2_PKiS7_iiS2_PS3_PiS9_
		.amdhsa_group_segment_fixed_size 0
		.amdhsa_private_segment_fixed_size 0
		.amdhsa_kernarg_size 80
		.amdhsa_user_sgpr_count 6
		.amdhsa_user_sgpr_private_segment_buffer 1
		.amdhsa_user_sgpr_dispatch_ptr 0
		.amdhsa_user_sgpr_queue_ptr 0
		.amdhsa_user_sgpr_kernarg_segment_ptr 1
		.amdhsa_user_sgpr_dispatch_id 0
		.amdhsa_user_sgpr_flat_scratch_init 0
		.amdhsa_user_sgpr_kernarg_preload_length 0
		.amdhsa_user_sgpr_kernarg_preload_offset 0
		.amdhsa_user_sgpr_private_segment_size 0
		.amdhsa_uses_dynamic_stack 0
		.amdhsa_system_sgpr_private_segment_wavefront_offset 0
		.amdhsa_system_sgpr_workgroup_id_x 1
		.amdhsa_system_sgpr_workgroup_id_y 0
		.amdhsa_system_sgpr_workgroup_id_z 0
		.amdhsa_system_sgpr_workgroup_info 0
		.amdhsa_system_vgpr_workitem_id 0
		.amdhsa_next_free_vgpr 20
		.amdhsa_next_free_sgpr 19
		.amdhsa_accum_offset 20
		.amdhsa_reserve_vcc 1
		.amdhsa_reserve_flat_scratch 0
		.amdhsa_float_round_mode_32 0
		.amdhsa_float_round_mode_16_64 0
		.amdhsa_float_denorm_mode_32 3
		.amdhsa_float_denorm_mode_16_64 3
		.amdhsa_dx10_clamp 1
		.amdhsa_ieee_mode 1
		.amdhsa_fp16_overflow 0
		.amdhsa_tg_split 0
		.amdhsa_exception_fp_ieee_invalid_op 0
		.amdhsa_exception_fp_denorm_src 0
		.amdhsa_exception_fp_ieee_div_zero 0
		.amdhsa_exception_fp_ieee_overflow 0
		.amdhsa_exception_fp_ieee_underflow 0
		.amdhsa_exception_fp_ieee_inexact 0
		.amdhsa_exception_int_div_zero 0
	.end_amdhsa_kernel
	.section	.text._ZN9rocsparseL35gebsr2csr_block_per_row_1_32_kernelILi1024ELi8ELi2EdEEv20rocsparse_direction_ii21rocsparse_index_base_PKT2_PKiS7_iiS2_PS3_PiS9_,"axG",@progbits,_ZN9rocsparseL35gebsr2csr_block_per_row_1_32_kernelILi1024ELi8ELi2EdEEv20rocsparse_direction_ii21rocsparse_index_base_PKT2_PKiS7_iiS2_PS3_PiS9_,comdat
.Lfunc_end63:
	.size	_ZN9rocsparseL35gebsr2csr_block_per_row_1_32_kernelILi1024ELi8ELi2EdEEv20rocsparse_direction_ii21rocsparse_index_base_PKT2_PKiS7_iiS2_PS3_PiS9_, .Lfunc_end63-_ZN9rocsparseL35gebsr2csr_block_per_row_1_32_kernelILi1024ELi8ELi2EdEEv20rocsparse_direction_ii21rocsparse_index_base_PKT2_PKiS7_iiS2_PS3_PiS9_
                                        ; -- End function
	.section	.AMDGPU.csdata,"",@progbits
; Kernel info:
; codeLenInByte = 568
; NumSgprs: 23
; NumVgprs: 20
; NumAgprs: 0
; TotalNumVgprs: 20
; ScratchSize: 0
; MemoryBound: 0
; FloatMode: 240
; IeeeMode: 1
; LDSByteSize: 0 bytes/workgroup (compile time only)
; SGPRBlocks: 2
; VGPRBlocks: 2
; NumSGPRsForWavesPerEU: 23
; NumVGPRsForWavesPerEU: 20
; AccumOffset: 20
; Occupancy: 8
; WaveLimiterHint : 0
; COMPUTE_PGM_RSRC2:SCRATCH_EN: 0
; COMPUTE_PGM_RSRC2:USER_SGPR: 6
; COMPUTE_PGM_RSRC2:TRAP_HANDLER: 0
; COMPUTE_PGM_RSRC2:TGID_X_EN: 1
; COMPUTE_PGM_RSRC2:TGID_Y_EN: 0
; COMPUTE_PGM_RSRC2:TGID_Z_EN: 0
; COMPUTE_PGM_RSRC2:TIDIG_COMP_CNT: 0
; COMPUTE_PGM_RSRC3_GFX90A:ACCUM_OFFSET: 4
; COMPUTE_PGM_RSRC3_GFX90A:TG_SPLIT: 0
	.section	.text._ZN9rocsparseL35gebsr2csr_block_per_row_1_32_kernelILi1024ELi8ELi4EdEEv20rocsparse_direction_ii21rocsparse_index_base_PKT2_PKiS7_iiS2_PS3_PiS9_,"axG",@progbits,_ZN9rocsparseL35gebsr2csr_block_per_row_1_32_kernelILi1024ELi8ELi4EdEEv20rocsparse_direction_ii21rocsparse_index_base_PKT2_PKiS7_iiS2_PS3_PiS9_,comdat
	.globl	_ZN9rocsparseL35gebsr2csr_block_per_row_1_32_kernelILi1024ELi8ELi4EdEEv20rocsparse_direction_ii21rocsparse_index_base_PKT2_PKiS7_iiS2_PS3_PiS9_ ; -- Begin function _ZN9rocsparseL35gebsr2csr_block_per_row_1_32_kernelILi1024ELi8ELi4EdEEv20rocsparse_direction_ii21rocsparse_index_base_PKT2_PKiS7_iiS2_PS3_PiS9_
	.p2align	8
	.type	_ZN9rocsparseL35gebsr2csr_block_per_row_1_32_kernelILi1024ELi8ELi4EdEEv20rocsparse_direction_ii21rocsparse_index_base_PKT2_PKiS7_iiS2_PS3_PiS9_,@function
_ZN9rocsparseL35gebsr2csr_block_per_row_1_32_kernelILi1024ELi8ELi4EdEEv20rocsparse_direction_ii21rocsparse_index_base_PKT2_PKiS7_iiS2_PS3_PiS9_: ; @_ZN9rocsparseL35gebsr2csr_block_per_row_1_32_kernelILi1024ELi8ELi4EdEEv20rocsparse_direction_ii21rocsparse_index_base_PKT2_PKiS7_iiS2_PS3_PiS9_
; %bb.0:
	s_load_dwordx2 s[0:1], s[4:5], 0x18
	s_load_dwordx4 s[8:11], s[4:5], 0x28
	s_load_dwordx2 s[2:3], s[4:5], 0x40
	s_ashr_i32 s7, s6, 31
	s_lshl_b64 s[12:13], s[6:7], 2
	s_waitcnt lgkmcnt(0)
	s_add_u32 s12, s0, s12
	v_or_b32_e32 v1, s6, v0
	s_addc_u32 s13, s1, s13
	v_cmp_eq_u32_e32 vcc, 0, v1
	s_and_saveexec_b64 s[0:1], vcc
	s_cbranch_execz .LBB64_2
; %bb.1:
	v_mov_b32_e32 v1, 0
	v_mov_b32_e32 v2, s10
	global_store_dword v1, v2, s[2:3]
.LBB64_2:
	s_or_b64 exec, exec, s[0:1]
	v_and_b32_e32 v6, 3, v0
	v_bfe_u32 v8, v0, 2, 3
	v_cmp_gt_i32_e32 vcc, s8, v8
	v_cmp_gt_i32_e64 s[0:1], s9, v6
	s_and_b64 s[0:1], vcc, s[0:1]
	s_and_saveexec_b64 s[14:15], s[0:1]
	s_cbranch_execz .LBB64_6
; %bb.3:
	s_load_dwordx2 s[14:15], s[12:13], 0x0
	s_load_dword s11, s[4:5], 0xc
	s_mul_i32 s6, s6, s8
	v_add_u32_e32 v2, s6, v8
	s_mul_i32 s1, s9, s8
	v_ashrrev_i32_e32 v3, 31, v2
	s_waitcnt lgkmcnt(0)
	s_sub_i32 s0, s14, s11
	s_sub_i32 s14, s15, s11
	;; [unrolled: 1-line block ×3, first 2 shown]
	s_mul_i32 s12, s15, s9
	v_lshrrev_b32_e32 v1, 5, v0
	s_mul_i32 s7, s0, s1
	v_mul_lo_u32 v0, s12, v8
	s_add_i32 s12, s12, s10
	v_lshlrev_b64 v[2:3], 2, v[2:3]
	s_add_i32 s12, s12, s7
	v_mov_b32_e32 v4, s3
	v_add_co_u32_e32 v2, vcc, s2, v2
	v_add_u32_e32 v0, s12, v0
	v_addc_co_u32_e32 v3, vcc, v4, v3, vcc
	global_store_dword v[2:3], v0, off offset:4
	v_add_u32_e32 v0, s0, v1
	v_cmp_gt_i32_e32 vcc, s14, v0
	s_and_b64 exec, exec, vcc
	s_cbranch_execz .LBB64_6
; %bb.4:
	s_load_dwordx2 s[16:17], s[4:5], 0x20
	s_load_dwordx2 s[2:3], s[4:5], 0x38
	s_load_dword s18, s[4:5], 0x0
	s_load_dwordx2 s[6:7], s[4:5], 0x10
	s_load_dwordx2 s[12:13], s[4:5], 0x48
	v_mad_u64_u32 v[4:5], s[4:5], v6, s8, v[8:9]
	s_waitcnt lgkmcnt(0)
	s_cmp_eq_u32 s18, 0
	v_mad_u64_u32 v[10:11], s[4:5], v8, s9, v[6:7]
	s_cselect_b64 vcc, -1, 0
	s_mul_i32 s0, s8, s0
	v_mul_lo_u32 v3, s15, v8
	v_cndmask_b32_e32 v4, v4, v10, vcc
	v_add3_u32 v1, v1, s0, v3
	v_add_u32_e32 v2, s10, v6
	v_mad_u64_u32 v[4:5], s[4:5], s1, v0, v[4:5]
	s_lshl_b32 s10, s1, 5
	v_mad_u64_u32 v[6:7], s[0:1], s9, v1, v[6:7]
	v_ashrrev_i32_e32 v1, 31, v0
	v_lshlrev_b64 v[8:9], 2, v[0:1]
	v_mov_b32_e32 v1, s17
	v_add_co_u32_e32 v8, vcc, s16, v8
	s_lshl_b32 s8, s9, 5
	v_addc_co_u32_e32 v9, vcc, v1, v9, vcc
	s_mov_b64 s[4:5], 0
	v_mov_b32_e32 v1, s13
	v_mov_b32_e32 v3, s7
	;; [unrolled: 1-line block ×3, first 2 shown]
.LBB64_5:                               ; =>This Inner Loop Header: Depth=1
	v_ashrrev_i32_e32 v5, 31, v4
	global_load_dword v11, v[8:9], off
	v_lshlrev_b64 v[12:13], 3, v[4:5]
	v_add_co_u32_e32 v12, vcc, s6, v12
	v_addc_co_u32_e32 v13, vcc, v3, v13, vcc
	global_load_dwordx2 v[12:13], v[12:13], off
	v_ashrrev_i32_e32 v7, 31, v6
	v_lshlrev_b64 v[14:15], 2, v[6:7]
	v_add_co_u32_e32 v8, vcc, 0x80, v8
	v_add_co_u32_e64 v14, s[0:1], s12, v14
	v_add_u32_e32 v0, 32, v0
	v_lshlrev_b64 v[16:17], 3, v[6:7]
	v_addc_co_u32_e32 v9, vcc, 0, v9, vcc
	v_addc_co_u32_e64 v15, s[0:1], v1, v15, s[0:1]
	v_cmp_le_i32_e32 vcc, s14, v0
	v_add_co_u32_e64 v16, s[0:1], s2, v16
	v_add_u32_e32 v4, s10, v4
	v_add_u32_e32 v6, s8, v6
	v_addc_co_u32_e64 v17, s[0:1], v10, v17, s[0:1]
	s_or_b64 s[4:5], vcc, s[4:5]
	s_waitcnt vmcnt(1)
	v_subrev_u32_e32 v5, s11, v11
	v_mad_u64_u32 v[18:19], s[0:1], v5, s9, v[2:3]
	global_store_dword v[14:15], v18, off
	s_waitcnt vmcnt(1)
	global_store_dwordx2 v[16:17], v[12:13], off
	s_andn2_b64 exec, exec, s[4:5]
	s_cbranch_execnz .LBB64_5
.LBB64_6:
	s_endpgm
	.section	.rodata,"a",@progbits
	.p2align	6, 0x0
	.amdhsa_kernel _ZN9rocsparseL35gebsr2csr_block_per_row_1_32_kernelILi1024ELi8ELi4EdEEv20rocsparse_direction_ii21rocsparse_index_base_PKT2_PKiS7_iiS2_PS3_PiS9_
		.amdhsa_group_segment_fixed_size 0
		.amdhsa_private_segment_fixed_size 0
		.amdhsa_kernarg_size 80
		.amdhsa_user_sgpr_count 6
		.amdhsa_user_sgpr_private_segment_buffer 1
		.amdhsa_user_sgpr_dispatch_ptr 0
		.amdhsa_user_sgpr_queue_ptr 0
		.amdhsa_user_sgpr_kernarg_segment_ptr 1
		.amdhsa_user_sgpr_dispatch_id 0
		.amdhsa_user_sgpr_flat_scratch_init 0
		.amdhsa_user_sgpr_kernarg_preload_length 0
		.amdhsa_user_sgpr_kernarg_preload_offset 0
		.amdhsa_user_sgpr_private_segment_size 0
		.amdhsa_uses_dynamic_stack 0
		.amdhsa_system_sgpr_private_segment_wavefront_offset 0
		.amdhsa_system_sgpr_workgroup_id_x 1
		.amdhsa_system_sgpr_workgroup_id_y 0
		.amdhsa_system_sgpr_workgroup_id_z 0
		.amdhsa_system_sgpr_workgroup_info 0
		.amdhsa_system_vgpr_workitem_id 0
		.amdhsa_next_free_vgpr 20
		.amdhsa_next_free_sgpr 19
		.amdhsa_accum_offset 20
		.amdhsa_reserve_vcc 1
		.amdhsa_reserve_flat_scratch 0
		.amdhsa_float_round_mode_32 0
		.amdhsa_float_round_mode_16_64 0
		.amdhsa_float_denorm_mode_32 3
		.amdhsa_float_denorm_mode_16_64 3
		.amdhsa_dx10_clamp 1
		.amdhsa_ieee_mode 1
		.amdhsa_fp16_overflow 0
		.amdhsa_tg_split 0
		.amdhsa_exception_fp_ieee_invalid_op 0
		.amdhsa_exception_fp_denorm_src 0
		.amdhsa_exception_fp_ieee_div_zero 0
		.amdhsa_exception_fp_ieee_overflow 0
		.amdhsa_exception_fp_ieee_underflow 0
		.amdhsa_exception_fp_ieee_inexact 0
		.amdhsa_exception_int_div_zero 0
	.end_amdhsa_kernel
	.section	.text._ZN9rocsparseL35gebsr2csr_block_per_row_1_32_kernelILi1024ELi8ELi4EdEEv20rocsparse_direction_ii21rocsparse_index_base_PKT2_PKiS7_iiS2_PS3_PiS9_,"axG",@progbits,_ZN9rocsparseL35gebsr2csr_block_per_row_1_32_kernelILi1024ELi8ELi4EdEEv20rocsparse_direction_ii21rocsparse_index_base_PKT2_PKiS7_iiS2_PS3_PiS9_,comdat
.Lfunc_end64:
	.size	_ZN9rocsparseL35gebsr2csr_block_per_row_1_32_kernelILi1024ELi8ELi4EdEEv20rocsparse_direction_ii21rocsparse_index_base_PKT2_PKiS7_iiS2_PS3_PiS9_, .Lfunc_end64-_ZN9rocsparseL35gebsr2csr_block_per_row_1_32_kernelILi1024ELi8ELi4EdEEv20rocsparse_direction_ii21rocsparse_index_base_PKT2_PKiS7_iiS2_PS3_PiS9_
                                        ; -- End function
	.section	.AMDGPU.csdata,"",@progbits
; Kernel info:
; codeLenInByte = 568
; NumSgprs: 23
; NumVgprs: 20
; NumAgprs: 0
; TotalNumVgprs: 20
; ScratchSize: 0
; MemoryBound: 0
; FloatMode: 240
; IeeeMode: 1
; LDSByteSize: 0 bytes/workgroup (compile time only)
; SGPRBlocks: 2
; VGPRBlocks: 2
; NumSGPRsForWavesPerEU: 23
; NumVGPRsForWavesPerEU: 20
; AccumOffset: 20
; Occupancy: 8
; WaveLimiterHint : 0
; COMPUTE_PGM_RSRC2:SCRATCH_EN: 0
; COMPUTE_PGM_RSRC2:USER_SGPR: 6
; COMPUTE_PGM_RSRC2:TRAP_HANDLER: 0
; COMPUTE_PGM_RSRC2:TGID_X_EN: 1
; COMPUTE_PGM_RSRC2:TGID_Y_EN: 0
; COMPUTE_PGM_RSRC2:TGID_Z_EN: 0
; COMPUTE_PGM_RSRC2:TIDIG_COMP_CNT: 0
; COMPUTE_PGM_RSRC3_GFX90A:ACCUM_OFFSET: 4
; COMPUTE_PGM_RSRC3_GFX90A:TG_SPLIT: 0
	.section	.text._ZN9rocsparseL35gebsr2csr_block_per_row_1_32_kernelILi1024ELi8ELi8EdEEv20rocsparse_direction_ii21rocsparse_index_base_PKT2_PKiS7_iiS2_PS3_PiS9_,"axG",@progbits,_ZN9rocsparseL35gebsr2csr_block_per_row_1_32_kernelILi1024ELi8ELi8EdEEv20rocsparse_direction_ii21rocsparse_index_base_PKT2_PKiS7_iiS2_PS3_PiS9_,comdat
	.globl	_ZN9rocsparseL35gebsr2csr_block_per_row_1_32_kernelILi1024ELi8ELi8EdEEv20rocsparse_direction_ii21rocsparse_index_base_PKT2_PKiS7_iiS2_PS3_PiS9_ ; -- Begin function _ZN9rocsparseL35gebsr2csr_block_per_row_1_32_kernelILi1024ELi8ELi8EdEEv20rocsparse_direction_ii21rocsparse_index_base_PKT2_PKiS7_iiS2_PS3_PiS9_
	.p2align	8
	.type	_ZN9rocsparseL35gebsr2csr_block_per_row_1_32_kernelILi1024ELi8ELi8EdEEv20rocsparse_direction_ii21rocsparse_index_base_PKT2_PKiS7_iiS2_PS3_PiS9_,@function
_ZN9rocsparseL35gebsr2csr_block_per_row_1_32_kernelILi1024ELi8ELi8EdEEv20rocsparse_direction_ii21rocsparse_index_base_PKT2_PKiS7_iiS2_PS3_PiS9_: ; @_ZN9rocsparseL35gebsr2csr_block_per_row_1_32_kernelILi1024ELi8ELi8EdEEv20rocsparse_direction_ii21rocsparse_index_base_PKT2_PKiS7_iiS2_PS3_PiS9_
; %bb.0:
	s_load_dwordx2 s[0:1], s[4:5], 0x18
	s_load_dwordx4 s[8:11], s[4:5], 0x28
	s_load_dwordx2 s[2:3], s[4:5], 0x40
	s_ashr_i32 s7, s6, 31
	s_lshl_b64 s[12:13], s[6:7], 2
	s_waitcnt lgkmcnt(0)
	s_add_u32 s12, s0, s12
	v_or_b32_e32 v1, s6, v0
	s_addc_u32 s13, s1, s13
	v_cmp_eq_u32_e32 vcc, 0, v1
	s_and_saveexec_b64 s[0:1], vcc
	s_cbranch_execz .LBB65_2
; %bb.1:
	v_mov_b32_e32 v1, 0
	v_mov_b32_e32 v2, s10
	global_store_dword v1, v2, s[2:3]
.LBB65_2:
	s_or_b64 exec, exec, s[0:1]
	v_and_b32_e32 v6, 7, v0
	v_bfe_u32 v8, v0, 3, 3
	v_cmp_gt_i32_e32 vcc, s8, v8
	v_cmp_gt_i32_e64 s[0:1], s9, v6
	s_and_b64 s[0:1], vcc, s[0:1]
	s_and_saveexec_b64 s[14:15], s[0:1]
	s_cbranch_execz .LBB65_6
; %bb.3:
	s_load_dwordx2 s[14:15], s[12:13], 0x0
	s_load_dword s11, s[4:5], 0xc
	s_mul_i32 s6, s6, s8
	v_add_u32_e32 v2, s6, v8
	s_mul_i32 s1, s9, s8
	v_ashrrev_i32_e32 v3, 31, v2
	s_waitcnt lgkmcnt(0)
	s_sub_i32 s0, s14, s11
	s_sub_i32 s14, s15, s11
	;; [unrolled: 1-line block ×3, first 2 shown]
	s_mul_i32 s12, s15, s9
	v_lshrrev_b32_e32 v1, 6, v0
	s_mul_i32 s7, s0, s1
	v_mul_lo_u32 v0, s12, v8
	s_add_i32 s12, s12, s10
	v_lshlrev_b64 v[2:3], 2, v[2:3]
	s_add_i32 s12, s12, s7
	v_mov_b32_e32 v4, s3
	v_add_co_u32_e32 v2, vcc, s2, v2
	v_add_u32_e32 v0, s12, v0
	v_addc_co_u32_e32 v3, vcc, v4, v3, vcc
	global_store_dword v[2:3], v0, off offset:4
	v_add_u32_e32 v0, s0, v1
	v_cmp_gt_i32_e32 vcc, s14, v0
	s_and_b64 exec, exec, vcc
	s_cbranch_execz .LBB65_6
; %bb.4:
	s_load_dwordx2 s[16:17], s[4:5], 0x20
	s_load_dwordx2 s[2:3], s[4:5], 0x38
	s_load_dword s18, s[4:5], 0x0
	s_load_dwordx2 s[6:7], s[4:5], 0x10
	s_load_dwordx2 s[12:13], s[4:5], 0x48
	v_mad_u64_u32 v[4:5], s[4:5], v6, s8, v[8:9]
	s_waitcnt lgkmcnt(0)
	s_cmp_eq_u32 s18, 0
	v_mad_u64_u32 v[10:11], s[4:5], v8, s9, v[6:7]
	s_cselect_b64 vcc, -1, 0
	s_mul_i32 s0, s8, s0
	v_mul_lo_u32 v3, s15, v8
	v_cndmask_b32_e32 v4, v4, v10, vcc
	v_add3_u32 v1, v1, s0, v3
	v_add_u32_e32 v2, s10, v6
	v_mad_u64_u32 v[4:5], s[4:5], s1, v0, v[4:5]
	s_lshl_b32 s10, s1, 4
	v_mad_u64_u32 v[6:7], s[0:1], s9, v1, v[6:7]
	v_ashrrev_i32_e32 v1, 31, v0
	v_lshlrev_b64 v[8:9], 2, v[0:1]
	v_mov_b32_e32 v1, s17
	v_add_co_u32_e32 v8, vcc, s16, v8
	s_lshl_b32 s8, s9, 4
	v_addc_co_u32_e32 v9, vcc, v1, v9, vcc
	s_mov_b64 s[4:5], 0
	v_mov_b32_e32 v1, s13
	v_mov_b32_e32 v3, s7
	;; [unrolled: 1-line block ×3, first 2 shown]
.LBB65_5:                               ; =>This Inner Loop Header: Depth=1
	v_ashrrev_i32_e32 v5, 31, v4
	global_load_dword v11, v[8:9], off
	v_lshlrev_b64 v[12:13], 3, v[4:5]
	v_add_co_u32_e32 v12, vcc, s6, v12
	v_addc_co_u32_e32 v13, vcc, v3, v13, vcc
	global_load_dwordx2 v[12:13], v[12:13], off
	v_ashrrev_i32_e32 v7, 31, v6
	v_lshlrev_b64 v[14:15], 2, v[6:7]
	v_add_co_u32_e32 v8, vcc, 64, v8
	v_add_co_u32_e64 v14, s[0:1], s12, v14
	v_add_u32_e32 v0, 16, v0
	v_addc_co_u32_e32 v9, vcc, 0, v9, vcc
	v_lshlrev_b64 v[16:17], 3, v[6:7]
	v_addc_co_u32_e64 v15, s[0:1], v1, v15, s[0:1]
	v_cmp_le_i32_e32 vcc, s14, v0
	v_add_co_u32_e64 v16, s[0:1], s2, v16
	v_add_u32_e32 v4, s10, v4
	v_add_u32_e32 v6, s8, v6
	v_addc_co_u32_e64 v17, s[0:1], v10, v17, s[0:1]
	s_or_b64 s[4:5], vcc, s[4:5]
	s_waitcnt vmcnt(1)
	v_subrev_u32_e32 v5, s11, v11
	v_mad_u64_u32 v[18:19], s[0:1], v5, s9, v[2:3]
	global_store_dword v[14:15], v18, off
	s_waitcnt vmcnt(1)
	global_store_dwordx2 v[16:17], v[12:13], off
	s_andn2_b64 exec, exec, s[4:5]
	s_cbranch_execnz .LBB65_5
.LBB65_6:
	s_endpgm
	.section	.rodata,"a",@progbits
	.p2align	6, 0x0
	.amdhsa_kernel _ZN9rocsparseL35gebsr2csr_block_per_row_1_32_kernelILi1024ELi8ELi8EdEEv20rocsparse_direction_ii21rocsparse_index_base_PKT2_PKiS7_iiS2_PS3_PiS9_
		.amdhsa_group_segment_fixed_size 0
		.amdhsa_private_segment_fixed_size 0
		.amdhsa_kernarg_size 80
		.amdhsa_user_sgpr_count 6
		.amdhsa_user_sgpr_private_segment_buffer 1
		.amdhsa_user_sgpr_dispatch_ptr 0
		.amdhsa_user_sgpr_queue_ptr 0
		.amdhsa_user_sgpr_kernarg_segment_ptr 1
		.amdhsa_user_sgpr_dispatch_id 0
		.amdhsa_user_sgpr_flat_scratch_init 0
		.amdhsa_user_sgpr_kernarg_preload_length 0
		.amdhsa_user_sgpr_kernarg_preload_offset 0
		.amdhsa_user_sgpr_private_segment_size 0
		.amdhsa_uses_dynamic_stack 0
		.amdhsa_system_sgpr_private_segment_wavefront_offset 0
		.amdhsa_system_sgpr_workgroup_id_x 1
		.amdhsa_system_sgpr_workgroup_id_y 0
		.amdhsa_system_sgpr_workgroup_id_z 0
		.amdhsa_system_sgpr_workgroup_info 0
		.amdhsa_system_vgpr_workitem_id 0
		.amdhsa_next_free_vgpr 20
		.amdhsa_next_free_sgpr 19
		.amdhsa_accum_offset 20
		.amdhsa_reserve_vcc 1
		.amdhsa_reserve_flat_scratch 0
		.amdhsa_float_round_mode_32 0
		.amdhsa_float_round_mode_16_64 0
		.amdhsa_float_denorm_mode_32 3
		.amdhsa_float_denorm_mode_16_64 3
		.amdhsa_dx10_clamp 1
		.amdhsa_ieee_mode 1
		.amdhsa_fp16_overflow 0
		.amdhsa_tg_split 0
		.amdhsa_exception_fp_ieee_invalid_op 0
		.amdhsa_exception_fp_denorm_src 0
		.amdhsa_exception_fp_ieee_div_zero 0
		.amdhsa_exception_fp_ieee_overflow 0
		.amdhsa_exception_fp_ieee_underflow 0
		.amdhsa_exception_fp_ieee_inexact 0
		.amdhsa_exception_int_div_zero 0
	.end_amdhsa_kernel
	.section	.text._ZN9rocsparseL35gebsr2csr_block_per_row_1_32_kernelILi1024ELi8ELi8EdEEv20rocsparse_direction_ii21rocsparse_index_base_PKT2_PKiS7_iiS2_PS3_PiS9_,"axG",@progbits,_ZN9rocsparseL35gebsr2csr_block_per_row_1_32_kernelILi1024ELi8ELi8EdEEv20rocsparse_direction_ii21rocsparse_index_base_PKT2_PKiS7_iiS2_PS3_PiS9_,comdat
.Lfunc_end65:
	.size	_ZN9rocsparseL35gebsr2csr_block_per_row_1_32_kernelILi1024ELi8ELi8EdEEv20rocsparse_direction_ii21rocsparse_index_base_PKT2_PKiS7_iiS2_PS3_PiS9_, .Lfunc_end65-_ZN9rocsparseL35gebsr2csr_block_per_row_1_32_kernelILi1024ELi8ELi8EdEEv20rocsparse_direction_ii21rocsparse_index_base_PKT2_PKiS7_iiS2_PS3_PiS9_
                                        ; -- End function
	.section	.AMDGPU.csdata,"",@progbits
; Kernel info:
; codeLenInByte = 564
; NumSgprs: 23
; NumVgprs: 20
; NumAgprs: 0
; TotalNumVgprs: 20
; ScratchSize: 0
; MemoryBound: 0
; FloatMode: 240
; IeeeMode: 1
; LDSByteSize: 0 bytes/workgroup (compile time only)
; SGPRBlocks: 2
; VGPRBlocks: 2
; NumSGPRsForWavesPerEU: 23
; NumVGPRsForWavesPerEU: 20
; AccumOffset: 20
; Occupancy: 8
; WaveLimiterHint : 0
; COMPUTE_PGM_RSRC2:SCRATCH_EN: 0
; COMPUTE_PGM_RSRC2:USER_SGPR: 6
; COMPUTE_PGM_RSRC2:TRAP_HANDLER: 0
; COMPUTE_PGM_RSRC2:TGID_X_EN: 1
; COMPUTE_PGM_RSRC2:TGID_Y_EN: 0
; COMPUTE_PGM_RSRC2:TGID_Z_EN: 0
; COMPUTE_PGM_RSRC2:TIDIG_COMP_CNT: 0
; COMPUTE_PGM_RSRC3_GFX90A:ACCUM_OFFSET: 4
; COMPUTE_PGM_RSRC3_GFX90A:TG_SPLIT: 0
	.section	.text._ZN9rocsparseL35gebsr2csr_block_per_row_1_32_kernelILi1024ELi8ELi16EdEEv20rocsparse_direction_ii21rocsparse_index_base_PKT2_PKiS7_iiS2_PS3_PiS9_,"axG",@progbits,_ZN9rocsparseL35gebsr2csr_block_per_row_1_32_kernelILi1024ELi8ELi16EdEEv20rocsparse_direction_ii21rocsparse_index_base_PKT2_PKiS7_iiS2_PS3_PiS9_,comdat
	.globl	_ZN9rocsparseL35gebsr2csr_block_per_row_1_32_kernelILi1024ELi8ELi16EdEEv20rocsparse_direction_ii21rocsparse_index_base_PKT2_PKiS7_iiS2_PS3_PiS9_ ; -- Begin function _ZN9rocsparseL35gebsr2csr_block_per_row_1_32_kernelILi1024ELi8ELi16EdEEv20rocsparse_direction_ii21rocsparse_index_base_PKT2_PKiS7_iiS2_PS3_PiS9_
	.p2align	8
	.type	_ZN9rocsparseL35gebsr2csr_block_per_row_1_32_kernelILi1024ELi8ELi16EdEEv20rocsparse_direction_ii21rocsparse_index_base_PKT2_PKiS7_iiS2_PS3_PiS9_,@function
_ZN9rocsparseL35gebsr2csr_block_per_row_1_32_kernelILi1024ELi8ELi16EdEEv20rocsparse_direction_ii21rocsparse_index_base_PKT2_PKiS7_iiS2_PS3_PiS9_: ; @_ZN9rocsparseL35gebsr2csr_block_per_row_1_32_kernelILi1024ELi8ELi16EdEEv20rocsparse_direction_ii21rocsparse_index_base_PKT2_PKiS7_iiS2_PS3_PiS9_
; %bb.0:
	s_load_dwordx2 s[0:1], s[4:5], 0x18
	s_load_dwordx4 s[8:11], s[4:5], 0x28
	s_load_dwordx2 s[2:3], s[4:5], 0x40
	s_ashr_i32 s7, s6, 31
	s_lshl_b64 s[12:13], s[6:7], 2
	s_waitcnt lgkmcnt(0)
	s_add_u32 s12, s0, s12
	v_or_b32_e32 v1, s6, v0
	s_addc_u32 s13, s1, s13
	v_cmp_eq_u32_e32 vcc, 0, v1
	s_and_saveexec_b64 s[0:1], vcc
	s_cbranch_execz .LBB66_2
; %bb.1:
	v_mov_b32_e32 v1, 0
	v_mov_b32_e32 v2, s10
	global_store_dword v1, v2, s[2:3]
.LBB66_2:
	s_or_b64 exec, exec, s[0:1]
	v_and_b32_e32 v6, 15, v0
	v_bfe_u32 v8, v0, 4, 3
	v_cmp_gt_i32_e32 vcc, s8, v8
	v_cmp_gt_i32_e64 s[0:1], s9, v6
	s_and_b64 s[0:1], vcc, s[0:1]
	s_and_saveexec_b64 s[14:15], s[0:1]
	s_cbranch_execz .LBB66_6
; %bb.3:
	s_load_dwordx2 s[14:15], s[12:13], 0x0
	s_load_dword s11, s[4:5], 0xc
	s_mul_i32 s6, s6, s8
	v_add_u32_e32 v2, s6, v8
	s_mul_i32 s1, s9, s8
	v_ashrrev_i32_e32 v3, 31, v2
	s_waitcnt lgkmcnt(0)
	s_sub_i32 s0, s14, s11
	s_sub_i32 s14, s15, s11
	;; [unrolled: 1-line block ×3, first 2 shown]
	s_mul_i32 s12, s15, s9
	v_lshrrev_b32_e32 v1, 7, v0
	s_mul_i32 s7, s0, s1
	v_mul_lo_u32 v0, s12, v8
	s_add_i32 s12, s12, s10
	v_lshlrev_b64 v[2:3], 2, v[2:3]
	s_add_i32 s12, s12, s7
	v_mov_b32_e32 v4, s3
	v_add_co_u32_e32 v2, vcc, s2, v2
	v_add_u32_e32 v0, s12, v0
	v_addc_co_u32_e32 v3, vcc, v4, v3, vcc
	global_store_dword v[2:3], v0, off offset:4
	v_add_u32_e32 v0, s0, v1
	v_cmp_gt_i32_e32 vcc, s14, v0
	s_and_b64 exec, exec, vcc
	s_cbranch_execz .LBB66_6
; %bb.4:
	s_load_dwordx2 s[16:17], s[4:5], 0x20
	s_load_dwordx2 s[2:3], s[4:5], 0x38
	s_load_dword s18, s[4:5], 0x0
	s_load_dwordx2 s[6:7], s[4:5], 0x10
	s_load_dwordx2 s[12:13], s[4:5], 0x48
	v_mad_u64_u32 v[4:5], s[4:5], v6, s8, v[8:9]
	s_waitcnt lgkmcnt(0)
	s_cmp_eq_u32 s18, 0
	v_mad_u64_u32 v[10:11], s[4:5], v8, s9, v[6:7]
	s_cselect_b64 vcc, -1, 0
	s_mul_i32 s0, s8, s0
	v_mul_lo_u32 v3, s15, v8
	v_cndmask_b32_e32 v4, v4, v10, vcc
	v_add3_u32 v1, v1, s0, v3
	v_add_u32_e32 v2, s10, v6
	v_mad_u64_u32 v[4:5], s[4:5], s1, v0, v[4:5]
	s_lshl_b32 s10, s1, 3
	v_mad_u64_u32 v[6:7], s[0:1], s9, v1, v[6:7]
	v_ashrrev_i32_e32 v1, 31, v0
	v_lshlrev_b64 v[8:9], 2, v[0:1]
	v_mov_b32_e32 v1, s17
	v_add_co_u32_e32 v8, vcc, s16, v8
	s_lshl_b32 s8, s9, 3
	v_addc_co_u32_e32 v9, vcc, v1, v9, vcc
	s_mov_b64 s[4:5], 0
	v_mov_b32_e32 v1, s13
	v_mov_b32_e32 v3, s7
	;; [unrolled: 1-line block ×3, first 2 shown]
.LBB66_5:                               ; =>This Inner Loop Header: Depth=1
	v_ashrrev_i32_e32 v5, 31, v4
	global_load_dword v11, v[8:9], off
	v_lshlrev_b64 v[12:13], 3, v[4:5]
	v_add_co_u32_e32 v12, vcc, s6, v12
	v_addc_co_u32_e32 v13, vcc, v3, v13, vcc
	global_load_dwordx2 v[12:13], v[12:13], off
	v_ashrrev_i32_e32 v7, 31, v6
	v_lshlrev_b64 v[14:15], 2, v[6:7]
	v_add_co_u32_e32 v8, vcc, 32, v8
	v_add_co_u32_e64 v14, s[0:1], s12, v14
	v_add_u32_e32 v0, 8, v0
	v_addc_co_u32_e32 v9, vcc, 0, v9, vcc
	v_lshlrev_b64 v[16:17], 3, v[6:7]
	v_addc_co_u32_e64 v15, s[0:1], v1, v15, s[0:1]
	v_cmp_le_i32_e32 vcc, s14, v0
	v_add_co_u32_e64 v16, s[0:1], s2, v16
	v_add_u32_e32 v4, s10, v4
	v_add_u32_e32 v6, s8, v6
	v_addc_co_u32_e64 v17, s[0:1], v10, v17, s[0:1]
	s_or_b64 s[4:5], vcc, s[4:5]
	s_waitcnt vmcnt(1)
	v_subrev_u32_e32 v5, s11, v11
	v_mad_u64_u32 v[18:19], s[0:1], v5, s9, v[2:3]
	global_store_dword v[14:15], v18, off
	s_waitcnt vmcnt(1)
	global_store_dwordx2 v[16:17], v[12:13], off
	s_andn2_b64 exec, exec, s[4:5]
	s_cbranch_execnz .LBB66_5
.LBB66_6:
	s_endpgm
	.section	.rodata,"a",@progbits
	.p2align	6, 0x0
	.amdhsa_kernel _ZN9rocsparseL35gebsr2csr_block_per_row_1_32_kernelILi1024ELi8ELi16EdEEv20rocsparse_direction_ii21rocsparse_index_base_PKT2_PKiS7_iiS2_PS3_PiS9_
		.amdhsa_group_segment_fixed_size 0
		.amdhsa_private_segment_fixed_size 0
		.amdhsa_kernarg_size 80
		.amdhsa_user_sgpr_count 6
		.amdhsa_user_sgpr_private_segment_buffer 1
		.amdhsa_user_sgpr_dispatch_ptr 0
		.amdhsa_user_sgpr_queue_ptr 0
		.amdhsa_user_sgpr_kernarg_segment_ptr 1
		.amdhsa_user_sgpr_dispatch_id 0
		.amdhsa_user_sgpr_flat_scratch_init 0
		.amdhsa_user_sgpr_kernarg_preload_length 0
		.amdhsa_user_sgpr_kernarg_preload_offset 0
		.amdhsa_user_sgpr_private_segment_size 0
		.amdhsa_uses_dynamic_stack 0
		.amdhsa_system_sgpr_private_segment_wavefront_offset 0
		.amdhsa_system_sgpr_workgroup_id_x 1
		.amdhsa_system_sgpr_workgroup_id_y 0
		.amdhsa_system_sgpr_workgroup_id_z 0
		.amdhsa_system_sgpr_workgroup_info 0
		.amdhsa_system_vgpr_workitem_id 0
		.amdhsa_next_free_vgpr 20
		.amdhsa_next_free_sgpr 19
		.amdhsa_accum_offset 20
		.amdhsa_reserve_vcc 1
		.amdhsa_reserve_flat_scratch 0
		.amdhsa_float_round_mode_32 0
		.amdhsa_float_round_mode_16_64 0
		.amdhsa_float_denorm_mode_32 3
		.amdhsa_float_denorm_mode_16_64 3
		.amdhsa_dx10_clamp 1
		.amdhsa_ieee_mode 1
		.amdhsa_fp16_overflow 0
		.amdhsa_tg_split 0
		.amdhsa_exception_fp_ieee_invalid_op 0
		.amdhsa_exception_fp_denorm_src 0
		.amdhsa_exception_fp_ieee_div_zero 0
		.amdhsa_exception_fp_ieee_overflow 0
		.amdhsa_exception_fp_ieee_underflow 0
		.amdhsa_exception_fp_ieee_inexact 0
		.amdhsa_exception_int_div_zero 0
	.end_amdhsa_kernel
	.section	.text._ZN9rocsparseL35gebsr2csr_block_per_row_1_32_kernelILi1024ELi8ELi16EdEEv20rocsparse_direction_ii21rocsparse_index_base_PKT2_PKiS7_iiS2_PS3_PiS9_,"axG",@progbits,_ZN9rocsparseL35gebsr2csr_block_per_row_1_32_kernelILi1024ELi8ELi16EdEEv20rocsparse_direction_ii21rocsparse_index_base_PKT2_PKiS7_iiS2_PS3_PiS9_,comdat
.Lfunc_end66:
	.size	_ZN9rocsparseL35gebsr2csr_block_per_row_1_32_kernelILi1024ELi8ELi16EdEEv20rocsparse_direction_ii21rocsparse_index_base_PKT2_PKiS7_iiS2_PS3_PiS9_, .Lfunc_end66-_ZN9rocsparseL35gebsr2csr_block_per_row_1_32_kernelILi1024ELi8ELi16EdEEv20rocsparse_direction_ii21rocsparse_index_base_PKT2_PKiS7_iiS2_PS3_PiS9_
                                        ; -- End function
	.section	.AMDGPU.csdata,"",@progbits
; Kernel info:
; codeLenInByte = 564
; NumSgprs: 23
; NumVgprs: 20
; NumAgprs: 0
; TotalNumVgprs: 20
; ScratchSize: 0
; MemoryBound: 0
; FloatMode: 240
; IeeeMode: 1
; LDSByteSize: 0 bytes/workgroup (compile time only)
; SGPRBlocks: 2
; VGPRBlocks: 2
; NumSGPRsForWavesPerEU: 23
; NumVGPRsForWavesPerEU: 20
; AccumOffset: 20
; Occupancy: 8
; WaveLimiterHint : 0
; COMPUTE_PGM_RSRC2:SCRATCH_EN: 0
; COMPUTE_PGM_RSRC2:USER_SGPR: 6
; COMPUTE_PGM_RSRC2:TRAP_HANDLER: 0
; COMPUTE_PGM_RSRC2:TGID_X_EN: 1
; COMPUTE_PGM_RSRC2:TGID_Y_EN: 0
; COMPUTE_PGM_RSRC2:TGID_Z_EN: 0
; COMPUTE_PGM_RSRC2:TIDIG_COMP_CNT: 0
; COMPUTE_PGM_RSRC3_GFX90A:ACCUM_OFFSET: 4
; COMPUTE_PGM_RSRC3_GFX90A:TG_SPLIT: 0
	.section	.text._ZN9rocsparseL35gebsr2csr_block_per_row_1_32_kernelILi1024ELi8ELi32EdEEv20rocsparse_direction_ii21rocsparse_index_base_PKT2_PKiS7_iiS2_PS3_PiS9_,"axG",@progbits,_ZN9rocsparseL35gebsr2csr_block_per_row_1_32_kernelILi1024ELi8ELi32EdEEv20rocsparse_direction_ii21rocsparse_index_base_PKT2_PKiS7_iiS2_PS3_PiS9_,comdat
	.globl	_ZN9rocsparseL35gebsr2csr_block_per_row_1_32_kernelILi1024ELi8ELi32EdEEv20rocsparse_direction_ii21rocsparse_index_base_PKT2_PKiS7_iiS2_PS3_PiS9_ ; -- Begin function _ZN9rocsparseL35gebsr2csr_block_per_row_1_32_kernelILi1024ELi8ELi32EdEEv20rocsparse_direction_ii21rocsparse_index_base_PKT2_PKiS7_iiS2_PS3_PiS9_
	.p2align	8
	.type	_ZN9rocsparseL35gebsr2csr_block_per_row_1_32_kernelILi1024ELi8ELi32EdEEv20rocsparse_direction_ii21rocsparse_index_base_PKT2_PKiS7_iiS2_PS3_PiS9_,@function
_ZN9rocsparseL35gebsr2csr_block_per_row_1_32_kernelILi1024ELi8ELi32EdEEv20rocsparse_direction_ii21rocsparse_index_base_PKT2_PKiS7_iiS2_PS3_PiS9_: ; @_ZN9rocsparseL35gebsr2csr_block_per_row_1_32_kernelILi1024ELi8ELi32EdEEv20rocsparse_direction_ii21rocsparse_index_base_PKT2_PKiS7_iiS2_PS3_PiS9_
; %bb.0:
	s_load_dwordx2 s[0:1], s[4:5], 0x18
	s_load_dwordx4 s[8:11], s[4:5], 0x28
	s_load_dwordx2 s[2:3], s[4:5], 0x40
	s_ashr_i32 s7, s6, 31
	s_lshl_b64 s[12:13], s[6:7], 2
	s_waitcnt lgkmcnt(0)
	s_add_u32 s12, s0, s12
	v_or_b32_e32 v1, s6, v0
	s_addc_u32 s13, s1, s13
	v_cmp_eq_u32_e32 vcc, 0, v1
	s_and_saveexec_b64 s[0:1], vcc
	s_cbranch_execz .LBB67_2
; %bb.1:
	v_mov_b32_e32 v1, 0
	v_mov_b32_e32 v2, s10
	global_store_dword v1, v2, s[2:3]
.LBB67_2:
	s_or_b64 exec, exec, s[0:1]
	v_and_b32_e32 v6, 31, v0
	v_bfe_u32 v8, v0, 5, 3
	v_cmp_gt_i32_e32 vcc, s8, v8
	v_cmp_gt_i32_e64 s[0:1], s9, v6
	s_and_b64 s[0:1], vcc, s[0:1]
	s_and_saveexec_b64 s[14:15], s[0:1]
	s_cbranch_execz .LBB67_6
; %bb.3:
	s_load_dwordx2 s[14:15], s[12:13], 0x0
	s_load_dword s11, s[4:5], 0xc
	s_mul_i32 s6, s6, s8
	v_add_u32_e32 v2, s6, v8
	s_mul_i32 s1, s9, s8
	v_ashrrev_i32_e32 v3, 31, v2
	s_waitcnt lgkmcnt(0)
	s_sub_i32 s0, s14, s11
	s_sub_i32 s14, s15, s11
	;; [unrolled: 1-line block ×3, first 2 shown]
	s_mul_i32 s12, s15, s9
	v_lshrrev_b32_e32 v1, 8, v0
	s_mul_i32 s7, s0, s1
	v_mul_lo_u32 v0, s12, v8
	s_add_i32 s12, s12, s10
	v_lshlrev_b64 v[2:3], 2, v[2:3]
	s_add_i32 s12, s12, s7
	v_mov_b32_e32 v4, s3
	v_add_co_u32_e32 v2, vcc, s2, v2
	v_add_u32_e32 v0, s12, v0
	v_addc_co_u32_e32 v3, vcc, v4, v3, vcc
	global_store_dword v[2:3], v0, off offset:4
	v_add_u32_e32 v0, s0, v1
	v_cmp_gt_i32_e32 vcc, s14, v0
	s_and_b64 exec, exec, vcc
	s_cbranch_execz .LBB67_6
; %bb.4:
	s_load_dwordx2 s[16:17], s[4:5], 0x20
	s_load_dwordx2 s[2:3], s[4:5], 0x38
	s_load_dword s18, s[4:5], 0x0
	s_load_dwordx2 s[6:7], s[4:5], 0x10
	s_load_dwordx2 s[12:13], s[4:5], 0x48
	v_mad_u64_u32 v[4:5], s[4:5], v6, s8, v[8:9]
	s_waitcnt lgkmcnt(0)
	s_cmp_eq_u32 s18, 0
	v_mad_u64_u32 v[10:11], s[4:5], v8, s9, v[6:7]
	s_cselect_b64 vcc, -1, 0
	s_mul_i32 s0, s8, s0
	v_mul_lo_u32 v3, s15, v8
	v_cndmask_b32_e32 v4, v4, v10, vcc
	v_add3_u32 v1, v1, s0, v3
	v_add_u32_e32 v2, s10, v6
	v_mad_u64_u32 v[4:5], s[4:5], s1, v0, v[4:5]
	s_lshl_b32 s10, s1, 2
	v_mad_u64_u32 v[6:7], s[0:1], s9, v1, v[6:7]
	v_ashrrev_i32_e32 v1, 31, v0
	v_lshlrev_b64 v[8:9], 2, v[0:1]
	v_mov_b32_e32 v1, s17
	v_add_co_u32_e32 v8, vcc, s16, v8
	s_lshl_b32 s8, s9, 2
	v_addc_co_u32_e32 v9, vcc, v1, v9, vcc
	s_mov_b64 s[4:5], 0
	v_mov_b32_e32 v1, s13
	v_mov_b32_e32 v3, s7
	;; [unrolled: 1-line block ×3, first 2 shown]
.LBB67_5:                               ; =>This Inner Loop Header: Depth=1
	v_ashrrev_i32_e32 v5, 31, v4
	global_load_dword v11, v[8:9], off
	v_lshlrev_b64 v[12:13], 3, v[4:5]
	v_add_co_u32_e32 v12, vcc, s6, v12
	v_addc_co_u32_e32 v13, vcc, v3, v13, vcc
	global_load_dwordx2 v[12:13], v[12:13], off
	v_ashrrev_i32_e32 v7, 31, v6
	v_lshlrev_b64 v[14:15], 2, v[6:7]
	v_add_co_u32_e32 v8, vcc, 16, v8
	v_add_co_u32_e64 v14, s[0:1], s12, v14
	v_add_u32_e32 v0, 4, v0
	v_addc_co_u32_e32 v9, vcc, 0, v9, vcc
	v_lshlrev_b64 v[16:17], 3, v[6:7]
	v_addc_co_u32_e64 v15, s[0:1], v1, v15, s[0:1]
	v_cmp_le_i32_e32 vcc, s14, v0
	v_add_co_u32_e64 v16, s[0:1], s2, v16
	v_add_u32_e32 v4, s10, v4
	v_add_u32_e32 v6, s8, v6
	v_addc_co_u32_e64 v17, s[0:1], v10, v17, s[0:1]
	s_or_b64 s[4:5], vcc, s[4:5]
	s_waitcnt vmcnt(1)
	v_subrev_u32_e32 v5, s11, v11
	v_mad_u64_u32 v[18:19], s[0:1], v5, s9, v[2:3]
	global_store_dword v[14:15], v18, off
	s_waitcnt vmcnt(1)
	global_store_dwordx2 v[16:17], v[12:13], off
	s_andn2_b64 exec, exec, s[4:5]
	s_cbranch_execnz .LBB67_5
.LBB67_6:
	s_endpgm
	.section	.rodata,"a",@progbits
	.p2align	6, 0x0
	.amdhsa_kernel _ZN9rocsparseL35gebsr2csr_block_per_row_1_32_kernelILi1024ELi8ELi32EdEEv20rocsparse_direction_ii21rocsparse_index_base_PKT2_PKiS7_iiS2_PS3_PiS9_
		.amdhsa_group_segment_fixed_size 0
		.amdhsa_private_segment_fixed_size 0
		.amdhsa_kernarg_size 80
		.amdhsa_user_sgpr_count 6
		.amdhsa_user_sgpr_private_segment_buffer 1
		.amdhsa_user_sgpr_dispatch_ptr 0
		.amdhsa_user_sgpr_queue_ptr 0
		.amdhsa_user_sgpr_kernarg_segment_ptr 1
		.amdhsa_user_sgpr_dispatch_id 0
		.amdhsa_user_sgpr_flat_scratch_init 0
		.amdhsa_user_sgpr_kernarg_preload_length 0
		.amdhsa_user_sgpr_kernarg_preload_offset 0
		.amdhsa_user_sgpr_private_segment_size 0
		.amdhsa_uses_dynamic_stack 0
		.amdhsa_system_sgpr_private_segment_wavefront_offset 0
		.amdhsa_system_sgpr_workgroup_id_x 1
		.amdhsa_system_sgpr_workgroup_id_y 0
		.amdhsa_system_sgpr_workgroup_id_z 0
		.amdhsa_system_sgpr_workgroup_info 0
		.amdhsa_system_vgpr_workitem_id 0
		.amdhsa_next_free_vgpr 20
		.amdhsa_next_free_sgpr 19
		.amdhsa_accum_offset 20
		.amdhsa_reserve_vcc 1
		.amdhsa_reserve_flat_scratch 0
		.amdhsa_float_round_mode_32 0
		.amdhsa_float_round_mode_16_64 0
		.amdhsa_float_denorm_mode_32 3
		.amdhsa_float_denorm_mode_16_64 3
		.amdhsa_dx10_clamp 1
		.amdhsa_ieee_mode 1
		.amdhsa_fp16_overflow 0
		.amdhsa_tg_split 0
		.amdhsa_exception_fp_ieee_invalid_op 0
		.amdhsa_exception_fp_denorm_src 0
		.amdhsa_exception_fp_ieee_div_zero 0
		.amdhsa_exception_fp_ieee_overflow 0
		.amdhsa_exception_fp_ieee_underflow 0
		.amdhsa_exception_fp_ieee_inexact 0
		.amdhsa_exception_int_div_zero 0
	.end_amdhsa_kernel
	.section	.text._ZN9rocsparseL35gebsr2csr_block_per_row_1_32_kernelILi1024ELi8ELi32EdEEv20rocsparse_direction_ii21rocsparse_index_base_PKT2_PKiS7_iiS2_PS3_PiS9_,"axG",@progbits,_ZN9rocsparseL35gebsr2csr_block_per_row_1_32_kernelILi1024ELi8ELi32EdEEv20rocsparse_direction_ii21rocsparse_index_base_PKT2_PKiS7_iiS2_PS3_PiS9_,comdat
.Lfunc_end67:
	.size	_ZN9rocsparseL35gebsr2csr_block_per_row_1_32_kernelILi1024ELi8ELi32EdEEv20rocsparse_direction_ii21rocsparse_index_base_PKT2_PKiS7_iiS2_PS3_PiS9_, .Lfunc_end67-_ZN9rocsparseL35gebsr2csr_block_per_row_1_32_kernelILi1024ELi8ELi32EdEEv20rocsparse_direction_ii21rocsparse_index_base_PKT2_PKiS7_iiS2_PS3_PiS9_
                                        ; -- End function
	.section	.AMDGPU.csdata,"",@progbits
; Kernel info:
; codeLenInByte = 564
; NumSgprs: 23
; NumVgprs: 20
; NumAgprs: 0
; TotalNumVgprs: 20
; ScratchSize: 0
; MemoryBound: 0
; FloatMode: 240
; IeeeMode: 1
; LDSByteSize: 0 bytes/workgroup (compile time only)
; SGPRBlocks: 2
; VGPRBlocks: 2
; NumSGPRsForWavesPerEU: 23
; NumVGPRsForWavesPerEU: 20
; AccumOffset: 20
; Occupancy: 8
; WaveLimiterHint : 0
; COMPUTE_PGM_RSRC2:SCRATCH_EN: 0
; COMPUTE_PGM_RSRC2:USER_SGPR: 6
; COMPUTE_PGM_RSRC2:TRAP_HANDLER: 0
; COMPUTE_PGM_RSRC2:TGID_X_EN: 1
; COMPUTE_PGM_RSRC2:TGID_Y_EN: 0
; COMPUTE_PGM_RSRC2:TGID_Z_EN: 0
; COMPUTE_PGM_RSRC2:TIDIG_COMP_CNT: 0
; COMPUTE_PGM_RSRC3_GFX90A:ACCUM_OFFSET: 4
; COMPUTE_PGM_RSRC3_GFX90A:TG_SPLIT: 0
	.section	.text._ZN9rocsparseL37gebsr2csr_block_per_row_33_128_kernelILi1024ELi8ELi64ELi8ELi32EdEEv20rocsparse_direction_ii21rocsparse_index_base_PKT4_PKiS7_iiS2_PS3_PiS9_,"axG",@progbits,_ZN9rocsparseL37gebsr2csr_block_per_row_33_128_kernelILi1024ELi8ELi64ELi8ELi32EdEEv20rocsparse_direction_ii21rocsparse_index_base_PKT4_PKiS7_iiS2_PS3_PiS9_,comdat
	.globl	_ZN9rocsparseL37gebsr2csr_block_per_row_33_128_kernelILi1024ELi8ELi64ELi8ELi32EdEEv20rocsparse_direction_ii21rocsparse_index_base_PKT4_PKiS7_iiS2_PS3_PiS9_ ; -- Begin function _ZN9rocsparseL37gebsr2csr_block_per_row_33_128_kernelILi1024ELi8ELi64ELi8ELi32EdEEv20rocsparse_direction_ii21rocsparse_index_base_PKT4_PKiS7_iiS2_PS3_PiS9_
	.p2align	8
	.type	_ZN9rocsparseL37gebsr2csr_block_per_row_33_128_kernelILi1024ELi8ELi64ELi8ELi32EdEEv20rocsparse_direction_ii21rocsparse_index_base_PKT4_PKiS7_iiS2_PS3_PiS9_,@function
_ZN9rocsparseL37gebsr2csr_block_per_row_33_128_kernelILi1024ELi8ELi64ELi8ELi32EdEEv20rocsparse_direction_ii21rocsparse_index_base_PKT4_PKiS7_iiS2_PS3_PiS9_: ; @_ZN9rocsparseL37gebsr2csr_block_per_row_33_128_kernelILi1024ELi8ELi64ELi8ELi32EdEEv20rocsparse_direction_ii21rocsparse_index_base_PKT4_PKiS7_iiS2_PS3_PiS9_
; %bb.0:
	s_load_dwordx2 s[0:1], s[4:5], 0x18
	s_load_dwordx4 s[8:11], s[4:5], 0x28
	s_load_dwordx2 s[2:3], s[4:5], 0x40
	s_ashr_i32 s7, s6, 31
	s_lshl_b64 s[12:13], s[6:7], 2
	s_waitcnt lgkmcnt(0)
	s_add_u32 s0, s0, s12
	s_addc_u32 s1, s1, s13
	s_load_dwordx2 s[14:15], s[0:1], 0x0
	v_or_b32_e32 v1, s6, v0
	v_cmp_eq_u32_e32 vcc, 0, v1
	s_and_saveexec_b64 s[0:1], vcc
	s_cbranch_execz .LBB68_2
; %bb.1:
	v_mov_b32_e32 v1, 0
	v_mov_b32_e32 v2, s10
	global_store_dword v1, v2, s[2:3]
.LBB68_2:
	s_or_b64 exec, exec, s[0:1]
	s_load_dword s11, s[4:5], 0xc
	v_lshrrev_b32_e32 v4, 5, v0
	v_cmp_gt_i32_e64 s[0:1], s8, v4
	s_mul_i32 s23, s9, s8
	s_waitcnt lgkmcnt(0)
	s_sub_i32 s12, s14, s11
	s_sub_i32 s22, s15, s11
	s_and_saveexec_b64 s[16:17], s[0:1]
	s_cbranch_execz .LBB68_4
; %bb.3:
	s_mul_i32 s6, s6, s8
	v_add_u32_e32 v2, s6, v4
	s_mul_i32 s7, s23, s12
	s_sub_i32 s13, s22, s12
	v_ashrrev_i32_e32 v3, 31, v2
	s_mul_i32 s13, s13, s9
	s_add_i32 s7, s7, s10
	v_lshlrev_b64 v[2:3], 2, v[2:3]
	v_mul_lo_u32 v1, s13, v4
	s_add_i32 s7, s7, s13
	v_mov_b32_e32 v5, s3
	v_add_co_u32_e32 v2, vcc, s2, v2
	v_add_u32_e32 v1, s7, v1
	v_addc_co_u32_e32 v3, vcc, v5, v3, vcc
	global_store_dword v[2:3], v1, off offset:4
.LBB68_4:
	s_or_b64 exec, exec, s[16:17]
	s_cmp_ge_i32 s14, s15
	s_cbranch_scc1 .LBB68_11
; %bb.5:
	s_load_dwordx2 s[18:19], s[4:5], 0x20
	s_load_dwordx2 s[6:7], s[4:5], 0x38
	;; [unrolled: 1-line block ×4, first 2 shown]
	s_load_dword s2, s[4:5], 0x0
	s_mul_i32 s13, s8, s12
	v_and_b32_e32 v0, 31, v0
	v_add_u32_e32 v1, s13, v4
	v_mad_u64_u32 v[2:3], s[4:5], s9, v1, v[0:1]
	s_mul_i32 s4, s9, s12
	s_sub_i32 s3, s22, s12
	v_add_u32_e32 v3, s4, v0
	v_mul_lo_u32 v6, s3, v4
	s_waitcnt lgkmcnt(0)
	s_cmp_eq_u32 s2, 0
	v_cmp_gt_i32_e64 s[2:3], s9, v0
	v_mad_u64_u32 v[8:9], s[4:5], s8, v3, v[4:5]
	v_or_b32_e32 v1, 32, v0
	s_cselect_b64 vcc, -1, 0
	s_and_b64 s[4:5], s[0:1], s[2:3]
	v_cmp_gt_i32_e64 s[2:3], s9, v1
	v_add_u32_e32 v3, 32, v3
	s_and_b64 s[2:3], s[0:1], s[2:3]
	v_mad_u64_u32 v[4:5], s[0:1], s8, v3, v[4:5]
	v_add_u32_e32 v3, s13, v6
	v_mad_u64_u32 v[6:7], s[0:1], s9, v3, v[0:1]
	s_ashr_i32 s13, s12, 31
	s_lshl_b64 s[0:1], s[12:13], 2
	s_add_u32 s18, s18, s0
	s_mov_b32 s24, 0
	s_addc_u32 s19, s19, s1
	v_cndmask_b32_e32 v3, v8, v2, vcc
	s_branch .LBB68_7
.LBB68_6:                               ;   in Loop: Header=BB68_7 Depth=1
	s_or_b64 exec, exec, s[20:21]
	s_add_i32 s12, s12, 1
	s_add_i32 s24, s24, s23
	s_add_u32 s18, s18, 4
	s_addc_u32 s19, s19, 0
	s_cmp_ge_i32 s12, s22
	v_add_u32_e32 v6, s9, v6
	s_cbranch_scc1 .LBB68_11
.LBB68_7:                               ; =>This Inner Loop Header: Depth=1
	s_load_dword s0, s[18:19], 0x0
	s_waitcnt lgkmcnt(0)
	s_sub_i32 s0, s0, s11
	s_mul_i32 s8, s0, s9
	s_add_i32 s8, s8, s10
	s_and_saveexec_b64 s[20:21], s[4:5]
	s_cbranch_execz .LBB68_9
; %bb.8:                                ;   in Loop: Header=BB68_7 Depth=1
	v_add_u32_e32 v8, s24, v3
	v_ashrrev_i32_e32 v9, 31, v8
	v_lshlrev_b64 v[8:9], 3, v[8:9]
	v_mov_b32_e32 v5, s17
	v_add_co_u32_e64 v8, s[0:1], s16, v8
	v_addc_co_u32_e64 v9, s[0:1], v5, v9, s[0:1]
	global_load_dwordx2 v[8:9], v[8:9], off
	v_ashrrev_i32_e32 v7, 31, v6
	v_lshlrev_b64 v[10:11], 2, v[6:7]
	v_mov_b32_e32 v12, s15
	v_add_co_u32_e64 v10, s[0:1], s14, v10
	v_add_u32_e32 v5, s8, v0
	v_addc_co_u32_e64 v11, s[0:1], v12, v11, s[0:1]
	global_store_dword v[10:11], v5, off
	v_lshlrev_b64 v[10:11], 3, v[6:7]
	v_mov_b32_e32 v5, s7
	v_add_co_u32_e64 v10, s[0:1], s6, v10
	v_addc_co_u32_e64 v11, s[0:1], v5, v11, s[0:1]
	s_waitcnt vmcnt(1)
	global_store_dwordx2 v[10:11], v[8:9], off
.LBB68_9:                               ;   in Loop: Header=BB68_7 Depth=1
	s_or_b64 exec, exec, s[20:21]
	s_and_saveexec_b64 s[20:21], s[2:3]
	s_cbranch_execz .LBB68_6
; %bb.10:                               ;   in Loop: Header=BB68_7 Depth=1
	v_add3_u32 v5, v2, s24, 32
	v_add_u32_e32 v7, s24, v4
	v_cndmask_b32_e32 v8, v7, v5, vcc
	v_ashrrev_i32_e32 v9, 31, v8
	v_lshlrev_b64 v[8:9], 3, v[8:9]
	v_mov_b32_e32 v5, s17
	v_add_co_u32_e64 v8, s[0:1], s16, v8
	v_addc_co_u32_e64 v9, s[0:1], v5, v9, s[0:1]
	global_load_dwordx2 v[8:9], v[8:9], off
	v_add_u32_e32 v10, 32, v6
	v_ashrrev_i32_e32 v11, 31, v10
	v_lshlrev_b64 v[12:13], 2, v[10:11]
	v_mov_b32_e32 v7, s15
	v_add_co_u32_e64 v12, s[0:1], s14, v12
	v_add_u32_e32 v5, s8, v1
	v_addc_co_u32_e64 v13, s[0:1], v7, v13, s[0:1]
	v_lshlrev_b64 v[10:11], 3, v[10:11]
	global_store_dword v[12:13], v5, off
	v_mov_b32_e32 v5, s7
	v_add_co_u32_e64 v10, s[0:1], s6, v10
	v_addc_co_u32_e64 v11, s[0:1], v5, v11, s[0:1]
	s_waitcnt vmcnt(1)
	global_store_dwordx2 v[10:11], v[8:9], off
	s_branch .LBB68_6
.LBB68_11:
	s_endpgm
	.section	.rodata,"a",@progbits
	.p2align	6, 0x0
	.amdhsa_kernel _ZN9rocsparseL37gebsr2csr_block_per_row_33_128_kernelILi1024ELi8ELi64ELi8ELi32EdEEv20rocsparse_direction_ii21rocsparse_index_base_PKT4_PKiS7_iiS2_PS3_PiS9_
		.amdhsa_group_segment_fixed_size 0
		.amdhsa_private_segment_fixed_size 0
		.amdhsa_kernarg_size 80
		.amdhsa_user_sgpr_count 6
		.amdhsa_user_sgpr_private_segment_buffer 1
		.amdhsa_user_sgpr_dispatch_ptr 0
		.amdhsa_user_sgpr_queue_ptr 0
		.amdhsa_user_sgpr_kernarg_segment_ptr 1
		.amdhsa_user_sgpr_dispatch_id 0
		.amdhsa_user_sgpr_flat_scratch_init 0
		.amdhsa_user_sgpr_kernarg_preload_length 0
		.amdhsa_user_sgpr_kernarg_preload_offset 0
		.amdhsa_user_sgpr_private_segment_size 0
		.amdhsa_uses_dynamic_stack 0
		.amdhsa_system_sgpr_private_segment_wavefront_offset 0
		.amdhsa_system_sgpr_workgroup_id_x 1
		.amdhsa_system_sgpr_workgroup_id_y 0
		.amdhsa_system_sgpr_workgroup_id_z 0
		.amdhsa_system_sgpr_workgroup_info 0
		.amdhsa_system_vgpr_workitem_id 0
		.amdhsa_next_free_vgpr 14
		.amdhsa_next_free_sgpr 25
		.amdhsa_accum_offset 16
		.amdhsa_reserve_vcc 1
		.amdhsa_reserve_flat_scratch 0
		.amdhsa_float_round_mode_32 0
		.amdhsa_float_round_mode_16_64 0
		.amdhsa_float_denorm_mode_32 3
		.amdhsa_float_denorm_mode_16_64 3
		.amdhsa_dx10_clamp 1
		.amdhsa_ieee_mode 1
		.amdhsa_fp16_overflow 0
		.amdhsa_tg_split 0
		.amdhsa_exception_fp_ieee_invalid_op 0
		.amdhsa_exception_fp_denorm_src 0
		.amdhsa_exception_fp_ieee_div_zero 0
		.amdhsa_exception_fp_ieee_overflow 0
		.amdhsa_exception_fp_ieee_underflow 0
		.amdhsa_exception_fp_ieee_inexact 0
		.amdhsa_exception_int_div_zero 0
	.end_amdhsa_kernel
	.section	.text._ZN9rocsparseL37gebsr2csr_block_per_row_33_128_kernelILi1024ELi8ELi64ELi8ELi32EdEEv20rocsparse_direction_ii21rocsparse_index_base_PKT4_PKiS7_iiS2_PS3_PiS9_,"axG",@progbits,_ZN9rocsparseL37gebsr2csr_block_per_row_33_128_kernelILi1024ELi8ELi64ELi8ELi32EdEEv20rocsparse_direction_ii21rocsparse_index_base_PKT4_PKiS7_iiS2_PS3_PiS9_,comdat
.Lfunc_end68:
	.size	_ZN9rocsparseL37gebsr2csr_block_per_row_33_128_kernelILi1024ELi8ELi64ELi8ELi32EdEEv20rocsparse_direction_ii21rocsparse_index_base_PKT4_PKiS7_iiS2_PS3_PiS9_, .Lfunc_end68-_ZN9rocsparseL37gebsr2csr_block_per_row_33_128_kernelILi1024ELi8ELi64ELi8ELi32EdEEv20rocsparse_direction_ii21rocsparse_index_base_PKT4_PKiS7_iiS2_PS3_PiS9_
                                        ; -- End function
	.section	.AMDGPU.csdata,"",@progbits
; Kernel info:
; codeLenInByte = 752
; NumSgprs: 29
; NumVgprs: 14
; NumAgprs: 0
; TotalNumVgprs: 14
; ScratchSize: 0
; MemoryBound: 0
; FloatMode: 240
; IeeeMode: 1
; LDSByteSize: 0 bytes/workgroup (compile time only)
; SGPRBlocks: 3
; VGPRBlocks: 1
; NumSGPRsForWavesPerEU: 29
; NumVGPRsForWavesPerEU: 14
; AccumOffset: 16
; Occupancy: 8
; WaveLimiterHint : 1
; COMPUTE_PGM_RSRC2:SCRATCH_EN: 0
; COMPUTE_PGM_RSRC2:USER_SGPR: 6
; COMPUTE_PGM_RSRC2:TRAP_HANDLER: 0
; COMPUTE_PGM_RSRC2:TGID_X_EN: 1
; COMPUTE_PGM_RSRC2:TGID_Y_EN: 0
; COMPUTE_PGM_RSRC2:TGID_Z_EN: 0
; COMPUTE_PGM_RSRC2:TIDIG_COMP_CNT: 0
; COMPUTE_PGM_RSRC3_GFX90A:ACCUM_OFFSET: 3
; COMPUTE_PGM_RSRC3_GFX90A:TG_SPLIT: 0
	.section	.text._ZN9rocsparseL37gebsr2csr_block_per_row_33_128_kernelILi1024ELi8ELi128ELi8ELi32EdEEv20rocsparse_direction_ii21rocsparse_index_base_PKT4_PKiS7_iiS2_PS3_PiS9_,"axG",@progbits,_ZN9rocsparseL37gebsr2csr_block_per_row_33_128_kernelILi1024ELi8ELi128ELi8ELi32EdEEv20rocsparse_direction_ii21rocsparse_index_base_PKT4_PKiS7_iiS2_PS3_PiS9_,comdat
	.globl	_ZN9rocsparseL37gebsr2csr_block_per_row_33_128_kernelILi1024ELi8ELi128ELi8ELi32EdEEv20rocsparse_direction_ii21rocsparse_index_base_PKT4_PKiS7_iiS2_PS3_PiS9_ ; -- Begin function _ZN9rocsparseL37gebsr2csr_block_per_row_33_128_kernelILi1024ELi8ELi128ELi8ELi32EdEEv20rocsparse_direction_ii21rocsparse_index_base_PKT4_PKiS7_iiS2_PS3_PiS9_
	.p2align	8
	.type	_ZN9rocsparseL37gebsr2csr_block_per_row_33_128_kernelILi1024ELi8ELi128ELi8ELi32EdEEv20rocsparse_direction_ii21rocsparse_index_base_PKT4_PKiS7_iiS2_PS3_PiS9_,@function
_ZN9rocsparseL37gebsr2csr_block_per_row_33_128_kernelILi1024ELi8ELi128ELi8ELi32EdEEv20rocsparse_direction_ii21rocsparse_index_base_PKT4_PKiS7_iiS2_PS3_PiS9_: ; @_ZN9rocsparseL37gebsr2csr_block_per_row_33_128_kernelILi1024ELi8ELi128ELi8ELi32EdEEv20rocsparse_direction_ii21rocsparse_index_base_PKT4_PKiS7_iiS2_PS3_PiS9_
; %bb.0:
	s_load_dwordx2 s[0:1], s[4:5], 0x18
	s_load_dwordx4 s[8:11], s[4:5], 0x28
	s_load_dwordx2 s[2:3], s[4:5], 0x40
	s_ashr_i32 s7, s6, 31
	s_lshl_b64 s[12:13], s[6:7], 2
	s_waitcnt lgkmcnt(0)
	s_add_u32 s0, s0, s12
	s_addc_u32 s1, s1, s13
	s_load_dwordx2 s[14:15], s[0:1], 0x0
	v_or_b32_e32 v1, s6, v0
	v_cmp_eq_u32_e32 vcc, 0, v1
	s_and_saveexec_b64 s[0:1], vcc
	s_cbranch_execz .LBB69_2
; %bb.1:
	v_mov_b32_e32 v1, 0
	v_mov_b32_e32 v2, s10
	global_store_dword v1, v2, s[2:3]
.LBB69_2:
	s_or_b64 exec, exec, s[0:1]
	s_load_dword s11, s[4:5], 0xc
	v_lshrrev_b32_e32 v1, 5, v0
	v_cmp_gt_i32_e64 s[0:1], s8, v1
	s_mul_i32 s27, s9, s8
	s_waitcnt lgkmcnt(0)
	s_sub_i32 s12, s14, s11
	s_sub_i32 s26, s15, s11
	s_and_saveexec_b64 s[16:17], s[0:1]
	s_cbranch_execz .LBB69_4
; %bb.3:
	s_mul_i32 s7, s27, s12
	s_sub_i32 s13, s26, s12
	s_mul_i32 s13, s13, s9
	s_add_i32 s7, s7, s10
	v_mul_lo_u32 v2, s13, v1
	s_add_i32 s7, s7, s13
	s_mul_i32 s6, s6, s8
	v_add_u32_e32 v4, s7, v2
	v_add_u32_e32 v2, s6, v1
	v_ashrrev_i32_e32 v3, 31, v2
	v_lshlrev_b64 v[2:3], 2, v[2:3]
	v_mov_b32_e32 v5, s3
	v_add_co_u32_e32 v2, vcc, s2, v2
	v_addc_co_u32_e32 v3, vcc, v5, v3, vcc
	global_store_dword v[2:3], v4, off offset:4
.LBB69_4:
	s_or_b64 exec, exec, s[16:17]
	s_cmp_ge_i32 s14, s15
	s_cbranch_scc1 .LBB69_15
; %bb.5:
	s_load_dwordx2 s[22:23], s[4:5], 0x20
	s_load_dwordx2 s[6:7], s[4:5], 0x38
	;; [unrolled: 1-line block ×3, first 2 shown]
	s_load_dword s2, s[4:5], 0x0
	s_load_dwordx2 s[16:17], s[4:5], 0x48
	v_and_b32_e32 v0, 31, v0
	s_sub_i32 s3, s26, s12
	v_mul_lo_u32 v10, s3, v1
	s_waitcnt lgkmcnt(0)
	s_cmp_eq_u32 s2, 0
	v_cmp_gt_i32_e64 s[2:3], s9, v0
	v_or_b32_e32 v2, 32, v0
	s_cselect_b64 vcc, -1, 0
	s_and_b64 s[4:5], s[0:1], s[2:3]
	v_cmp_gt_i32_e64 s[2:3], s9, v2
	v_or_b32_e32 v3, 64, v0
	s_and_b64 s[18:19], s[0:1], s[2:3]
	v_cmp_gt_i32_e64 s[2:3], s9, v3
	v_or_b32_e32 v4, 0x60, v0
	s_and_b64 s[20:21], s[0:1], s[2:3]
	v_cmp_gt_i32_e64 s[2:3], s9, v4
	s_and_b64 s[2:3], s[0:1], s[2:3]
	s_mul_i32 s0, s8, s12
	s_mul_i32 s1, s9, s12
	s_ashr_i32 s13, s12, 31
	v_add_u32_e32 v5, s0, v1
	v_add_u32_e32 v9, s1, v0
	;; [unrolled: 1-line block ×3, first 2 shown]
	s_lshl_b64 s[0:1], s[12:13], 2
	v_add_u32_e32 v6, 0x60, v9
	v_add_u32_e32 v7, 64, v9
	;; [unrolled: 1-line block ×3, first 2 shown]
	s_add_u32 s22, s22, s0
	s_movk_i32 s28, 0x60
	v_mul_lo_u32 v5, s9, v5
	v_mul_lo_u32 v6, s8, v6
	;; [unrolled: 1-line block ×6, first 2 shown]
	s_addc_u32 s23, s23, s1
	s_branch .LBB69_7
.LBB69_6:                               ;   in Loop: Header=BB69_7 Depth=1
	s_or_b64 exec, exec, s[24:25]
	s_add_i32 s12, s12, 1
	s_add_u32 s22, s22, 4
	s_addc_u32 s23, s23, 0
	v_add_u32_e32 v5, s27, v5
	v_add_u32_e32 v1, s27, v1
	s_cmp_ge_i32 s12, s26
	v_add_u32_e32 v10, s9, v10
	s_cbranch_scc1 .LBB69_15
.LBB69_7:                               ; =>This Inner Loop Header: Depth=1
	s_load_dword s0, s[22:23], 0x0
	s_waitcnt lgkmcnt(0)
	s_sub_i32 s0, s0, s11
	s_mul_i32 s8, s0, s9
	s_add_i32 s8, s8, s10
	s_and_saveexec_b64 s[24:25], s[4:5]
	s_cbranch_execnz .LBB69_11
; %bb.8:                                ;   in Loop: Header=BB69_7 Depth=1
	s_or_b64 exec, exec, s[24:25]
	s_and_saveexec_b64 s[24:25], s[18:19]
	s_cbranch_execnz .LBB69_12
.LBB69_9:                               ;   in Loop: Header=BB69_7 Depth=1
	s_or_b64 exec, exec, s[24:25]
	s_and_saveexec_b64 s[24:25], s[20:21]
	s_cbranch_execnz .LBB69_13
.LBB69_10:                              ;   in Loop: Header=BB69_7 Depth=1
	s_or_b64 exec, exec, s[24:25]
	s_and_saveexec_b64 s[24:25], s[2:3]
	s_cbranch_execz .LBB69_6
	s_branch .LBB69_14
.LBB69_11:                              ;   in Loop: Header=BB69_7 Depth=1
	v_add_u32_e32 v11, v0, v5
	v_add_u32_e32 v12, v9, v1
	v_cndmask_b32_e32 v12, v12, v11, vcc
	v_ashrrev_i32_e32 v13, 31, v12
	v_lshlrev_b64 v[12:13], 3, v[12:13]
	v_mov_b32_e32 v11, s15
	v_add_co_u32_e64 v12, s[0:1], s14, v12
	v_addc_co_u32_e64 v13, s[0:1], v11, v13, s[0:1]
	global_load_dwordx2 v[12:13], v[12:13], off
	v_add_u32_e32 v14, v0, v10
	v_ashrrev_i32_e32 v15, 31, v14
	v_lshlrev_b64 v[16:17], 2, v[14:15]
	v_mov_b32_e32 v18, s17
	v_add_co_u32_e64 v16, s[0:1], s16, v16
	v_add_u32_e32 v11, s8, v0
	v_addc_co_u32_e64 v17, s[0:1], v18, v17, s[0:1]
	v_lshlrev_b64 v[14:15], 3, v[14:15]
	global_store_dword v[16:17], v11, off
	v_mov_b32_e32 v11, s7
	v_add_co_u32_e64 v14, s[0:1], s6, v14
	v_addc_co_u32_e64 v15, s[0:1], v11, v15, s[0:1]
	s_waitcnt vmcnt(1)
	global_store_dwordx2 v[14:15], v[12:13], off
	s_or_b64 exec, exec, s[24:25]
	s_and_saveexec_b64 s[24:25], s[18:19]
	s_cbranch_execz .LBB69_9
.LBB69_12:                              ;   in Loop: Header=BB69_7 Depth=1
	v_add3_u32 v11, v0, v5, 32
	v_add_u32_e32 v12, v8, v1
	v_cndmask_b32_e32 v12, v12, v11, vcc
	v_ashrrev_i32_e32 v13, 31, v12
	v_lshlrev_b64 v[12:13], 3, v[12:13]
	v_mov_b32_e32 v11, s15
	v_add_co_u32_e64 v12, s[0:1], s14, v12
	v_addc_co_u32_e64 v13, s[0:1], v11, v13, s[0:1]
	global_load_dwordx2 v[12:13], v[12:13], off
	v_add3_u32 v14, v0, v10, 32
	v_ashrrev_i32_e32 v15, 31, v14
	v_lshlrev_b64 v[16:17], 2, v[14:15]
	v_mov_b32_e32 v18, s17
	v_add_co_u32_e64 v16, s[0:1], s16, v16
	v_add_u32_e32 v11, s8, v2
	v_addc_co_u32_e64 v17, s[0:1], v18, v17, s[0:1]
	v_lshlrev_b64 v[14:15], 3, v[14:15]
	global_store_dword v[16:17], v11, off
	v_mov_b32_e32 v11, s7
	v_add_co_u32_e64 v14, s[0:1], s6, v14
	v_addc_co_u32_e64 v15, s[0:1], v11, v15, s[0:1]
	s_waitcnt vmcnt(1)
	global_store_dwordx2 v[14:15], v[12:13], off
	s_or_b64 exec, exec, s[24:25]
	s_and_saveexec_b64 s[24:25], s[20:21]
	s_cbranch_execz .LBB69_10
.LBB69_13:                              ;   in Loop: Header=BB69_7 Depth=1
	v_add3_u32 v11, v0, v5, 64
	v_add_u32_e32 v12, v7, v1
	v_cndmask_b32_e32 v12, v12, v11, vcc
	v_ashrrev_i32_e32 v13, 31, v12
	v_lshlrev_b64 v[12:13], 3, v[12:13]
	v_mov_b32_e32 v11, s15
	v_add_co_u32_e64 v12, s[0:1], s14, v12
	v_addc_co_u32_e64 v13, s[0:1], v11, v13, s[0:1]
	global_load_dwordx2 v[12:13], v[12:13], off
	v_add3_u32 v14, v0, v10, 64
	v_ashrrev_i32_e32 v15, 31, v14
	v_lshlrev_b64 v[16:17], 2, v[14:15]
	v_mov_b32_e32 v18, s17
	v_add_co_u32_e64 v16, s[0:1], s16, v16
	v_add_u32_e32 v11, s8, v3
	v_addc_co_u32_e64 v17, s[0:1], v18, v17, s[0:1]
	v_lshlrev_b64 v[14:15], 3, v[14:15]
	global_store_dword v[16:17], v11, off
	v_mov_b32_e32 v11, s7
	v_add_co_u32_e64 v14, s[0:1], s6, v14
	v_addc_co_u32_e64 v15, s[0:1], v11, v15, s[0:1]
	s_waitcnt vmcnt(1)
	global_store_dwordx2 v[14:15], v[12:13], off
	s_or_b64 exec, exec, s[24:25]
	s_and_saveexec_b64 s[24:25], s[2:3]
	s_cbranch_execz .LBB69_6
.LBB69_14:                              ;   in Loop: Header=BB69_7 Depth=1
	v_add3_u32 v11, v0, v5, s28
	v_add_u32_e32 v12, v6, v1
	v_cndmask_b32_e32 v12, v12, v11, vcc
	v_ashrrev_i32_e32 v13, 31, v12
	v_lshlrev_b64 v[12:13], 3, v[12:13]
	v_mov_b32_e32 v11, s15
	v_add_co_u32_e64 v12, s[0:1], s14, v12
	v_addc_co_u32_e64 v13, s[0:1], v11, v13, s[0:1]
	global_load_dwordx2 v[12:13], v[12:13], off
	v_add3_u32 v14, v0, v10, s28
	v_ashrrev_i32_e32 v15, 31, v14
	v_lshlrev_b64 v[16:17], 2, v[14:15]
	v_mov_b32_e32 v18, s17
	v_add_co_u32_e64 v16, s[0:1], s16, v16
	v_add_u32_e32 v11, s8, v4
	v_addc_co_u32_e64 v17, s[0:1], v18, v17, s[0:1]
	v_lshlrev_b64 v[14:15], 3, v[14:15]
	global_store_dword v[16:17], v11, off
	v_mov_b32_e32 v11, s7
	v_add_co_u32_e64 v14, s[0:1], s6, v14
	v_addc_co_u32_e64 v15, s[0:1], v11, v15, s[0:1]
	s_waitcnt vmcnt(1)
	global_store_dwordx2 v[14:15], v[12:13], off
	s_branch .LBB69_6
.LBB69_15:
	s_endpgm
	.section	.rodata,"a",@progbits
	.p2align	6, 0x0
	.amdhsa_kernel _ZN9rocsparseL37gebsr2csr_block_per_row_33_128_kernelILi1024ELi8ELi128ELi8ELi32EdEEv20rocsparse_direction_ii21rocsparse_index_base_PKT4_PKiS7_iiS2_PS3_PiS9_
		.amdhsa_group_segment_fixed_size 0
		.amdhsa_private_segment_fixed_size 0
		.amdhsa_kernarg_size 80
		.amdhsa_user_sgpr_count 6
		.amdhsa_user_sgpr_private_segment_buffer 1
		.amdhsa_user_sgpr_dispatch_ptr 0
		.amdhsa_user_sgpr_queue_ptr 0
		.amdhsa_user_sgpr_kernarg_segment_ptr 1
		.amdhsa_user_sgpr_dispatch_id 0
		.amdhsa_user_sgpr_flat_scratch_init 0
		.amdhsa_user_sgpr_kernarg_preload_length 0
		.amdhsa_user_sgpr_kernarg_preload_offset 0
		.amdhsa_user_sgpr_private_segment_size 0
		.amdhsa_uses_dynamic_stack 0
		.amdhsa_system_sgpr_private_segment_wavefront_offset 0
		.amdhsa_system_sgpr_workgroup_id_x 1
		.amdhsa_system_sgpr_workgroup_id_y 0
		.amdhsa_system_sgpr_workgroup_id_z 0
		.amdhsa_system_sgpr_workgroup_info 0
		.amdhsa_system_vgpr_workitem_id 0
		.amdhsa_next_free_vgpr 19
		.amdhsa_next_free_sgpr 29
		.amdhsa_accum_offset 20
		.amdhsa_reserve_vcc 1
		.amdhsa_reserve_flat_scratch 0
		.amdhsa_float_round_mode_32 0
		.amdhsa_float_round_mode_16_64 0
		.amdhsa_float_denorm_mode_32 3
		.amdhsa_float_denorm_mode_16_64 3
		.amdhsa_dx10_clamp 1
		.amdhsa_ieee_mode 1
		.amdhsa_fp16_overflow 0
		.amdhsa_tg_split 0
		.amdhsa_exception_fp_ieee_invalid_op 0
		.amdhsa_exception_fp_denorm_src 0
		.amdhsa_exception_fp_ieee_div_zero 0
		.amdhsa_exception_fp_ieee_overflow 0
		.amdhsa_exception_fp_ieee_underflow 0
		.amdhsa_exception_fp_ieee_inexact 0
		.amdhsa_exception_int_div_zero 0
	.end_amdhsa_kernel
	.section	.text._ZN9rocsparseL37gebsr2csr_block_per_row_33_128_kernelILi1024ELi8ELi128ELi8ELi32EdEEv20rocsparse_direction_ii21rocsparse_index_base_PKT4_PKiS7_iiS2_PS3_PiS9_,"axG",@progbits,_ZN9rocsparseL37gebsr2csr_block_per_row_33_128_kernelILi1024ELi8ELi128ELi8ELi32EdEEv20rocsparse_direction_ii21rocsparse_index_base_PKT4_PKiS7_iiS2_PS3_PiS9_,comdat
.Lfunc_end69:
	.size	_ZN9rocsparseL37gebsr2csr_block_per_row_33_128_kernelILi1024ELi8ELi128ELi8ELi32EdEEv20rocsparse_direction_ii21rocsparse_index_base_PKT4_PKiS7_iiS2_PS3_PiS9_, .Lfunc_end69-_ZN9rocsparseL37gebsr2csr_block_per_row_33_128_kernelILi1024ELi8ELi128ELi8ELi32EdEEv20rocsparse_direction_ii21rocsparse_index_base_PKT4_PKiS7_iiS2_PS3_PiS9_
                                        ; -- End function
	.section	.AMDGPU.csdata,"",@progbits
; Kernel info:
; codeLenInByte = 1192
; NumSgprs: 33
; NumVgprs: 19
; NumAgprs: 0
; TotalNumVgprs: 19
; ScratchSize: 0
; MemoryBound: 0
; FloatMode: 240
; IeeeMode: 1
; LDSByteSize: 0 bytes/workgroup (compile time only)
; SGPRBlocks: 4
; VGPRBlocks: 2
; NumSGPRsForWavesPerEU: 33
; NumVGPRsForWavesPerEU: 19
; AccumOffset: 20
; Occupancy: 8
; WaveLimiterHint : 1
; COMPUTE_PGM_RSRC2:SCRATCH_EN: 0
; COMPUTE_PGM_RSRC2:USER_SGPR: 6
; COMPUTE_PGM_RSRC2:TRAP_HANDLER: 0
; COMPUTE_PGM_RSRC2:TGID_X_EN: 1
; COMPUTE_PGM_RSRC2:TGID_Y_EN: 0
; COMPUTE_PGM_RSRC2:TGID_Z_EN: 0
; COMPUTE_PGM_RSRC2:TIDIG_COMP_CNT: 0
; COMPUTE_PGM_RSRC3_GFX90A:ACCUM_OFFSET: 4
; COMPUTE_PGM_RSRC3_GFX90A:TG_SPLIT: 0
	.section	.text._ZN9rocsparseL35gebsr2csr_block_per_row_1_32_kernelILi1024ELi16ELi2EdEEv20rocsparse_direction_ii21rocsparse_index_base_PKT2_PKiS7_iiS2_PS3_PiS9_,"axG",@progbits,_ZN9rocsparseL35gebsr2csr_block_per_row_1_32_kernelILi1024ELi16ELi2EdEEv20rocsparse_direction_ii21rocsparse_index_base_PKT2_PKiS7_iiS2_PS3_PiS9_,comdat
	.globl	_ZN9rocsparseL35gebsr2csr_block_per_row_1_32_kernelILi1024ELi16ELi2EdEEv20rocsparse_direction_ii21rocsparse_index_base_PKT2_PKiS7_iiS2_PS3_PiS9_ ; -- Begin function _ZN9rocsparseL35gebsr2csr_block_per_row_1_32_kernelILi1024ELi16ELi2EdEEv20rocsparse_direction_ii21rocsparse_index_base_PKT2_PKiS7_iiS2_PS3_PiS9_
	.p2align	8
	.type	_ZN9rocsparseL35gebsr2csr_block_per_row_1_32_kernelILi1024ELi16ELi2EdEEv20rocsparse_direction_ii21rocsparse_index_base_PKT2_PKiS7_iiS2_PS3_PiS9_,@function
_ZN9rocsparseL35gebsr2csr_block_per_row_1_32_kernelILi1024ELi16ELi2EdEEv20rocsparse_direction_ii21rocsparse_index_base_PKT2_PKiS7_iiS2_PS3_PiS9_: ; @_ZN9rocsparseL35gebsr2csr_block_per_row_1_32_kernelILi1024ELi16ELi2EdEEv20rocsparse_direction_ii21rocsparse_index_base_PKT2_PKiS7_iiS2_PS3_PiS9_
; %bb.0:
	s_load_dwordx2 s[0:1], s[4:5], 0x18
	s_load_dwordx4 s[8:11], s[4:5], 0x28
	s_load_dwordx2 s[2:3], s[4:5], 0x40
	s_ashr_i32 s7, s6, 31
	s_lshl_b64 s[12:13], s[6:7], 2
	s_waitcnt lgkmcnt(0)
	s_add_u32 s12, s0, s12
	v_or_b32_e32 v1, s6, v0
	s_addc_u32 s13, s1, s13
	v_cmp_eq_u32_e32 vcc, 0, v1
	s_and_saveexec_b64 s[0:1], vcc
	s_cbranch_execz .LBB70_2
; %bb.1:
	v_mov_b32_e32 v1, 0
	v_mov_b32_e32 v2, s10
	global_store_dword v1, v2, s[2:3]
.LBB70_2:
	s_or_b64 exec, exec, s[0:1]
	v_and_b32_e32 v6, 1, v0
	v_bfe_u32 v8, v0, 1, 4
	v_cmp_gt_i32_e32 vcc, s8, v8
	v_cmp_gt_i32_e64 s[0:1], s9, v6
	s_and_b64 s[0:1], vcc, s[0:1]
	s_and_saveexec_b64 s[14:15], s[0:1]
	s_cbranch_execz .LBB70_6
; %bb.3:
	s_load_dwordx2 s[14:15], s[12:13], 0x0
	s_load_dword s11, s[4:5], 0xc
	s_mul_i32 s6, s6, s8
	v_add_u32_e32 v2, s6, v8
	s_mul_i32 s1, s9, s8
	v_ashrrev_i32_e32 v3, 31, v2
	s_waitcnt lgkmcnt(0)
	s_sub_i32 s0, s14, s11
	s_sub_i32 s14, s15, s11
	;; [unrolled: 1-line block ×3, first 2 shown]
	s_mul_i32 s12, s15, s9
	v_lshrrev_b32_e32 v1, 5, v0
	s_mul_i32 s7, s0, s1
	v_mul_lo_u32 v0, s12, v8
	s_add_i32 s12, s12, s10
	v_lshlrev_b64 v[2:3], 2, v[2:3]
	s_add_i32 s12, s12, s7
	v_mov_b32_e32 v4, s3
	v_add_co_u32_e32 v2, vcc, s2, v2
	v_add_u32_e32 v0, s12, v0
	v_addc_co_u32_e32 v3, vcc, v4, v3, vcc
	global_store_dword v[2:3], v0, off offset:4
	v_add_u32_e32 v0, s0, v1
	v_cmp_gt_i32_e32 vcc, s14, v0
	s_and_b64 exec, exec, vcc
	s_cbranch_execz .LBB70_6
; %bb.4:
	s_load_dwordx2 s[16:17], s[4:5], 0x20
	s_load_dwordx2 s[2:3], s[4:5], 0x38
	s_load_dword s18, s[4:5], 0x0
	s_load_dwordx2 s[6:7], s[4:5], 0x10
	s_load_dwordx2 s[12:13], s[4:5], 0x48
	v_mad_u64_u32 v[4:5], s[4:5], v6, s8, v[8:9]
	s_waitcnt lgkmcnt(0)
	s_cmp_eq_u32 s18, 0
	v_mad_u64_u32 v[10:11], s[4:5], v8, s9, v[6:7]
	s_cselect_b64 vcc, -1, 0
	s_mul_i32 s0, s8, s0
	v_mul_lo_u32 v3, s15, v8
	v_cndmask_b32_e32 v4, v4, v10, vcc
	v_add3_u32 v1, v1, s0, v3
	v_add_u32_e32 v2, s10, v6
	v_mad_u64_u32 v[4:5], s[4:5], s1, v0, v[4:5]
	s_lshl_b32 s10, s1, 5
	v_mad_u64_u32 v[6:7], s[0:1], s9, v1, v[6:7]
	v_ashrrev_i32_e32 v1, 31, v0
	v_lshlrev_b64 v[8:9], 2, v[0:1]
	v_mov_b32_e32 v1, s17
	v_add_co_u32_e32 v8, vcc, s16, v8
	s_lshl_b32 s8, s9, 5
	v_addc_co_u32_e32 v9, vcc, v1, v9, vcc
	s_mov_b64 s[4:5], 0
	v_mov_b32_e32 v1, s13
	v_mov_b32_e32 v3, s7
	;; [unrolled: 1-line block ×3, first 2 shown]
.LBB70_5:                               ; =>This Inner Loop Header: Depth=1
	v_ashrrev_i32_e32 v5, 31, v4
	global_load_dword v11, v[8:9], off
	v_lshlrev_b64 v[12:13], 3, v[4:5]
	v_add_co_u32_e32 v12, vcc, s6, v12
	v_addc_co_u32_e32 v13, vcc, v3, v13, vcc
	global_load_dwordx2 v[12:13], v[12:13], off
	v_ashrrev_i32_e32 v7, 31, v6
	v_lshlrev_b64 v[14:15], 2, v[6:7]
	v_add_co_u32_e32 v8, vcc, 0x80, v8
	v_add_co_u32_e64 v14, s[0:1], s12, v14
	v_add_u32_e32 v0, 32, v0
	v_lshlrev_b64 v[16:17], 3, v[6:7]
	v_addc_co_u32_e32 v9, vcc, 0, v9, vcc
	v_addc_co_u32_e64 v15, s[0:1], v1, v15, s[0:1]
	v_cmp_le_i32_e32 vcc, s14, v0
	v_add_co_u32_e64 v16, s[0:1], s2, v16
	v_add_u32_e32 v4, s10, v4
	v_add_u32_e32 v6, s8, v6
	v_addc_co_u32_e64 v17, s[0:1], v10, v17, s[0:1]
	s_or_b64 s[4:5], vcc, s[4:5]
	s_waitcnt vmcnt(1)
	v_subrev_u32_e32 v5, s11, v11
	v_mad_u64_u32 v[18:19], s[0:1], v5, s9, v[2:3]
	global_store_dword v[14:15], v18, off
	s_waitcnt vmcnt(1)
	global_store_dwordx2 v[16:17], v[12:13], off
	s_andn2_b64 exec, exec, s[4:5]
	s_cbranch_execnz .LBB70_5
.LBB70_6:
	s_endpgm
	.section	.rodata,"a",@progbits
	.p2align	6, 0x0
	.amdhsa_kernel _ZN9rocsparseL35gebsr2csr_block_per_row_1_32_kernelILi1024ELi16ELi2EdEEv20rocsparse_direction_ii21rocsparse_index_base_PKT2_PKiS7_iiS2_PS3_PiS9_
		.amdhsa_group_segment_fixed_size 0
		.amdhsa_private_segment_fixed_size 0
		.amdhsa_kernarg_size 80
		.amdhsa_user_sgpr_count 6
		.amdhsa_user_sgpr_private_segment_buffer 1
		.amdhsa_user_sgpr_dispatch_ptr 0
		.amdhsa_user_sgpr_queue_ptr 0
		.amdhsa_user_sgpr_kernarg_segment_ptr 1
		.amdhsa_user_sgpr_dispatch_id 0
		.amdhsa_user_sgpr_flat_scratch_init 0
		.amdhsa_user_sgpr_kernarg_preload_length 0
		.amdhsa_user_sgpr_kernarg_preload_offset 0
		.amdhsa_user_sgpr_private_segment_size 0
		.amdhsa_uses_dynamic_stack 0
		.amdhsa_system_sgpr_private_segment_wavefront_offset 0
		.amdhsa_system_sgpr_workgroup_id_x 1
		.amdhsa_system_sgpr_workgroup_id_y 0
		.amdhsa_system_sgpr_workgroup_id_z 0
		.amdhsa_system_sgpr_workgroup_info 0
		.amdhsa_system_vgpr_workitem_id 0
		.amdhsa_next_free_vgpr 20
		.amdhsa_next_free_sgpr 19
		.amdhsa_accum_offset 20
		.amdhsa_reserve_vcc 1
		.amdhsa_reserve_flat_scratch 0
		.amdhsa_float_round_mode_32 0
		.amdhsa_float_round_mode_16_64 0
		.amdhsa_float_denorm_mode_32 3
		.amdhsa_float_denorm_mode_16_64 3
		.amdhsa_dx10_clamp 1
		.amdhsa_ieee_mode 1
		.amdhsa_fp16_overflow 0
		.amdhsa_tg_split 0
		.amdhsa_exception_fp_ieee_invalid_op 0
		.amdhsa_exception_fp_denorm_src 0
		.amdhsa_exception_fp_ieee_div_zero 0
		.amdhsa_exception_fp_ieee_overflow 0
		.amdhsa_exception_fp_ieee_underflow 0
		.amdhsa_exception_fp_ieee_inexact 0
		.amdhsa_exception_int_div_zero 0
	.end_amdhsa_kernel
	.section	.text._ZN9rocsparseL35gebsr2csr_block_per_row_1_32_kernelILi1024ELi16ELi2EdEEv20rocsparse_direction_ii21rocsparse_index_base_PKT2_PKiS7_iiS2_PS3_PiS9_,"axG",@progbits,_ZN9rocsparseL35gebsr2csr_block_per_row_1_32_kernelILi1024ELi16ELi2EdEEv20rocsparse_direction_ii21rocsparse_index_base_PKT2_PKiS7_iiS2_PS3_PiS9_,comdat
.Lfunc_end70:
	.size	_ZN9rocsparseL35gebsr2csr_block_per_row_1_32_kernelILi1024ELi16ELi2EdEEv20rocsparse_direction_ii21rocsparse_index_base_PKT2_PKiS7_iiS2_PS3_PiS9_, .Lfunc_end70-_ZN9rocsparseL35gebsr2csr_block_per_row_1_32_kernelILi1024ELi16ELi2EdEEv20rocsparse_direction_ii21rocsparse_index_base_PKT2_PKiS7_iiS2_PS3_PiS9_
                                        ; -- End function
	.section	.AMDGPU.csdata,"",@progbits
; Kernel info:
; codeLenInByte = 568
; NumSgprs: 23
; NumVgprs: 20
; NumAgprs: 0
; TotalNumVgprs: 20
; ScratchSize: 0
; MemoryBound: 0
; FloatMode: 240
; IeeeMode: 1
; LDSByteSize: 0 bytes/workgroup (compile time only)
; SGPRBlocks: 2
; VGPRBlocks: 2
; NumSGPRsForWavesPerEU: 23
; NumVGPRsForWavesPerEU: 20
; AccumOffset: 20
; Occupancy: 8
; WaveLimiterHint : 0
; COMPUTE_PGM_RSRC2:SCRATCH_EN: 0
; COMPUTE_PGM_RSRC2:USER_SGPR: 6
; COMPUTE_PGM_RSRC2:TRAP_HANDLER: 0
; COMPUTE_PGM_RSRC2:TGID_X_EN: 1
; COMPUTE_PGM_RSRC2:TGID_Y_EN: 0
; COMPUTE_PGM_RSRC2:TGID_Z_EN: 0
; COMPUTE_PGM_RSRC2:TIDIG_COMP_CNT: 0
; COMPUTE_PGM_RSRC3_GFX90A:ACCUM_OFFSET: 4
; COMPUTE_PGM_RSRC3_GFX90A:TG_SPLIT: 0
	.section	.text._ZN9rocsparseL35gebsr2csr_block_per_row_1_32_kernelILi1024ELi16ELi4EdEEv20rocsparse_direction_ii21rocsparse_index_base_PKT2_PKiS7_iiS2_PS3_PiS9_,"axG",@progbits,_ZN9rocsparseL35gebsr2csr_block_per_row_1_32_kernelILi1024ELi16ELi4EdEEv20rocsparse_direction_ii21rocsparse_index_base_PKT2_PKiS7_iiS2_PS3_PiS9_,comdat
	.globl	_ZN9rocsparseL35gebsr2csr_block_per_row_1_32_kernelILi1024ELi16ELi4EdEEv20rocsparse_direction_ii21rocsparse_index_base_PKT2_PKiS7_iiS2_PS3_PiS9_ ; -- Begin function _ZN9rocsparseL35gebsr2csr_block_per_row_1_32_kernelILi1024ELi16ELi4EdEEv20rocsparse_direction_ii21rocsparse_index_base_PKT2_PKiS7_iiS2_PS3_PiS9_
	.p2align	8
	.type	_ZN9rocsparseL35gebsr2csr_block_per_row_1_32_kernelILi1024ELi16ELi4EdEEv20rocsparse_direction_ii21rocsparse_index_base_PKT2_PKiS7_iiS2_PS3_PiS9_,@function
_ZN9rocsparseL35gebsr2csr_block_per_row_1_32_kernelILi1024ELi16ELi4EdEEv20rocsparse_direction_ii21rocsparse_index_base_PKT2_PKiS7_iiS2_PS3_PiS9_: ; @_ZN9rocsparseL35gebsr2csr_block_per_row_1_32_kernelILi1024ELi16ELi4EdEEv20rocsparse_direction_ii21rocsparse_index_base_PKT2_PKiS7_iiS2_PS3_PiS9_
; %bb.0:
	s_load_dwordx2 s[0:1], s[4:5], 0x18
	s_load_dwordx4 s[8:11], s[4:5], 0x28
	s_load_dwordx2 s[2:3], s[4:5], 0x40
	s_ashr_i32 s7, s6, 31
	s_lshl_b64 s[12:13], s[6:7], 2
	s_waitcnt lgkmcnt(0)
	s_add_u32 s12, s0, s12
	v_or_b32_e32 v1, s6, v0
	s_addc_u32 s13, s1, s13
	v_cmp_eq_u32_e32 vcc, 0, v1
	s_and_saveexec_b64 s[0:1], vcc
	s_cbranch_execz .LBB71_2
; %bb.1:
	v_mov_b32_e32 v1, 0
	v_mov_b32_e32 v2, s10
	global_store_dword v1, v2, s[2:3]
.LBB71_2:
	s_or_b64 exec, exec, s[0:1]
	v_and_b32_e32 v6, 3, v0
	v_bfe_u32 v8, v0, 2, 4
	v_cmp_gt_i32_e32 vcc, s8, v8
	v_cmp_gt_i32_e64 s[0:1], s9, v6
	s_and_b64 s[0:1], vcc, s[0:1]
	s_and_saveexec_b64 s[14:15], s[0:1]
	s_cbranch_execz .LBB71_6
; %bb.3:
	s_load_dwordx2 s[14:15], s[12:13], 0x0
	s_load_dword s11, s[4:5], 0xc
	s_mul_i32 s6, s6, s8
	v_add_u32_e32 v2, s6, v8
	s_mul_i32 s1, s9, s8
	v_ashrrev_i32_e32 v3, 31, v2
	s_waitcnt lgkmcnt(0)
	s_sub_i32 s0, s14, s11
	s_sub_i32 s14, s15, s11
	;; [unrolled: 1-line block ×3, first 2 shown]
	s_mul_i32 s12, s15, s9
	v_lshrrev_b32_e32 v1, 6, v0
	s_mul_i32 s7, s0, s1
	v_mul_lo_u32 v0, s12, v8
	s_add_i32 s12, s12, s10
	v_lshlrev_b64 v[2:3], 2, v[2:3]
	s_add_i32 s12, s12, s7
	v_mov_b32_e32 v4, s3
	v_add_co_u32_e32 v2, vcc, s2, v2
	v_add_u32_e32 v0, s12, v0
	v_addc_co_u32_e32 v3, vcc, v4, v3, vcc
	global_store_dword v[2:3], v0, off offset:4
	v_add_u32_e32 v0, s0, v1
	v_cmp_gt_i32_e32 vcc, s14, v0
	s_and_b64 exec, exec, vcc
	s_cbranch_execz .LBB71_6
; %bb.4:
	s_load_dwordx2 s[16:17], s[4:5], 0x20
	s_load_dwordx2 s[2:3], s[4:5], 0x38
	s_load_dword s18, s[4:5], 0x0
	s_load_dwordx2 s[6:7], s[4:5], 0x10
	s_load_dwordx2 s[12:13], s[4:5], 0x48
	v_mad_u64_u32 v[4:5], s[4:5], v6, s8, v[8:9]
	s_waitcnt lgkmcnt(0)
	s_cmp_eq_u32 s18, 0
	v_mad_u64_u32 v[10:11], s[4:5], v8, s9, v[6:7]
	s_cselect_b64 vcc, -1, 0
	s_mul_i32 s0, s8, s0
	v_mul_lo_u32 v3, s15, v8
	v_cndmask_b32_e32 v4, v4, v10, vcc
	v_add3_u32 v1, v1, s0, v3
	v_add_u32_e32 v2, s10, v6
	v_mad_u64_u32 v[4:5], s[4:5], s1, v0, v[4:5]
	s_lshl_b32 s10, s1, 4
	v_mad_u64_u32 v[6:7], s[0:1], s9, v1, v[6:7]
	v_ashrrev_i32_e32 v1, 31, v0
	v_lshlrev_b64 v[8:9], 2, v[0:1]
	v_mov_b32_e32 v1, s17
	v_add_co_u32_e32 v8, vcc, s16, v8
	s_lshl_b32 s8, s9, 4
	v_addc_co_u32_e32 v9, vcc, v1, v9, vcc
	s_mov_b64 s[4:5], 0
	v_mov_b32_e32 v1, s13
	v_mov_b32_e32 v3, s7
	;; [unrolled: 1-line block ×3, first 2 shown]
.LBB71_5:                               ; =>This Inner Loop Header: Depth=1
	v_ashrrev_i32_e32 v5, 31, v4
	global_load_dword v11, v[8:9], off
	v_lshlrev_b64 v[12:13], 3, v[4:5]
	v_add_co_u32_e32 v12, vcc, s6, v12
	v_addc_co_u32_e32 v13, vcc, v3, v13, vcc
	global_load_dwordx2 v[12:13], v[12:13], off
	v_ashrrev_i32_e32 v7, 31, v6
	v_lshlrev_b64 v[14:15], 2, v[6:7]
	v_add_co_u32_e32 v8, vcc, 64, v8
	v_add_co_u32_e64 v14, s[0:1], s12, v14
	v_add_u32_e32 v0, 16, v0
	v_addc_co_u32_e32 v9, vcc, 0, v9, vcc
	v_lshlrev_b64 v[16:17], 3, v[6:7]
	v_addc_co_u32_e64 v15, s[0:1], v1, v15, s[0:1]
	v_cmp_le_i32_e32 vcc, s14, v0
	v_add_co_u32_e64 v16, s[0:1], s2, v16
	v_add_u32_e32 v4, s10, v4
	v_add_u32_e32 v6, s8, v6
	v_addc_co_u32_e64 v17, s[0:1], v10, v17, s[0:1]
	s_or_b64 s[4:5], vcc, s[4:5]
	s_waitcnt vmcnt(1)
	v_subrev_u32_e32 v5, s11, v11
	v_mad_u64_u32 v[18:19], s[0:1], v5, s9, v[2:3]
	global_store_dword v[14:15], v18, off
	s_waitcnt vmcnt(1)
	global_store_dwordx2 v[16:17], v[12:13], off
	s_andn2_b64 exec, exec, s[4:5]
	s_cbranch_execnz .LBB71_5
.LBB71_6:
	s_endpgm
	.section	.rodata,"a",@progbits
	.p2align	6, 0x0
	.amdhsa_kernel _ZN9rocsparseL35gebsr2csr_block_per_row_1_32_kernelILi1024ELi16ELi4EdEEv20rocsparse_direction_ii21rocsparse_index_base_PKT2_PKiS7_iiS2_PS3_PiS9_
		.amdhsa_group_segment_fixed_size 0
		.amdhsa_private_segment_fixed_size 0
		.amdhsa_kernarg_size 80
		.amdhsa_user_sgpr_count 6
		.amdhsa_user_sgpr_private_segment_buffer 1
		.amdhsa_user_sgpr_dispatch_ptr 0
		.amdhsa_user_sgpr_queue_ptr 0
		.amdhsa_user_sgpr_kernarg_segment_ptr 1
		.amdhsa_user_sgpr_dispatch_id 0
		.amdhsa_user_sgpr_flat_scratch_init 0
		.amdhsa_user_sgpr_kernarg_preload_length 0
		.amdhsa_user_sgpr_kernarg_preload_offset 0
		.amdhsa_user_sgpr_private_segment_size 0
		.amdhsa_uses_dynamic_stack 0
		.amdhsa_system_sgpr_private_segment_wavefront_offset 0
		.amdhsa_system_sgpr_workgroup_id_x 1
		.amdhsa_system_sgpr_workgroup_id_y 0
		.amdhsa_system_sgpr_workgroup_id_z 0
		.amdhsa_system_sgpr_workgroup_info 0
		.amdhsa_system_vgpr_workitem_id 0
		.amdhsa_next_free_vgpr 20
		.amdhsa_next_free_sgpr 19
		.amdhsa_accum_offset 20
		.amdhsa_reserve_vcc 1
		.amdhsa_reserve_flat_scratch 0
		.amdhsa_float_round_mode_32 0
		.amdhsa_float_round_mode_16_64 0
		.amdhsa_float_denorm_mode_32 3
		.amdhsa_float_denorm_mode_16_64 3
		.amdhsa_dx10_clamp 1
		.amdhsa_ieee_mode 1
		.amdhsa_fp16_overflow 0
		.amdhsa_tg_split 0
		.amdhsa_exception_fp_ieee_invalid_op 0
		.amdhsa_exception_fp_denorm_src 0
		.amdhsa_exception_fp_ieee_div_zero 0
		.amdhsa_exception_fp_ieee_overflow 0
		.amdhsa_exception_fp_ieee_underflow 0
		.amdhsa_exception_fp_ieee_inexact 0
		.amdhsa_exception_int_div_zero 0
	.end_amdhsa_kernel
	.section	.text._ZN9rocsparseL35gebsr2csr_block_per_row_1_32_kernelILi1024ELi16ELi4EdEEv20rocsparse_direction_ii21rocsparse_index_base_PKT2_PKiS7_iiS2_PS3_PiS9_,"axG",@progbits,_ZN9rocsparseL35gebsr2csr_block_per_row_1_32_kernelILi1024ELi16ELi4EdEEv20rocsparse_direction_ii21rocsparse_index_base_PKT2_PKiS7_iiS2_PS3_PiS9_,comdat
.Lfunc_end71:
	.size	_ZN9rocsparseL35gebsr2csr_block_per_row_1_32_kernelILi1024ELi16ELi4EdEEv20rocsparse_direction_ii21rocsparse_index_base_PKT2_PKiS7_iiS2_PS3_PiS9_, .Lfunc_end71-_ZN9rocsparseL35gebsr2csr_block_per_row_1_32_kernelILi1024ELi16ELi4EdEEv20rocsparse_direction_ii21rocsparse_index_base_PKT2_PKiS7_iiS2_PS3_PiS9_
                                        ; -- End function
	.section	.AMDGPU.csdata,"",@progbits
; Kernel info:
; codeLenInByte = 564
; NumSgprs: 23
; NumVgprs: 20
; NumAgprs: 0
; TotalNumVgprs: 20
; ScratchSize: 0
; MemoryBound: 0
; FloatMode: 240
; IeeeMode: 1
; LDSByteSize: 0 bytes/workgroup (compile time only)
; SGPRBlocks: 2
; VGPRBlocks: 2
; NumSGPRsForWavesPerEU: 23
; NumVGPRsForWavesPerEU: 20
; AccumOffset: 20
; Occupancy: 8
; WaveLimiterHint : 0
; COMPUTE_PGM_RSRC2:SCRATCH_EN: 0
; COMPUTE_PGM_RSRC2:USER_SGPR: 6
; COMPUTE_PGM_RSRC2:TRAP_HANDLER: 0
; COMPUTE_PGM_RSRC2:TGID_X_EN: 1
; COMPUTE_PGM_RSRC2:TGID_Y_EN: 0
; COMPUTE_PGM_RSRC2:TGID_Z_EN: 0
; COMPUTE_PGM_RSRC2:TIDIG_COMP_CNT: 0
; COMPUTE_PGM_RSRC3_GFX90A:ACCUM_OFFSET: 4
; COMPUTE_PGM_RSRC3_GFX90A:TG_SPLIT: 0
	.section	.text._ZN9rocsparseL35gebsr2csr_block_per_row_1_32_kernelILi1024ELi16ELi8EdEEv20rocsparse_direction_ii21rocsparse_index_base_PKT2_PKiS7_iiS2_PS3_PiS9_,"axG",@progbits,_ZN9rocsparseL35gebsr2csr_block_per_row_1_32_kernelILi1024ELi16ELi8EdEEv20rocsparse_direction_ii21rocsparse_index_base_PKT2_PKiS7_iiS2_PS3_PiS9_,comdat
	.globl	_ZN9rocsparseL35gebsr2csr_block_per_row_1_32_kernelILi1024ELi16ELi8EdEEv20rocsparse_direction_ii21rocsparse_index_base_PKT2_PKiS7_iiS2_PS3_PiS9_ ; -- Begin function _ZN9rocsparseL35gebsr2csr_block_per_row_1_32_kernelILi1024ELi16ELi8EdEEv20rocsparse_direction_ii21rocsparse_index_base_PKT2_PKiS7_iiS2_PS3_PiS9_
	.p2align	8
	.type	_ZN9rocsparseL35gebsr2csr_block_per_row_1_32_kernelILi1024ELi16ELi8EdEEv20rocsparse_direction_ii21rocsparse_index_base_PKT2_PKiS7_iiS2_PS3_PiS9_,@function
_ZN9rocsparseL35gebsr2csr_block_per_row_1_32_kernelILi1024ELi16ELi8EdEEv20rocsparse_direction_ii21rocsparse_index_base_PKT2_PKiS7_iiS2_PS3_PiS9_: ; @_ZN9rocsparseL35gebsr2csr_block_per_row_1_32_kernelILi1024ELi16ELi8EdEEv20rocsparse_direction_ii21rocsparse_index_base_PKT2_PKiS7_iiS2_PS3_PiS9_
; %bb.0:
	s_load_dwordx2 s[0:1], s[4:5], 0x18
	s_load_dwordx4 s[8:11], s[4:5], 0x28
	s_load_dwordx2 s[2:3], s[4:5], 0x40
	s_ashr_i32 s7, s6, 31
	s_lshl_b64 s[12:13], s[6:7], 2
	s_waitcnt lgkmcnt(0)
	s_add_u32 s12, s0, s12
	v_or_b32_e32 v1, s6, v0
	s_addc_u32 s13, s1, s13
	v_cmp_eq_u32_e32 vcc, 0, v1
	s_and_saveexec_b64 s[0:1], vcc
	s_cbranch_execz .LBB72_2
; %bb.1:
	v_mov_b32_e32 v1, 0
	v_mov_b32_e32 v2, s10
	global_store_dword v1, v2, s[2:3]
.LBB72_2:
	s_or_b64 exec, exec, s[0:1]
	v_and_b32_e32 v6, 7, v0
	v_bfe_u32 v8, v0, 3, 4
	v_cmp_gt_i32_e32 vcc, s8, v8
	v_cmp_gt_i32_e64 s[0:1], s9, v6
	s_and_b64 s[0:1], vcc, s[0:1]
	s_and_saveexec_b64 s[14:15], s[0:1]
	s_cbranch_execz .LBB72_6
; %bb.3:
	s_load_dwordx2 s[14:15], s[12:13], 0x0
	s_load_dword s11, s[4:5], 0xc
	s_mul_i32 s6, s6, s8
	v_add_u32_e32 v2, s6, v8
	s_mul_i32 s1, s9, s8
	v_ashrrev_i32_e32 v3, 31, v2
	s_waitcnt lgkmcnt(0)
	s_sub_i32 s0, s14, s11
	s_sub_i32 s14, s15, s11
	;; [unrolled: 1-line block ×3, first 2 shown]
	s_mul_i32 s12, s15, s9
	v_lshrrev_b32_e32 v1, 7, v0
	s_mul_i32 s7, s0, s1
	v_mul_lo_u32 v0, s12, v8
	s_add_i32 s12, s12, s10
	v_lshlrev_b64 v[2:3], 2, v[2:3]
	s_add_i32 s12, s12, s7
	v_mov_b32_e32 v4, s3
	v_add_co_u32_e32 v2, vcc, s2, v2
	v_add_u32_e32 v0, s12, v0
	v_addc_co_u32_e32 v3, vcc, v4, v3, vcc
	global_store_dword v[2:3], v0, off offset:4
	v_add_u32_e32 v0, s0, v1
	v_cmp_gt_i32_e32 vcc, s14, v0
	s_and_b64 exec, exec, vcc
	s_cbranch_execz .LBB72_6
; %bb.4:
	s_load_dwordx2 s[16:17], s[4:5], 0x20
	s_load_dwordx2 s[2:3], s[4:5], 0x38
	s_load_dword s18, s[4:5], 0x0
	s_load_dwordx2 s[6:7], s[4:5], 0x10
	s_load_dwordx2 s[12:13], s[4:5], 0x48
	v_mad_u64_u32 v[4:5], s[4:5], v6, s8, v[8:9]
	s_waitcnt lgkmcnt(0)
	s_cmp_eq_u32 s18, 0
	v_mad_u64_u32 v[10:11], s[4:5], v8, s9, v[6:7]
	s_cselect_b64 vcc, -1, 0
	s_mul_i32 s0, s8, s0
	v_mul_lo_u32 v3, s15, v8
	v_cndmask_b32_e32 v4, v4, v10, vcc
	v_add3_u32 v1, v1, s0, v3
	v_add_u32_e32 v2, s10, v6
	v_mad_u64_u32 v[4:5], s[4:5], s1, v0, v[4:5]
	s_lshl_b32 s10, s1, 3
	v_mad_u64_u32 v[6:7], s[0:1], s9, v1, v[6:7]
	v_ashrrev_i32_e32 v1, 31, v0
	v_lshlrev_b64 v[8:9], 2, v[0:1]
	v_mov_b32_e32 v1, s17
	v_add_co_u32_e32 v8, vcc, s16, v8
	s_lshl_b32 s8, s9, 3
	v_addc_co_u32_e32 v9, vcc, v1, v9, vcc
	s_mov_b64 s[4:5], 0
	v_mov_b32_e32 v1, s13
	v_mov_b32_e32 v3, s7
	;; [unrolled: 1-line block ×3, first 2 shown]
.LBB72_5:                               ; =>This Inner Loop Header: Depth=1
	v_ashrrev_i32_e32 v5, 31, v4
	global_load_dword v11, v[8:9], off
	v_lshlrev_b64 v[12:13], 3, v[4:5]
	v_add_co_u32_e32 v12, vcc, s6, v12
	v_addc_co_u32_e32 v13, vcc, v3, v13, vcc
	global_load_dwordx2 v[12:13], v[12:13], off
	v_ashrrev_i32_e32 v7, 31, v6
	v_lshlrev_b64 v[14:15], 2, v[6:7]
	v_add_co_u32_e32 v8, vcc, 32, v8
	v_add_co_u32_e64 v14, s[0:1], s12, v14
	v_add_u32_e32 v0, 8, v0
	v_addc_co_u32_e32 v9, vcc, 0, v9, vcc
	v_lshlrev_b64 v[16:17], 3, v[6:7]
	v_addc_co_u32_e64 v15, s[0:1], v1, v15, s[0:1]
	v_cmp_le_i32_e32 vcc, s14, v0
	v_add_co_u32_e64 v16, s[0:1], s2, v16
	v_add_u32_e32 v4, s10, v4
	v_add_u32_e32 v6, s8, v6
	v_addc_co_u32_e64 v17, s[0:1], v10, v17, s[0:1]
	s_or_b64 s[4:5], vcc, s[4:5]
	s_waitcnt vmcnt(1)
	v_subrev_u32_e32 v5, s11, v11
	v_mad_u64_u32 v[18:19], s[0:1], v5, s9, v[2:3]
	global_store_dword v[14:15], v18, off
	s_waitcnt vmcnt(1)
	global_store_dwordx2 v[16:17], v[12:13], off
	s_andn2_b64 exec, exec, s[4:5]
	s_cbranch_execnz .LBB72_5
.LBB72_6:
	s_endpgm
	.section	.rodata,"a",@progbits
	.p2align	6, 0x0
	.amdhsa_kernel _ZN9rocsparseL35gebsr2csr_block_per_row_1_32_kernelILi1024ELi16ELi8EdEEv20rocsparse_direction_ii21rocsparse_index_base_PKT2_PKiS7_iiS2_PS3_PiS9_
		.amdhsa_group_segment_fixed_size 0
		.amdhsa_private_segment_fixed_size 0
		.amdhsa_kernarg_size 80
		.amdhsa_user_sgpr_count 6
		.amdhsa_user_sgpr_private_segment_buffer 1
		.amdhsa_user_sgpr_dispatch_ptr 0
		.amdhsa_user_sgpr_queue_ptr 0
		.amdhsa_user_sgpr_kernarg_segment_ptr 1
		.amdhsa_user_sgpr_dispatch_id 0
		.amdhsa_user_sgpr_flat_scratch_init 0
		.amdhsa_user_sgpr_kernarg_preload_length 0
		.amdhsa_user_sgpr_kernarg_preload_offset 0
		.amdhsa_user_sgpr_private_segment_size 0
		.amdhsa_uses_dynamic_stack 0
		.amdhsa_system_sgpr_private_segment_wavefront_offset 0
		.amdhsa_system_sgpr_workgroup_id_x 1
		.amdhsa_system_sgpr_workgroup_id_y 0
		.amdhsa_system_sgpr_workgroup_id_z 0
		.amdhsa_system_sgpr_workgroup_info 0
		.amdhsa_system_vgpr_workitem_id 0
		.amdhsa_next_free_vgpr 20
		.amdhsa_next_free_sgpr 19
		.amdhsa_accum_offset 20
		.amdhsa_reserve_vcc 1
		.amdhsa_reserve_flat_scratch 0
		.amdhsa_float_round_mode_32 0
		.amdhsa_float_round_mode_16_64 0
		.amdhsa_float_denorm_mode_32 3
		.amdhsa_float_denorm_mode_16_64 3
		.amdhsa_dx10_clamp 1
		.amdhsa_ieee_mode 1
		.amdhsa_fp16_overflow 0
		.amdhsa_tg_split 0
		.amdhsa_exception_fp_ieee_invalid_op 0
		.amdhsa_exception_fp_denorm_src 0
		.amdhsa_exception_fp_ieee_div_zero 0
		.amdhsa_exception_fp_ieee_overflow 0
		.amdhsa_exception_fp_ieee_underflow 0
		.amdhsa_exception_fp_ieee_inexact 0
		.amdhsa_exception_int_div_zero 0
	.end_amdhsa_kernel
	.section	.text._ZN9rocsparseL35gebsr2csr_block_per_row_1_32_kernelILi1024ELi16ELi8EdEEv20rocsparse_direction_ii21rocsparse_index_base_PKT2_PKiS7_iiS2_PS3_PiS9_,"axG",@progbits,_ZN9rocsparseL35gebsr2csr_block_per_row_1_32_kernelILi1024ELi16ELi8EdEEv20rocsparse_direction_ii21rocsparse_index_base_PKT2_PKiS7_iiS2_PS3_PiS9_,comdat
.Lfunc_end72:
	.size	_ZN9rocsparseL35gebsr2csr_block_per_row_1_32_kernelILi1024ELi16ELi8EdEEv20rocsparse_direction_ii21rocsparse_index_base_PKT2_PKiS7_iiS2_PS3_PiS9_, .Lfunc_end72-_ZN9rocsparseL35gebsr2csr_block_per_row_1_32_kernelILi1024ELi16ELi8EdEEv20rocsparse_direction_ii21rocsparse_index_base_PKT2_PKiS7_iiS2_PS3_PiS9_
                                        ; -- End function
	.section	.AMDGPU.csdata,"",@progbits
; Kernel info:
; codeLenInByte = 564
; NumSgprs: 23
; NumVgprs: 20
; NumAgprs: 0
; TotalNumVgprs: 20
; ScratchSize: 0
; MemoryBound: 0
; FloatMode: 240
; IeeeMode: 1
; LDSByteSize: 0 bytes/workgroup (compile time only)
; SGPRBlocks: 2
; VGPRBlocks: 2
; NumSGPRsForWavesPerEU: 23
; NumVGPRsForWavesPerEU: 20
; AccumOffset: 20
; Occupancy: 8
; WaveLimiterHint : 0
; COMPUTE_PGM_RSRC2:SCRATCH_EN: 0
; COMPUTE_PGM_RSRC2:USER_SGPR: 6
; COMPUTE_PGM_RSRC2:TRAP_HANDLER: 0
; COMPUTE_PGM_RSRC2:TGID_X_EN: 1
; COMPUTE_PGM_RSRC2:TGID_Y_EN: 0
; COMPUTE_PGM_RSRC2:TGID_Z_EN: 0
; COMPUTE_PGM_RSRC2:TIDIG_COMP_CNT: 0
; COMPUTE_PGM_RSRC3_GFX90A:ACCUM_OFFSET: 4
; COMPUTE_PGM_RSRC3_GFX90A:TG_SPLIT: 0
	.section	.text._ZN9rocsparseL35gebsr2csr_block_per_row_1_32_kernelILi1024ELi16ELi16EdEEv20rocsparse_direction_ii21rocsparse_index_base_PKT2_PKiS7_iiS2_PS3_PiS9_,"axG",@progbits,_ZN9rocsparseL35gebsr2csr_block_per_row_1_32_kernelILi1024ELi16ELi16EdEEv20rocsparse_direction_ii21rocsparse_index_base_PKT2_PKiS7_iiS2_PS3_PiS9_,comdat
	.globl	_ZN9rocsparseL35gebsr2csr_block_per_row_1_32_kernelILi1024ELi16ELi16EdEEv20rocsparse_direction_ii21rocsparse_index_base_PKT2_PKiS7_iiS2_PS3_PiS9_ ; -- Begin function _ZN9rocsparseL35gebsr2csr_block_per_row_1_32_kernelILi1024ELi16ELi16EdEEv20rocsparse_direction_ii21rocsparse_index_base_PKT2_PKiS7_iiS2_PS3_PiS9_
	.p2align	8
	.type	_ZN9rocsparseL35gebsr2csr_block_per_row_1_32_kernelILi1024ELi16ELi16EdEEv20rocsparse_direction_ii21rocsparse_index_base_PKT2_PKiS7_iiS2_PS3_PiS9_,@function
_ZN9rocsparseL35gebsr2csr_block_per_row_1_32_kernelILi1024ELi16ELi16EdEEv20rocsparse_direction_ii21rocsparse_index_base_PKT2_PKiS7_iiS2_PS3_PiS9_: ; @_ZN9rocsparseL35gebsr2csr_block_per_row_1_32_kernelILi1024ELi16ELi16EdEEv20rocsparse_direction_ii21rocsparse_index_base_PKT2_PKiS7_iiS2_PS3_PiS9_
; %bb.0:
	s_load_dwordx2 s[0:1], s[4:5], 0x18
	s_load_dwordx4 s[8:11], s[4:5], 0x28
	s_load_dwordx2 s[2:3], s[4:5], 0x40
	s_ashr_i32 s7, s6, 31
	s_lshl_b64 s[12:13], s[6:7], 2
	s_waitcnt lgkmcnt(0)
	s_add_u32 s12, s0, s12
	v_or_b32_e32 v1, s6, v0
	s_addc_u32 s13, s1, s13
	v_cmp_eq_u32_e32 vcc, 0, v1
	s_and_saveexec_b64 s[0:1], vcc
	s_cbranch_execz .LBB73_2
; %bb.1:
	v_mov_b32_e32 v1, 0
	v_mov_b32_e32 v2, s10
	global_store_dword v1, v2, s[2:3]
.LBB73_2:
	s_or_b64 exec, exec, s[0:1]
	v_and_b32_e32 v6, 15, v0
	v_bfe_u32 v8, v0, 4, 4
	v_cmp_gt_i32_e32 vcc, s8, v8
	v_cmp_gt_i32_e64 s[0:1], s9, v6
	s_and_b64 s[0:1], vcc, s[0:1]
	s_and_saveexec_b64 s[14:15], s[0:1]
	s_cbranch_execz .LBB73_6
; %bb.3:
	s_load_dwordx2 s[14:15], s[12:13], 0x0
	s_load_dword s11, s[4:5], 0xc
	s_mul_i32 s6, s6, s8
	v_add_u32_e32 v2, s6, v8
	s_mul_i32 s1, s9, s8
	v_ashrrev_i32_e32 v3, 31, v2
	s_waitcnt lgkmcnt(0)
	s_sub_i32 s0, s14, s11
	s_sub_i32 s14, s15, s11
	s_sub_i32 s15, s14, s0
	s_mul_i32 s12, s15, s9
	v_lshrrev_b32_e32 v1, 8, v0
	s_mul_i32 s7, s0, s1
	v_mul_lo_u32 v0, s12, v8
	s_add_i32 s12, s12, s10
	v_lshlrev_b64 v[2:3], 2, v[2:3]
	s_add_i32 s12, s12, s7
	v_mov_b32_e32 v4, s3
	v_add_co_u32_e32 v2, vcc, s2, v2
	v_add_u32_e32 v0, s12, v0
	v_addc_co_u32_e32 v3, vcc, v4, v3, vcc
	global_store_dword v[2:3], v0, off offset:4
	v_add_u32_e32 v0, s0, v1
	v_cmp_gt_i32_e32 vcc, s14, v0
	s_and_b64 exec, exec, vcc
	s_cbranch_execz .LBB73_6
; %bb.4:
	s_load_dwordx2 s[16:17], s[4:5], 0x20
	s_load_dwordx2 s[2:3], s[4:5], 0x38
	s_load_dword s18, s[4:5], 0x0
	s_load_dwordx2 s[6:7], s[4:5], 0x10
	s_load_dwordx2 s[12:13], s[4:5], 0x48
	v_mad_u64_u32 v[4:5], s[4:5], v6, s8, v[8:9]
	s_waitcnt lgkmcnt(0)
	s_cmp_eq_u32 s18, 0
	v_mad_u64_u32 v[10:11], s[4:5], v8, s9, v[6:7]
	s_cselect_b64 vcc, -1, 0
	s_mul_i32 s0, s8, s0
	v_mul_lo_u32 v3, s15, v8
	v_cndmask_b32_e32 v4, v4, v10, vcc
	v_add3_u32 v1, v1, s0, v3
	v_add_u32_e32 v2, s10, v6
	v_mad_u64_u32 v[4:5], s[4:5], s1, v0, v[4:5]
	s_lshl_b32 s10, s1, 2
	v_mad_u64_u32 v[6:7], s[0:1], s9, v1, v[6:7]
	v_ashrrev_i32_e32 v1, 31, v0
	v_lshlrev_b64 v[8:9], 2, v[0:1]
	v_mov_b32_e32 v1, s17
	v_add_co_u32_e32 v8, vcc, s16, v8
	s_lshl_b32 s8, s9, 2
	v_addc_co_u32_e32 v9, vcc, v1, v9, vcc
	s_mov_b64 s[4:5], 0
	v_mov_b32_e32 v1, s13
	v_mov_b32_e32 v3, s7
	;; [unrolled: 1-line block ×3, first 2 shown]
.LBB73_5:                               ; =>This Inner Loop Header: Depth=1
	v_ashrrev_i32_e32 v5, 31, v4
	global_load_dword v11, v[8:9], off
	v_lshlrev_b64 v[12:13], 3, v[4:5]
	v_add_co_u32_e32 v12, vcc, s6, v12
	v_addc_co_u32_e32 v13, vcc, v3, v13, vcc
	global_load_dwordx2 v[12:13], v[12:13], off
	v_ashrrev_i32_e32 v7, 31, v6
	v_lshlrev_b64 v[14:15], 2, v[6:7]
	v_add_co_u32_e32 v8, vcc, 16, v8
	v_add_co_u32_e64 v14, s[0:1], s12, v14
	v_add_u32_e32 v0, 4, v0
	v_addc_co_u32_e32 v9, vcc, 0, v9, vcc
	v_lshlrev_b64 v[16:17], 3, v[6:7]
	v_addc_co_u32_e64 v15, s[0:1], v1, v15, s[0:1]
	v_cmp_le_i32_e32 vcc, s14, v0
	v_add_co_u32_e64 v16, s[0:1], s2, v16
	v_add_u32_e32 v4, s10, v4
	v_add_u32_e32 v6, s8, v6
	v_addc_co_u32_e64 v17, s[0:1], v10, v17, s[0:1]
	s_or_b64 s[4:5], vcc, s[4:5]
	s_waitcnt vmcnt(1)
	v_subrev_u32_e32 v5, s11, v11
	v_mad_u64_u32 v[18:19], s[0:1], v5, s9, v[2:3]
	global_store_dword v[14:15], v18, off
	s_waitcnt vmcnt(1)
	global_store_dwordx2 v[16:17], v[12:13], off
	s_andn2_b64 exec, exec, s[4:5]
	s_cbranch_execnz .LBB73_5
.LBB73_6:
	s_endpgm
	.section	.rodata,"a",@progbits
	.p2align	6, 0x0
	.amdhsa_kernel _ZN9rocsparseL35gebsr2csr_block_per_row_1_32_kernelILi1024ELi16ELi16EdEEv20rocsparse_direction_ii21rocsparse_index_base_PKT2_PKiS7_iiS2_PS3_PiS9_
		.amdhsa_group_segment_fixed_size 0
		.amdhsa_private_segment_fixed_size 0
		.amdhsa_kernarg_size 80
		.amdhsa_user_sgpr_count 6
		.amdhsa_user_sgpr_private_segment_buffer 1
		.amdhsa_user_sgpr_dispatch_ptr 0
		.amdhsa_user_sgpr_queue_ptr 0
		.amdhsa_user_sgpr_kernarg_segment_ptr 1
		.amdhsa_user_sgpr_dispatch_id 0
		.amdhsa_user_sgpr_flat_scratch_init 0
		.amdhsa_user_sgpr_kernarg_preload_length 0
		.amdhsa_user_sgpr_kernarg_preload_offset 0
		.amdhsa_user_sgpr_private_segment_size 0
		.amdhsa_uses_dynamic_stack 0
		.amdhsa_system_sgpr_private_segment_wavefront_offset 0
		.amdhsa_system_sgpr_workgroup_id_x 1
		.amdhsa_system_sgpr_workgroup_id_y 0
		.amdhsa_system_sgpr_workgroup_id_z 0
		.amdhsa_system_sgpr_workgroup_info 0
		.amdhsa_system_vgpr_workitem_id 0
		.amdhsa_next_free_vgpr 20
		.amdhsa_next_free_sgpr 19
		.amdhsa_accum_offset 20
		.amdhsa_reserve_vcc 1
		.amdhsa_reserve_flat_scratch 0
		.amdhsa_float_round_mode_32 0
		.amdhsa_float_round_mode_16_64 0
		.amdhsa_float_denorm_mode_32 3
		.amdhsa_float_denorm_mode_16_64 3
		.amdhsa_dx10_clamp 1
		.amdhsa_ieee_mode 1
		.amdhsa_fp16_overflow 0
		.amdhsa_tg_split 0
		.amdhsa_exception_fp_ieee_invalid_op 0
		.amdhsa_exception_fp_denorm_src 0
		.amdhsa_exception_fp_ieee_div_zero 0
		.amdhsa_exception_fp_ieee_overflow 0
		.amdhsa_exception_fp_ieee_underflow 0
		.amdhsa_exception_fp_ieee_inexact 0
		.amdhsa_exception_int_div_zero 0
	.end_amdhsa_kernel
	.section	.text._ZN9rocsparseL35gebsr2csr_block_per_row_1_32_kernelILi1024ELi16ELi16EdEEv20rocsparse_direction_ii21rocsparse_index_base_PKT2_PKiS7_iiS2_PS3_PiS9_,"axG",@progbits,_ZN9rocsparseL35gebsr2csr_block_per_row_1_32_kernelILi1024ELi16ELi16EdEEv20rocsparse_direction_ii21rocsparse_index_base_PKT2_PKiS7_iiS2_PS3_PiS9_,comdat
.Lfunc_end73:
	.size	_ZN9rocsparseL35gebsr2csr_block_per_row_1_32_kernelILi1024ELi16ELi16EdEEv20rocsparse_direction_ii21rocsparse_index_base_PKT2_PKiS7_iiS2_PS3_PiS9_, .Lfunc_end73-_ZN9rocsparseL35gebsr2csr_block_per_row_1_32_kernelILi1024ELi16ELi16EdEEv20rocsparse_direction_ii21rocsparse_index_base_PKT2_PKiS7_iiS2_PS3_PiS9_
                                        ; -- End function
	.section	.AMDGPU.csdata,"",@progbits
; Kernel info:
; codeLenInByte = 564
; NumSgprs: 23
; NumVgprs: 20
; NumAgprs: 0
; TotalNumVgprs: 20
; ScratchSize: 0
; MemoryBound: 0
; FloatMode: 240
; IeeeMode: 1
; LDSByteSize: 0 bytes/workgroup (compile time only)
; SGPRBlocks: 2
; VGPRBlocks: 2
; NumSGPRsForWavesPerEU: 23
; NumVGPRsForWavesPerEU: 20
; AccumOffset: 20
; Occupancy: 8
; WaveLimiterHint : 0
; COMPUTE_PGM_RSRC2:SCRATCH_EN: 0
; COMPUTE_PGM_RSRC2:USER_SGPR: 6
; COMPUTE_PGM_RSRC2:TRAP_HANDLER: 0
; COMPUTE_PGM_RSRC2:TGID_X_EN: 1
; COMPUTE_PGM_RSRC2:TGID_Y_EN: 0
; COMPUTE_PGM_RSRC2:TGID_Z_EN: 0
; COMPUTE_PGM_RSRC2:TIDIG_COMP_CNT: 0
; COMPUTE_PGM_RSRC3_GFX90A:ACCUM_OFFSET: 4
; COMPUTE_PGM_RSRC3_GFX90A:TG_SPLIT: 0
	.section	.text._ZN9rocsparseL35gebsr2csr_block_per_row_1_32_kernelILi1024ELi16ELi32EdEEv20rocsparse_direction_ii21rocsparse_index_base_PKT2_PKiS7_iiS2_PS3_PiS9_,"axG",@progbits,_ZN9rocsparseL35gebsr2csr_block_per_row_1_32_kernelILi1024ELi16ELi32EdEEv20rocsparse_direction_ii21rocsparse_index_base_PKT2_PKiS7_iiS2_PS3_PiS9_,comdat
	.globl	_ZN9rocsparseL35gebsr2csr_block_per_row_1_32_kernelILi1024ELi16ELi32EdEEv20rocsparse_direction_ii21rocsparse_index_base_PKT2_PKiS7_iiS2_PS3_PiS9_ ; -- Begin function _ZN9rocsparseL35gebsr2csr_block_per_row_1_32_kernelILi1024ELi16ELi32EdEEv20rocsparse_direction_ii21rocsparse_index_base_PKT2_PKiS7_iiS2_PS3_PiS9_
	.p2align	8
	.type	_ZN9rocsparseL35gebsr2csr_block_per_row_1_32_kernelILi1024ELi16ELi32EdEEv20rocsparse_direction_ii21rocsparse_index_base_PKT2_PKiS7_iiS2_PS3_PiS9_,@function
_ZN9rocsparseL35gebsr2csr_block_per_row_1_32_kernelILi1024ELi16ELi32EdEEv20rocsparse_direction_ii21rocsparse_index_base_PKT2_PKiS7_iiS2_PS3_PiS9_: ; @_ZN9rocsparseL35gebsr2csr_block_per_row_1_32_kernelILi1024ELi16ELi32EdEEv20rocsparse_direction_ii21rocsparse_index_base_PKT2_PKiS7_iiS2_PS3_PiS9_
; %bb.0:
	s_load_dwordx2 s[0:1], s[4:5], 0x18
	s_load_dwordx4 s[8:11], s[4:5], 0x28
	s_load_dwordx2 s[2:3], s[4:5], 0x40
	s_ashr_i32 s7, s6, 31
	s_lshl_b64 s[12:13], s[6:7], 2
	s_waitcnt lgkmcnt(0)
	s_add_u32 s12, s0, s12
	v_or_b32_e32 v1, s6, v0
	s_addc_u32 s13, s1, s13
	v_cmp_eq_u32_e32 vcc, 0, v1
	s_and_saveexec_b64 s[0:1], vcc
	s_cbranch_execz .LBB74_2
; %bb.1:
	v_mov_b32_e32 v1, 0
	v_mov_b32_e32 v2, s10
	global_store_dword v1, v2, s[2:3]
.LBB74_2:
	s_or_b64 exec, exec, s[0:1]
	v_and_b32_e32 v6, 31, v0
	v_bfe_u32 v8, v0, 5, 4
	v_cmp_gt_i32_e32 vcc, s8, v8
	v_cmp_gt_i32_e64 s[0:1], s9, v6
	s_and_b64 s[0:1], vcc, s[0:1]
	s_and_saveexec_b64 s[14:15], s[0:1]
	s_cbranch_execz .LBB74_6
; %bb.3:
	s_load_dwordx2 s[14:15], s[12:13], 0x0
	s_load_dword s11, s[4:5], 0xc
	s_mul_i32 s6, s6, s8
	v_add_u32_e32 v2, s6, v8
	s_mul_i32 s1, s9, s8
	v_ashrrev_i32_e32 v3, 31, v2
	s_waitcnt lgkmcnt(0)
	s_sub_i32 s0, s14, s11
	s_sub_i32 s14, s15, s11
	;; [unrolled: 1-line block ×3, first 2 shown]
	s_mul_i32 s12, s15, s9
	v_lshrrev_b32_e32 v1, 9, v0
	s_mul_i32 s7, s0, s1
	v_mul_lo_u32 v0, s12, v8
	s_add_i32 s12, s12, s10
	v_lshlrev_b64 v[2:3], 2, v[2:3]
	s_add_i32 s12, s12, s7
	v_mov_b32_e32 v4, s3
	v_add_co_u32_e32 v2, vcc, s2, v2
	v_add_u32_e32 v0, s12, v0
	v_addc_co_u32_e32 v3, vcc, v4, v3, vcc
	global_store_dword v[2:3], v0, off offset:4
	v_add_u32_e32 v0, s0, v1
	v_cmp_gt_i32_e32 vcc, s14, v0
	s_and_b64 exec, exec, vcc
	s_cbranch_execz .LBB74_6
; %bb.4:
	s_load_dwordx2 s[16:17], s[4:5], 0x20
	s_load_dwordx2 s[2:3], s[4:5], 0x38
	s_load_dword s18, s[4:5], 0x0
	s_load_dwordx2 s[6:7], s[4:5], 0x10
	s_load_dwordx2 s[12:13], s[4:5], 0x48
	v_mad_u64_u32 v[4:5], s[4:5], v6, s8, v[8:9]
	s_waitcnt lgkmcnt(0)
	s_cmp_eq_u32 s18, 0
	v_mad_u64_u32 v[10:11], s[4:5], v8, s9, v[6:7]
	s_cselect_b64 vcc, -1, 0
	s_mul_i32 s0, s8, s0
	v_mul_lo_u32 v3, s15, v8
	v_cndmask_b32_e32 v4, v4, v10, vcc
	v_add3_u32 v1, v1, s0, v3
	v_add_u32_e32 v2, s10, v6
	v_mad_u64_u32 v[4:5], s[4:5], s1, v0, v[4:5]
	s_lshl_b32 s10, s1, 1
	v_mad_u64_u32 v[6:7], s[0:1], s9, v1, v[6:7]
	v_ashrrev_i32_e32 v1, 31, v0
	v_lshlrev_b64 v[8:9], 2, v[0:1]
	v_mov_b32_e32 v1, s17
	v_add_co_u32_e32 v8, vcc, s16, v8
	s_lshl_b32 s8, s9, 1
	v_addc_co_u32_e32 v9, vcc, v1, v9, vcc
	s_mov_b64 s[4:5], 0
	v_mov_b32_e32 v1, s13
	v_mov_b32_e32 v3, s7
	;; [unrolled: 1-line block ×3, first 2 shown]
.LBB74_5:                               ; =>This Inner Loop Header: Depth=1
	v_ashrrev_i32_e32 v5, 31, v4
	global_load_dword v11, v[8:9], off
	v_lshlrev_b64 v[12:13], 3, v[4:5]
	v_add_co_u32_e32 v12, vcc, s6, v12
	v_addc_co_u32_e32 v13, vcc, v3, v13, vcc
	global_load_dwordx2 v[12:13], v[12:13], off
	v_ashrrev_i32_e32 v7, 31, v6
	v_lshlrev_b64 v[14:15], 2, v[6:7]
	v_add_co_u32_e32 v8, vcc, 8, v8
	v_add_co_u32_e64 v14, s[0:1], s12, v14
	v_add_u32_e32 v0, 2, v0
	v_addc_co_u32_e32 v9, vcc, 0, v9, vcc
	v_lshlrev_b64 v[16:17], 3, v[6:7]
	v_addc_co_u32_e64 v15, s[0:1], v1, v15, s[0:1]
	v_cmp_le_i32_e32 vcc, s14, v0
	v_add_co_u32_e64 v16, s[0:1], s2, v16
	v_add_u32_e32 v4, s10, v4
	v_add_u32_e32 v6, s8, v6
	v_addc_co_u32_e64 v17, s[0:1], v10, v17, s[0:1]
	s_or_b64 s[4:5], vcc, s[4:5]
	s_waitcnt vmcnt(1)
	v_subrev_u32_e32 v5, s11, v11
	v_mad_u64_u32 v[18:19], s[0:1], v5, s9, v[2:3]
	global_store_dword v[14:15], v18, off
	s_waitcnt vmcnt(1)
	global_store_dwordx2 v[16:17], v[12:13], off
	s_andn2_b64 exec, exec, s[4:5]
	s_cbranch_execnz .LBB74_5
.LBB74_6:
	s_endpgm
	.section	.rodata,"a",@progbits
	.p2align	6, 0x0
	.amdhsa_kernel _ZN9rocsparseL35gebsr2csr_block_per_row_1_32_kernelILi1024ELi16ELi32EdEEv20rocsparse_direction_ii21rocsparse_index_base_PKT2_PKiS7_iiS2_PS3_PiS9_
		.amdhsa_group_segment_fixed_size 0
		.amdhsa_private_segment_fixed_size 0
		.amdhsa_kernarg_size 80
		.amdhsa_user_sgpr_count 6
		.amdhsa_user_sgpr_private_segment_buffer 1
		.amdhsa_user_sgpr_dispatch_ptr 0
		.amdhsa_user_sgpr_queue_ptr 0
		.amdhsa_user_sgpr_kernarg_segment_ptr 1
		.amdhsa_user_sgpr_dispatch_id 0
		.amdhsa_user_sgpr_flat_scratch_init 0
		.amdhsa_user_sgpr_kernarg_preload_length 0
		.amdhsa_user_sgpr_kernarg_preload_offset 0
		.amdhsa_user_sgpr_private_segment_size 0
		.amdhsa_uses_dynamic_stack 0
		.amdhsa_system_sgpr_private_segment_wavefront_offset 0
		.amdhsa_system_sgpr_workgroup_id_x 1
		.amdhsa_system_sgpr_workgroup_id_y 0
		.amdhsa_system_sgpr_workgroup_id_z 0
		.amdhsa_system_sgpr_workgroup_info 0
		.amdhsa_system_vgpr_workitem_id 0
		.amdhsa_next_free_vgpr 20
		.amdhsa_next_free_sgpr 19
		.amdhsa_accum_offset 20
		.amdhsa_reserve_vcc 1
		.amdhsa_reserve_flat_scratch 0
		.amdhsa_float_round_mode_32 0
		.amdhsa_float_round_mode_16_64 0
		.amdhsa_float_denorm_mode_32 3
		.amdhsa_float_denorm_mode_16_64 3
		.amdhsa_dx10_clamp 1
		.amdhsa_ieee_mode 1
		.amdhsa_fp16_overflow 0
		.amdhsa_tg_split 0
		.amdhsa_exception_fp_ieee_invalid_op 0
		.amdhsa_exception_fp_denorm_src 0
		.amdhsa_exception_fp_ieee_div_zero 0
		.amdhsa_exception_fp_ieee_overflow 0
		.amdhsa_exception_fp_ieee_underflow 0
		.amdhsa_exception_fp_ieee_inexact 0
		.amdhsa_exception_int_div_zero 0
	.end_amdhsa_kernel
	.section	.text._ZN9rocsparseL35gebsr2csr_block_per_row_1_32_kernelILi1024ELi16ELi32EdEEv20rocsparse_direction_ii21rocsparse_index_base_PKT2_PKiS7_iiS2_PS3_PiS9_,"axG",@progbits,_ZN9rocsparseL35gebsr2csr_block_per_row_1_32_kernelILi1024ELi16ELi32EdEEv20rocsparse_direction_ii21rocsparse_index_base_PKT2_PKiS7_iiS2_PS3_PiS9_,comdat
.Lfunc_end74:
	.size	_ZN9rocsparseL35gebsr2csr_block_per_row_1_32_kernelILi1024ELi16ELi32EdEEv20rocsparse_direction_ii21rocsparse_index_base_PKT2_PKiS7_iiS2_PS3_PiS9_, .Lfunc_end74-_ZN9rocsparseL35gebsr2csr_block_per_row_1_32_kernelILi1024ELi16ELi32EdEEv20rocsparse_direction_ii21rocsparse_index_base_PKT2_PKiS7_iiS2_PS3_PiS9_
                                        ; -- End function
	.section	.AMDGPU.csdata,"",@progbits
; Kernel info:
; codeLenInByte = 564
; NumSgprs: 23
; NumVgprs: 20
; NumAgprs: 0
; TotalNumVgprs: 20
; ScratchSize: 0
; MemoryBound: 0
; FloatMode: 240
; IeeeMode: 1
; LDSByteSize: 0 bytes/workgroup (compile time only)
; SGPRBlocks: 2
; VGPRBlocks: 2
; NumSGPRsForWavesPerEU: 23
; NumVGPRsForWavesPerEU: 20
; AccumOffset: 20
; Occupancy: 8
; WaveLimiterHint : 0
; COMPUTE_PGM_RSRC2:SCRATCH_EN: 0
; COMPUTE_PGM_RSRC2:USER_SGPR: 6
; COMPUTE_PGM_RSRC2:TRAP_HANDLER: 0
; COMPUTE_PGM_RSRC2:TGID_X_EN: 1
; COMPUTE_PGM_RSRC2:TGID_Y_EN: 0
; COMPUTE_PGM_RSRC2:TGID_Z_EN: 0
; COMPUTE_PGM_RSRC2:TIDIG_COMP_CNT: 0
; COMPUTE_PGM_RSRC3_GFX90A:ACCUM_OFFSET: 4
; COMPUTE_PGM_RSRC3_GFX90A:TG_SPLIT: 0
	.section	.text._ZN9rocsparseL37gebsr2csr_block_per_row_33_128_kernelILi1024ELi16ELi64ELi16ELi32EdEEv20rocsparse_direction_ii21rocsparse_index_base_PKT4_PKiS7_iiS2_PS3_PiS9_,"axG",@progbits,_ZN9rocsparseL37gebsr2csr_block_per_row_33_128_kernelILi1024ELi16ELi64ELi16ELi32EdEEv20rocsparse_direction_ii21rocsparse_index_base_PKT4_PKiS7_iiS2_PS3_PiS9_,comdat
	.globl	_ZN9rocsparseL37gebsr2csr_block_per_row_33_128_kernelILi1024ELi16ELi64ELi16ELi32EdEEv20rocsparse_direction_ii21rocsparse_index_base_PKT4_PKiS7_iiS2_PS3_PiS9_ ; -- Begin function _ZN9rocsparseL37gebsr2csr_block_per_row_33_128_kernelILi1024ELi16ELi64ELi16ELi32EdEEv20rocsparse_direction_ii21rocsparse_index_base_PKT4_PKiS7_iiS2_PS3_PiS9_
	.p2align	8
	.type	_ZN9rocsparseL37gebsr2csr_block_per_row_33_128_kernelILi1024ELi16ELi64ELi16ELi32EdEEv20rocsparse_direction_ii21rocsparse_index_base_PKT4_PKiS7_iiS2_PS3_PiS9_,@function
_ZN9rocsparseL37gebsr2csr_block_per_row_33_128_kernelILi1024ELi16ELi64ELi16ELi32EdEEv20rocsparse_direction_ii21rocsparse_index_base_PKT4_PKiS7_iiS2_PS3_PiS9_: ; @_ZN9rocsparseL37gebsr2csr_block_per_row_33_128_kernelILi1024ELi16ELi64ELi16ELi32EdEEv20rocsparse_direction_ii21rocsparse_index_base_PKT4_PKiS7_iiS2_PS3_PiS9_
; %bb.0:
	s_load_dwordx2 s[0:1], s[4:5], 0x18
	s_load_dwordx4 s[8:11], s[4:5], 0x28
	s_load_dwordx2 s[2:3], s[4:5], 0x40
	s_ashr_i32 s7, s6, 31
	s_lshl_b64 s[12:13], s[6:7], 2
	s_waitcnt lgkmcnt(0)
	s_add_u32 s0, s0, s12
	s_addc_u32 s1, s1, s13
	s_load_dwordx2 s[14:15], s[0:1], 0x0
	v_or_b32_e32 v1, s6, v0
	v_cmp_eq_u32_e32 vcc, 0, v1
	s_and_saveexec_b64 s[0:1], vcc
	s_cbranch_execz .LBB75_2
; %bb.1:
	v_mov_b32_e32 v1, 0
	v_mov_b32_e32 v2, s10
	global_store_dword v1, v2, s[2:3]
.LBB75_2:
	s_or_b64 exec, exec, s[0:1]
	s_load_dword s11, s[4:5], 0xc
	v_lshrrev_b32_e32 v4, 5, v0
	v_cmp_gt_i32_e64 s[0:1], s8, v4
	s_mul_i32 s23, s9, s8
	s_waitcnt lgkmcnt(0)
	s_sub_i32 s12, s14, s11
	s_sub_i32 s22, s15, s11
	s_and_saveexec_b64 s[16:17], s[0:1]
	s_cbranch_execz .LBB75_4
; %bb.3:
	s_mul_i32 s6, s6, s8
	v_add_u32_e32 v2, s6, v4
	s_mul_i32 s7, s23, s12
	s_sub_i32 s13, s22, s12
	v_ashrrev_i32_e32 v3, 31, v2
	s_mul_i32 s13, s13, s9
	s_add_i32 s7, s7, s10
	v_lshlrev_b64 v[2:3], 2, v[2:3]
	v_mul_lo_u32 v1, s13, v4
	s_add_i32 s7, s7, s13
	v_mov_b32_e32 v5, s3
	v_add_co_u32_e32 v2, vcc, s2, v2
	v_add_u32_e32 v1, s7, v1
	v_addc_co_u32_e32 v3, vcc, v5, v3, vcc
	global_store_dword v[2:3], v1, off offset:4
.LBB75_4:
	s_or_b64 exec, exec, s[16:17]
	s_cmp_ge_i32 s14, s15
	s_cbranch_scc1 .LBB75_11
; %bb.5:
	s_load_dwordx2 s[18:19], s[4:5], 0x20
	s_load_dwordx2 s[6:7], s[4:5], 0x38
	;; [unrolled: 1-line block ×4, first 2 shown]
	s_load_dword s2, s[4:5], 0x0
	s_mul_i32 s13, s8, s12
	v_and_b32_e32 v0, 31, v0
	v_add_u32_e32 v1, s13, v4
	v_mad_u64_u32 v[2:3], s[4:5], s9, v1, v[0:1]
	s_mul_i32 s4, s9, s12
	s_sub_i32 s3, s22, s12
	v_add_u32_e32 v3, s4, v0
	v_mul_lo_u32 v6, s3, v4
	s_waitcnt lgkmcnt(0)
	s_cmp_eq_u32 s2, 0
	v_cmp_gt_i32_e64 s[2:3], s9, v0
	v_mad_u64_u32 v[8:9], s[4:5], s8, v3, v[4:5]
	v_or_b32_e32 v1, 32, v0
	s_cselect_b64 vcc, -1, 0
	s_and_b64 s[4:5], s[0:1], s[2:3]
	v_cmp_gt_i32_e64 s[2:3], s9, v1
	v_add_u32_e32 v3, 32, v3
	s_and_b64 s[2:3], s[0:1], s[2:3]
	v_mad_u64_u32 v[4:5], s[0:1], s8, v3, v[4:5]
	v_add_u32_e32 v3, s13, v6
	v_mad_u64_u32 v[6:7], s[0:1], s9, v3, v[0:1]
	s_ashr_i32 s13, s12, 31
	s_lshl_b64 s[0:1], s[12:13], 2
	s_add_u32 s18, s18, s0
	s_mov_b32 s24, 0
	s_addc_u32 s19, s19, s1
	v_cndmask_b32_e32 v3, v8, v2, vcc
	s_branch .LBB75_7
.LBB75_6:                               ;   in Loop: Header=BB75_7 Depth=1
	s_or_b64 exec, exec, s[20:21]
	s_add_i32 s12, s12, 1
	s_add_i32 s24, s24, s23
	s_add_u32 s18, s18, 4
	s_addc_u32 s19, s19, 0
	s_cmp_ge_i32 s12, s22
	v_add_u32_e32 v6, s9, v6
	s_cbranch_scc1 .LBB75_11
.LBB75_7:                               ; =>This Inner Loop Header: Depth=1
	s_load_dword s0, s[18:19], 0x0
	s_waitcnt lgkmcnt(0)
	s_sub_i32 s0, s0, s11
	s_mul_i32 s8, s0, s9
	s_add_i32 s8, s8, s10
	s_and_saveexec_b64 s[20:21], s[4:5]
	s_cbranch_execz .LBB75_9
; %bb.8:                                ;   in Loop: Header=BB75_7 Depth=1
	v_add_u32_e32 v8, s24, v3
	v_ashrrev_i32_e32 v9, 31, v8
	v_lshlrev_b64 v[8:9], 3, v[8:9]
	v_mov_b32_e32 v5, s17
	v_add_co_u32_e64 v8, s[0:1], s16, v8
	v_addc_co_u32_e64 v9, s[0:1], v5, v9, s[0:1]
	global_load_dwordx2 v[8:9], v[8:9], off
	v_ashrrev_i32_e32 v7, 31, v6
	v_lshlrev_b64 v[10:11], 2, v[6:7]
	v_mov_b32_e32 v12, s15
	v_add_co_u32_e64 v10, s[0:1], s14, v10
	v_add_u32_e32 v5, s8, v0
	v_addc_co_u32_e64 v11, s[0:1], v12, v11, s[0:1]
	global_store_dword v[10:11], v5, off
	v_lshlrev_b64 v[10:11], 3, v[6:7]
	v_mov_b32_e32 v5, s7
	v_add_co_u32_e64 v10, s[0:1], s6, v10
	v_addc_co_u32_e64 v11, s[0:1], v5, v11, s[0:1]
	s_waitcnt vmcnt(1)
	global_store_dwordx2 v[10:11], v[8:9], off
.LBB75_9:                               ;   in Loop: Header=BB75_7 Depth=1
	s_or_b64 exec, exec, s[20:21]
	s_and_saveexec_b64 s[20:21], s[2:3]
	s_cbranch_execz .LBB75_6
; %bb.10:                               ;   in Loop: Header=BB75_7 Depth=1
	v_add3_u32 v5, v2, s24, 32
	v_add_u32_e32 v7, s24, v4
	v_cndmask_b32_e32 v8, v7, v5, vcc
	v_ashrrev_i32_e32 v9, 31, v8
	v_lshlrev_b64 v[8:9], 3, v[8:9]
	v_mov_b32_e32 v5, s17
	v_add_co_u32_e64 v8, s[0:1], s16, v8
	v_addc_co_u32_e64 v9, s[0:1], v5, v9, s[0:1]
	global_load_dwordx2 v[8:9], v[8:9], off
	v_add_u32_e32 v10, 32, v6
	v_ashrrev_i32_e32 v11, 31, v10
	v_lshlrev_b64 v[12:13], 2, v[10:11]
	v_mov_b32_e32 v7, s15
	v_add_co_u32_e64 v12, s[0:1], s14, v12
	v_add_u32_e32 v5, s8, v1
	v_addc_co_u32_e64 v13, s[0:1], v7, v13, s[0:1]
	v_lshlrev_b64 v[10:11], 3, v[10:11]
	global_store_dword v[12:13], v5, off
	v_mov_b32_e32 v5, s7
	v_add_co_u32_e64 v10, s[0:1], s6, v10
	v_addc_co_u32_e64 v11, s[0:1], v5, v11, s[0:1]
	s_waitcnt vmcnt(1)
	global_store_dwordx2 v[10:11], v[8:9], off
	s_branch .LBB75_6
.LBB75_11:
	s_endpgm
	.section	.rodata,"a",@progbits
	.p2align	6, 0x0
	.amdhsa_kernel _ZN9rocsparseL37gebsr2csr_block_per_row_33_128_kernelILi1024ELi16ELi64ELi16ELi32EdEEv20rocsparse_direction_ii21rocsparse_index_base_PKT4_PKiS7_iiS2_PS3_PiS9_
		.amdhsa_group_segment_fixed_size 0
		.amdhsa_private_segment_fixed_size 0
		.amdhsa_kernarg_size 80
		.amdhsa_user_sgpr_count 6
		.amdhsa_user_sgpr_private_segment_buffer 1
		.amdhsa_user_sgpr_dispatch_ptr 0
		.amdhsa_user_sgpr_queue_ptr 0
		.amdhsa_user_sgpr_kernarg_segment_ptr 1
		.amdhsa_user_sgpr_dispatch_id 0
		.amdhsa_user_sgpr_flat_scratch_init 0
		.amdhsa_user_sgpr_kernarg_preload_length 0
		.amdhsa_user_sgpr_kernarg_preload_offset 0
		.amdhsa_user_sgpr_private_segment_size 0
		.amdhsa_uses_dynamic_stack 0
		.amdhsa_system_sgpr_private_segment_wavefront_offset 0
		.amdhsa_system_sgpr_workgroup_id_x 1
		.amdhsa_system_sgpr_workgroup_id_y 0
		.amdhsa_system_sgpr_workgroup_id_z 0
		.amdhsa_system_sgpr_workgroup_info 0
		.amdhsa_system_vgpr_workitem_id 0
		.amdhsa_next_free_vgpr 14
		.amdhsa_next_free_sgpr 25
		.amdhsa_accum_offset 16
		.amdhsa_reserve_vcc 1
		.amdhsa_reserve_flat_scratch 0
		.amdhsa_float_round_mode_32 0
		.amdhsa_float_round_mode_16_64 0
		.amdhsa_float_denorm_mode_32 3
		.amdhsa_float_denorm_mode_16_64 3
		.amdhsa_dx10_clamp 1
		.amdhsa_ieee_mode 1
		.amdhsa_fp16_overflow 0
		.amdhsa_tg_split 0
		.amdhsa_exception_fp_ieee_invalid_op 0
		.amdhsa_exception_fp_denorm_src 0
		.amdhsa_exception_fp_ieee_div_zero 0
		.amdhsa_exception_fp_ieee_overflow 0
		.amdhsa_exception_fp_ieee_underflow 0
		.amdhsa_exception_fp_ieee_inexact 0
		.amdhsa_exception_int_div_zero 0
	.end_amdhsa_kernel
	.section	.text._ZN9rocsparseL37gebsr2csr_block_per_row_33_128_kernelILi1024ELi16ELi64ELi16ELi32EdEEv20rocsparse_direction_ii21rocsparse_index_base_PKT4_PKiS7_iiS2_PS3_PiS9_,"axG",@progbits,_ZN9rocsparseL37gebsr2csr_block_per_row_33_128_kernelILi1024ELi16ELi64ELi16ELi32EdEEv20rocsparse_direction_ii21rocsparse_index_base_PKT4_PKiS7_iiS2_PS3_PiS9_,comdat
.Lfunc_end75:
	.size	_ZN9rocsparseL37gebsr2csr_block_per_row_33_128_kernelILi1024ELi16ELi64ELi16ELi32EdEEv20rocsparse_direction_ii21rocsparse_index_base_PKT4_PKiS7_iiS2_PS3_PiS9_, .Lfunc_end75-_ZN9rocsparseL37gebsr2csr_block_per_row_33_128_kernelILi1024ELi16ELi64ELi16ELi32EdEEv20rocsparse_direction_ii21rocsparse_index_base_PKT4_PKiS7_iiS2_PS3_PiS9_
                                        ; -- End function
	.section	.AMDGPU.csdata,"",@progbits
; Kernel info:
; codeLenInByte = 752
; NumSgprs: 29
; NumVgprs: 14
; NumAgprs: 0
; TotalNumVgprs: 14
; ScratchSize: 0
; MemoryBound: 0
; FloatMode: 240
; IeeeMode: 1
; LDSByteSize: 0 bytes/workgroup (compile time only)
; SGPRBlocks: 3
; VGPRBlocks: 1
; NumSGPRsForWavesPerEU: 29
; NumVGPRsForWavesPerEU: 14
; AccumOffset: 16
; Occupancy: 8
; WaveLimiterHint : 1
; COMPUTE_PGM_RSRC2:SCRATCH_EN: 0
; COMPUTE_PGM_RSRC2:USER_SGPR: 6
; COMPUTE_PGM_RSRC2:TRAP_HANDLER: 0
; COMPUTE_PGM_RSRC2:TGID_X_EN: 1
; COMPUTE_PGM_RSRC2:TGID_Y_EN: 0
; COMPUTE_PGM_RSRC2:TGID_Z_EN: 0
; COMPUTE_PGM_RSRC2:TIDIG_COMP_CNT: 0
; COMPUTE_PGM_RSRC3_GFX90A:ACCUM_OFFSET: 3
; COMPUTE_PGM_RSRC3_GFX90A:TG_SPLIT: 0
	.section	.text._ZN9rocsparseL37gebsr2csr_block_per_row_33_128_kernelILi1024ELi16ELi128ELi16ELi32EdEEv20rocsparse_direction_ii21rocsparse_index_base_PKT4_PKiS7_iiS2_PS3_PiS9_,"axG",@progbits,_ZN9rocsparseL37gebsr2csr_block_per_row_33_128_kernelILi1024ELi16ELi128ELi16ELi32EdEEv20rocsparse_direction_ii21rocsparse_index_base_PKT4_PKiS7_iiS2_PS3_PiS9_,comdat
	.globl	_ZN9rocsparseL37gebsr2csr_block_per_row_33_128_kernelILi1024ELi16ELi128ELi16ELi32EdEEv20rocsparse_direction_ii21rocsparse_index_base_PKT4_PKiS7_iiS2_PS3_PiS9_ ; -- Begin function _ZN9rocsparseL37gebsr2csr_block_per_row_33_128_kernelILi1024ELi16ELi128ELi16ELi32EdEEv20rocsparse_direction_ii21rocsparse_index_base_PKT4_PKiS7_iiS2_PS3_PiS9_
	.p2align	8
	.type	_ZN9rocsparseL37gebsr2csr_block_per_row_33_128_kernelILi1024ELi16ELi128ELi16ELi32EdEEv20rocsparse_direction_ii21rocsparse_index_base_PKT4_PKiS7_iiS2_PS3_PiS9_,@function
_ZN9rocsparseL37gebsr2csr_block_per_row_33_128_kernelILi1024ELi16ELi128ELi16ELi32EdEEv20rocsparse_direction_ii21rocsparse_index_base_PKT4_PKiS7_iiS2_PS3_PiS9_: ; @_ZN9rocsparseL37gebsr2csr_block_per_row_33_128_kernelILi1024ELi16ELi128ELi16ELi32EdEEv20rocsparse_direction_ii21rocsparse_index_base_PKT4_PKiS7_iiS2_PS3_PiS9_
; %bb.0:
	s_load_dwordx2 s[0:1], s[4:5], 0x18
	s_load_dwordx4 s[8:11], s[4:5], 0x28
	s_load_dwordx2 s[2:3], s[4:5], 0x40
	s_ashr_i32 s7, s6, 31
	s_lshl_b64 s[12:13], s[6:7], 2
	s_waitcnt lgkmcnt(0)
	s_add_u32 s0, s0, s12
	s_addc_u32 s1, s1, s13
	s_load_dwordx2 s[14:15], s[0:1], 0x0
	v_or_b32_e32 v1, s6, v0
	v_cmp_eq_u32_e32 vcc, 0, v1
	s_and_saveexec_b64 s[0:1], vcc
	s_cbranch_execz .LBB76_2
; %bb.1:
	v_mov_b32_e32 v1, 0
	v_mov_b32_e32 v2, s10
	global_store_dword v1, v2, s[2:3]
.LBB76_2:
	s_or_b64 exec, exec, s[0:1]
	s_load_dword s11, s[4:5], 0xc
	v_lshrrev_b32_e32 v1, 5, v0
	v_cmp_gt_i32_e64 s[0:1], s8, v1
	s_mul_i32 s27, s9, s8
	s_waitcnt lgkmcnt(0)
	s_sub_i32 s12, s14, s11
	s_sub_i32 s26, s15, s11
	s_and_saveexec_b64 s[16:17], s[0:1]
	s_cbranch_execz .LBB76_4
; %bb.3:
	s_mul_i32 s7, s27, s12
	s_sub_i32 s13, s26, s12
	s_mul_i32 s13, s13, s9
	s_add_i32 s7, s7, s10
	v_mul_lo_u32 v2, s13, v1
	s_add_i32 s7, s7, s13
	s_mul_i32 s6, s6, s8
	v_add_u32_e32 v4, s7, v2
	v_add_u32_e32 v2, s6, v1
	v_ashrrev_i32_e32 v3, 31, v2
	v_lshlrev_b64 v[2:3], 2, v[2:3]
	v_mov_b32_e32 v5, s3
	v_add_co_u32_e32 v2, vcc, s2, v2
	v_addc_co_u32_e32 v3, vcc, v5, v3, vcc
	global_store_dword v[2:3], v4, off offset:4
.LBB76_4:
	s_or_b64 exec, exec, s[16:17]
	s_cmp_ge_i32 s14, s15
	s_cbranch_scc1 .LBB76_15
; %bb.5:
	s_load_dwordx2 s[22:23], s[4:5], 0x20
	s_load_dwordx2 s[6:7], s[4:5], 0x38
	;; [unrolled: 1-line block ×3, first 2 shown]
	s_load_dword s2, s[4:5], 0x0
	s_load_dwordx2 s[16:17], s[4:5], 0x48
	v_and_b32_e32 v0, 31, v0
	s_sub_i32 s3, s26, s12
	v_mul_lo_u32 v10, s3, v1
	s_waitcnt lgkmcnt(0)
	s_cmp_eq_u32 s2, 0
	v_cmp_gt_i32_e64 s[2:3], s9, v0
	v_or_b32_e32 v2, 32, v0
	s_cselect_b64 vcc, -1, 0
	s_and_b64 s[4:5], s[0:1], s[2:3]
	v_cmp_gt_i32_e64 s[2:3], s9, v2
	v_or_b32_e32 v3, 64, v0
	s_and_b64 s[18:19], s[0:1], s[2:3]
	v_cmp_gt_i32_e64 s[2:3], s9, v3
	v_or_b32_e32 v4, 0x60, v0
	s_and_b64 s[20:21], s[0:1], s[2:3]
	v_cmp_gt_i32_e64 s[2:3], s9, v4
	s_and_b64 s[2:3], s[0:1], s[2:3]
	s_mul_i32 s0, s8, s12
	s_mul_i32 s1, s9, s12
	s_ashr_i32 s13, s12, 31
	v_add_u32_e32 v5, s0, v1
	v_add_u32_e32 v9, s1, v0
	;; [unrolled: 1-line block ×3, first 2 shown]
	s_lshl_b64 s[0:1], s[12:13], 2
	v_add_u32_e32 v6, 0x60, v9
	v_add_u32_e32 v7, 64, v9
	;; [unrolled: 1-line block ×3, first 2 shown]
	s_add_u32 s22, s22, s0
	s_movk_i32 s28, 0x60
	v_mul_lo_u32 v5, s9, v5
	v_mul_lo_u32 v6, s8, v6
	;; [unrolled: 1-line block ×6, first 2 shown]
	s_addc_u32 s23, s23, s1
	s_branch .LBB76_7
.LBB76_6:                               ;   in Loop: Header=BB76_7 Depth=1
	s_or_b64 exec, exec, s[24:25]
	s_add_i32 s12, s12, 1
	s_add_u32 s22, s22, 4
	s_addc_u32 s23, s23, 0
	v_add_u32_e32 v5, s27, v5
	v_add_u32_e32 v1, s27, v1
	s_cmp_ge_i32 s12, s26
	v_add_u32_e32 v10, s9, v10
	s_cbranch_scc1 .LBB76_15
.LBB76_7:                               ; =>This Inner Loop Header: Depth=1
	s_load_dword s0, s[22:23], 0x0
	s_waitcnt lgkmcnt(0)
	s_sub_i32 s0, s0, s11
	s_mul_i32 s8, s0, s9
	s_add_i32 s8, s8, s10
	s_and_saveexec_b64 s[24:25], s[4:5]
	s_cbranch_execnz .LBB76_11
; %bb.8:                                ;   in Loop: Header=BB76_7 Depth=1
	s_or_b64 exec, exec, s[24:25]
	s_and_saveexec_b64 s[24:25], s[18:19]
	s_cbranch_execnz .LBB76_12
.LBB76_9:                               ;   in Loop: Header=BB76_7 Depth=1
	s_or_b64 exec, exec, s[24:25]
	s_and_saveexec_b64 s[24:25], s[20:21]
	s_cbranch_execnz .LBB76_13
.LBB76_10:                              ;   in Loop: Header=BB76_7 Depth=1
	s_or_b64 exec, exec, s[24:25]
	s_and_saveexec_b64 s[24:25], s[2:3]
	s_cbranch_execz .LBB76_6
	s_branch .LBB76_14
.LBB76_11:                              ;   in Loop: Header=BB76_7 Depth=1
	v_add_u32_e32 v11, v0, v5
	v_add_u32_e32 v12, v9, v1
	v_cndmask_b32_e32 v12, v12, v11, vcc
	v_ashrrev_i32_e32 v13, 31, v12
	v_lshlrev_b64 v[12:13], 3, v[12:13]
	v_mov_b32_e32 v11, s15
	v_add_co_u32_e64 v12, s[0:1], s14, v12
	v_addc_co_u32_e64 v13, s[0:1], v11, v13, s[0:1]
	global_load_dwordx2 v[12:13], v[12:13], off
	v_add_u32_e32 v14, v0, v10
	v_ashrrev_i32_e32 v15, 31, v14
	v_lshlrev_b64 v[16:17], 2, v[14:15]
	v_mov_b32_e32 v18, s17
	v_add_co_u32_e64 v16, s[0:1], s16, v16
	v_add_u32_e32 v11, s8, v0
	v_addc_co_u32_e64 v17, s[0:1], v18, v17, s[0:1]
	v_lshlrev_b64 v[14:15], 3, v[14:15]
	global_store_dword v[16:17], v11, off
	v_mov_b32_e32 v11, s7
	v_add_co_u32_e64 v14, s[0:1], s6, v14
	v_addc_co_u32_e64 v15, s[0:1], v11, v15, s[0:1]
	s_waitcnt vmcnt(1)
	global_store_dwordx2 v[14:15], v[12:13], off
	s_or_b64 exec, exec, s[24:25]
	s_and_saveexec_b64 s[24:25], s[18:19]
	s_cbranch_execz .LBB76_9
.LBB76_12:                              ;   in Loop: Header=BB76_7 Depth=1
	v_add3_u32 v11, v0, v5, 32
	v_add_u32_e32 v12, v8, v1
	v_cndmask_b32_e32 v12, v12, v11, vcc
	v_ashrrev_i32_e32 v13, 31, v12
	v_lshlrev_b64 v[12:13], 3, v[12:13]
	v_mov_b32_e32 v11, s15
	v_add_co_u32_e64 v12, s[0:1], s14, v12
	v_addc_co_u32_e64 v13, s[0:1], v11, v13, s[0:1]
	global_load_dwordx2 v[12:13], v[12:13], off
	v_add3_u32 v14, v0, v10, 32
	v_ashrrev_i32_e32 v15, 31, v14
	v_lshlrev_b64 v[16:17], 2, v[14:15]
	v_mov_b32_e32 v18, s17
	v_add_co_u32_e64 v16, s[0:1], s16, v16
	v_add_u32_e32 v11, s8, v2
	v_addc_co_u32_e64 v17, s[0:1], v18, v17, s[0:1]
	v_lshlrev_b64 v[14:15], 3, v[14:15]
	global_store_dword v[16:17], v11, off
	v_mov_b32_e32 v11, s7
	v_add_co_u32_e64 v14, s[0:1], s6, v14
	v_addc_co_u32_e64 v15, s[0:1], v11, v15, s[0:1]
	s_waitcnt vmcnt(1)
	global_store_dwordx2 v[14:15], v[12:13], off
	s_or_b64 exec, exec, s[24:25]
	s_and_saveexec_b64 s[24:25], s[20:21]
	s_cbranch_execz .LBB76_10
.LBB76_13:                              ;   in Loop: Header=BB76_7 Depth=1
	v_add3_u32 v11, v0, v5, 64
	v_add_u32_e32 v12, v7, v1
	v_cndmask_b32_e32 v12, v12, v11, vcc
	v_ashrrev_i32_e32 v13, 31, v12
	v_lshlrev_b64 v[12:13], 3, v[12:13]
	v_mov_b32_e32 v11, s15
	v_add_co_u32_e64 v12, s[0:1], s14, v12
	v_addc_co_u32_e64 v13, s[0:1], v11, v13, s[0:1]
	global_load_dwordx2 v[12:13], v[12:13], off
	v_add3_u32 v14, v0, v10, 64
	v_ashrrev_i32_e32 v15, 31, v14
	v_lshlrev_b64 v[16:17], 2, v[14:15]
	v_mov_b32_e32 v18, s17
	v_add_co_u32_e64 v16, s[0:1], s16, v16
	v_add_u32_e32 v11, s8, v3
	v_addc_co_u32_e64 v17, s[0:1], v18, v17, s[0:1]
	v_lshlrev_b64 v[14:15], 3, v[14:15]
	global_store_dword v[16:17], v11, off
	v_mov_b32_e32 v11, s7
	v_add_co_u32_e64 v14, s[0:1], s6, v14
	v_addc_co_u32_e64 v15, s[0:1], v11, v15, s[0:1]
	s_waitcnt vmcnt(1)
	global_store_dwordx2 v[14:15], v[12:13], off
	s_or_b64 exec, exec, s[24:25]
	s_and_saveexec_b64 s[24:25], s[2:3]
	s_cbranch_execz .LBB76_6
.LBB76_14:                              ;   in Loop: Header=BB76_7 Depth=1
	v_add3_u32 v11, v0, v5, s28
	v_add_u32_e32 v12, v6, v1
	v_cndmask_b32_e32 v12, v12, v11, vcc
	v_ashrrev_i32_e32 v13, 31, v12
	v_lshlrev_b64 v[12:13], 3, v[12:13]
	v_mov_b32_e32 v11, s15
	v_add_co_u32_e64 v12, s[0:1], s14, v12
	v_addc_co_u32_e64 v13, s[0:1], v11, v13, s[0:1]
	global_load_dwordx2 v[12:13], v[12:13], off
	v_add3_u32 v14, v0, v10, s28
	v_ashrrev_i32_e32 v15, 31, v14
	v_lshlrev_b64 v[16:17], 2, v[14:15]
	v_mov_b32_e32 v18, s17
	v_add_co_u32_e64 v16, s[0:1], s16, v16
	v_add_u32_e32 v11, s8, v4
	v_addc_co_u32_e64 v17, s[0:1], v18, v17, s[0:1]
	v_lshlrev_b64 v[14:15], 3, v[14:15]
	global_store_dword v[16:17], v11, off
	v_mov_b32_e32 v11, s7
	v_add_co_u32_e64 v14, s[0:1], s6, v14
	v_addc_co_u32_e64 v15, s[0:1], v11, v15, s[0:1]
	s_waitcnt vmcnt(1)
	global_store_dwordx2 v[14:15], v[12:13], off
	s_branch .LBB76_6
.LBB76_15:
	s_endpgm
	.section	.rodata,"a",@progbits
	.p2align	6, 0x0
	.amdhsa_kernel _ZN9rocsparseL37gebsr2csr_block_per_row_33_128_kernelILi1024ELi16ELi128ELi16ELi32EdEEv20rocsparse_direction_ii21rocsparse_index_base_PKT4_PKiS7_iiS2_PS3_PiS9_
		.amdhsa_group_segment_fixed_size 0
		.amdhsa_private_segment_fixed_size 0
		.amdhsa_kernarg_size 80
		.amdhsa_user_sgpr_count 6
		.amdhsa_user_sgpr_private_segment_buffer 1
		.amdhsa_user_sgpr_dispatch_ptr 0
		.amdhsa_user_sgpr_queue_ptr 0
		.amdhsa_user_sgpr_kernarg_segment_ptr 1
		.amdhsa_user_sgpr_dispatch_id 0
		.amdhsa_user_sgpr_flat_scratch_init 0
		.amdhsa_user_sgpr_kernarg_preload_length 0
		.amdhsa_user_sgpr_kernarg_preload_offset 0
		.amdhsa_user_sgpr_private_segment_size 0
		.amdhsa_uses_dynamic_stack 0
		.amdhsa_system_sgpr_private_segment_wavefront_offset 0
		.amdhsa_system_sgpr_workgroup_id_x 1
		.amdhsa_system_sgpr_workgroup_id_y 0
		.amdhsa_system_sgpr_workgroup_id_z 0
		.amdhsa_system_sgpr_workgroup_info 0
		.amdhsa_system_vgpr_workitem_id 0
		.amdhsa_next_free_vgpr 19
		.amdhsa_next_free_sgpr 29
		.amdhsa_accum_offset 20
		.amdhsa_reserve_vcc 1
		.amdhsa_reserve_flat_scratch 0
		.amdhsa_float_round_mode_32 0
		.amdhsa_float_round_mode_16_64 0
		.amdhsa_float_denorm_mode_32 3
		.amdhsa_float_denorm_mode_16_64 3
		.amdhsa_dx10_clamp 1
		.amdhsa_ieee_mode 1
		.amdhsa_fp16_overflow 0
		.amdhsa_tg_split 0
		.amdhsa_exception_fp_ieee_invalid_op 0
		.amdhsa_exception_fp_denorm_src 0
		.amdhsa_exception_fp_ieee_div_zero 0
		.amdhsa_exception_fp_ieee_overflow 0
		.amdhsa_exception_fp_ieee_underflow 0
		.amdhsa_exception_fp_ieee_inexact 0
		.amdhsa_exception_int_div_zero 0
	.end_amdhsa_kernel
	.section	.text._ZN9rocsparseL37gebsr2csr_block_per_row_33_128_kernelILi1024ELi16ELi128ELi16ELi32EdEEv20rocsparse_direction_ii21rocsparse_index_base_PKT4_PKiS7_iiS2_PS3_PiS9_,"axG",@progbits,_ZN9rocsparseL37gebsr2csr_block_per_row_33_128_kernelILi1024ELi16ELi128ELi16ELi32EdEEv20rocsparse_direction_ii21rocsparse_index_base_PKT4_PKiS7_iiS2_PS3_PiS9_,comdat
.Lfunc_end76:
	.size	_ZN9rocsparseL37gebsr2csr_block_per_row_33_128_kernelILi1024ELi16ELi128ELi16ELi32EdEEv20rocsparse_direction_ii21rocsparse_index_base_PKT4_PKiS7_iiS2_PS3_PiS9_, .Lfunc_end76-_ZN9rocsparseL37gebsr2csr_block_per_row_33_128_kernelILi1024ELi16ELi128ELi16ELi32EdEEv20rocsparse_direction_ii21rocsparse_index_base_PKT4_PKiS7_iiS2_PS3_PiS9_
                                        ; -- End function
	.section	.AMDGPU.csdata,"",@progbits
; Kernel info:
; codeLenInByte = 1192
; NumSgprs: 33
; NumVgprs: 19
; NumAgprs: 0
; TotalNumVgprs: 19
; ScratchSize: 0
; MemoryBound: 0
; FloatMode: 240
; IeeeMode: 1
; LDSByteSize: 0 bytes/workgroup (compile time only)
; SGPRBlocks: 4
; VGPRBlocks: 2
; NumSGPRsForWavesPerEU: 33
; NumVGPRsForWavesPerEU: 19
; AccumOffset: 20
; Occupancy: 8
; WaveLimiterHint : 1
; COMPUTE_PGM_RSRC2:SCRATCH_EN: 0
; COMPUTE_PGM_RSRC2:USER_SGPR: 6
; COMPUTE_PGM_RSRC2:TRAP_HANDLER: 0
; COMPUTE_PGM_RSRC2:TGID_X_EN: 1
; COMPUTE_PGM_RSRC2:TGID_Y_EN: 0
; COMPUTE_PGM_RSRC2:TGID_Z_EN: 0
; COMPUTE_PGM_RSRC2:TIDIG_COMP_CNT: 0
; COMPUTE_PGM_RSRC3_GFX90A:ACCUM_OFFSET: 4
; COMPUTE_PGM_RSRC3_GFX90A:TG_SPLIT: 0
	.section	.text._ZN9rocsparseL35gebsr2csr_block_per_row_1_32_kernelILi1024ELi32ELi2EdEEv20rocsparse_direction_ii21rocsparse_index_base_PKT2_PKiS7_iiS2_PS3_PiS9_,"axG",@progbits,_ZN9rocsparseL35gebsr2csr_block_per_row_1_32_kernelILi1024ELi32ELi2EdEEv20rocsparse_direction_ii21rocsparse_index_base_PKT2_PKiS7_iiS2_PS3_PiS9_,comdat
	.globl	_ZN9rocsparseL35gebsr2csr_block_per_row_1_32_kernelILi1024ELi32ELi2EdEEv20rocsparse_direction_ii21rocsparse_index_base_PKT2_PKiS7_iiS2_PS3_PiS9_ ; -- Begin function _ZN9rocsparseL35gebsr2csr_block_per_row_1_32_kernelILi1024ELi32ELi2EdEEv20rocsparse_direction_ii21rocsparse_index_base_PKT2_PKiS7_iiS2_PS3_PiS9_
	.p2align	8
	.type	_ZN9rocsparseL35gebsr2csr_block_per_row_1_32_kernelILi1024ELi32ELi2EdEEv20rocsparse_direction_ii21rocsparse_index_base_PKT2_PKiS7_iiS2_PS3_PiS9_,@function
_ZN9rocsparseL35gebsr2csr_block_per_row_1_32_kernelILi1024ELi32ELi2EdEEv20rocsparse_direction_ii21rocsparse_index_base_PKT2_PKiS7_iiS2_PS3_PiS9_: ; @_ZN9rocsparseL35gebsr2csr_block_per_row_1_32_kernelILi1024ELi32ELi2EdEEv20rocsparse_direction_ii21rocsparse_index_base_PKT2_PKiS7_iiS2_PS3_PiS9_
; %bb.0:
	s_load_dwordx2 s[0:1], s[4:5], 0x18
	s_load_dwordx4 s[8:11], s[4:5], 0x28
	s_load_dwordx2 s[2:3], s[4:5], 0x40
	s_ashr_i32 s7, s6, 31
	s_lshl_b64 s[12:13], s[6:7], 2
	s_waitcnt lgkmcnt(0)
	s_add_u32 s12, s0, s12
	v_or_b32_e32 v1, s6, v0
	s_addc_u32 s13, s1, s13
	v_cmp_eq_u32_e32 vcc, 0, v1
	s_and_saveexec_b64 s[0:1], vcc
	s_cbranch_execz .LBB77_2
; %bb.1:
	v_mov_b32_e32 v1, 0
	v_mov_b32_e32 v2, s10
	global_store_dword v1, v2, s[2:3]
.LBB77_2:
	s_or_b64 exec, exec, s[0:1]
	v_and_b32_e32 v6, 1, v0
	v_bfe_u32 v8, v0, 1, 5
	v_cmp_gt_i32_e32 vcc, s8, v8
	v_cmp_gt_i32_e64 s[0:1], s9, v6
	s_and_b64 s[0:1], vcc, s[0:1]
	s_and_saveexec_b64 s[14:15], s[0:1]
	s_cbranch_execz .LBB77_6
; %bb.3:
	s_load_dwordx2 s[14:15], s[12:13], 0x0
	s_load_dword s11, s[4:5], 0xc
	s_mul_i32 s6, s6, s8
	v_add_u32_e32 v2, s6, v8
	s_mul_i32 s1, s9, s8
	v_ashrrev_i32_e32 v3, 31, v2
	s_waitcnt lgkmcnt(0)
	s_sub_i32 s0, s14, s11
	s_sub_i32 s14, s15, s11
	;; [unrolled: 1-line block ×3, first 2 shown]
	s_mul_i32 s12, s15, s9
	v_lshrrev_b32_e32 v1, 6, v0
	s_mul_i32 s7, s0, s1
	v_mul_lo_u32 v0, s12, v8
	s_add_i32 s12, s12, s10
	v_lshlrev_b64 v[2:3], 2, v[2:3]
	s_add_i32 s12, s12, s7
	v_mov_b32_e32 v4, s3
	v_add_co_u32_e32 v2, vcc, s2, v2
	v_add_u32_e32 v0, s12, v0
	v_addc_co_u32_e32 v3, vcc, v4, v3, vcc
	global_store_dword v[2:3], v0, off offset:4
	v_add_u32_e32 v0, s0, v1
	v_cmp_gt_i32_e32 vcc, s14, v0
	s_and_b64 exec, exec, vcc
	s_cbranch_execz .LBB77_6
; %bb.4:
	s_load_dwordx2 s[16:17], s[4:5], 0x20
	s_load_dwordx2 s[2:3], s[4:5], 0x38
	s_load_dword s18, s[4:5], 0x0
	s_load_dwordx2 s[6:7], s[4:5], 0x10
	s_load_dwordx2 s[12:13], s[4:5], 0x48
	v_mad_u64_u32 v[4:5], s[4:5], v6, s8, v[8:9]
	s_waitcnt lgkmcnt(0)
	s_cmp_eq_u32 s18, 0
	v_mad_u64_u32 v[10:11], s[4:5], v8, s9, v[6:7]
	s_cselect_b64 vcc, -1, 0
	s_mul_i32 s0, s8, s0
	v_mul_lo_u32 v3, s15, v8
	v_cndmask_b32_e32 v4, v4, v10, vcc
	v_add3_u32 v1, v1, s0, v3
	v_add_u32_e32 v2, s10, v6
	v_mad_u64_u32 v[4:5], s[4:5], s1, v0, v[4:5]
	s_lshl_b32 s10, s1, 4
	v_mad_u64_u32 v[6:7], s[0:1], s9, v1, v[6:7]
	v_ashrrev_i32_e32 v1, 31, v0
	v_lshlrev_b64 v[8:9], 2, v[0:1]
	v_mov_b32_e32 v1, s17
	v_add_co_u32_e32 v8, vcc, s16, v8
	s_lshl_b32 s8, s9, 4
	v_addc_co_u32_e32 v9, vcc, v1, v9, vcc
	s_mov_b64 s[4:5], 0
	v_mov_b32_e32 v1, s13
	v_mov_b32_e32 v3, s7
	;; [unrolled: 1-line block ×3, first 2 shown]
.LBB77_5:                               ; =>This Inner Loop Header: Depth=1
	v_ashrrev_i32_e32 v5, 31, v4
	global_load_dword v11, v[8:9], off
	v_lshlrev_b64 v[12:13], 3, v[4:5]
	v_add_co_u32_e32 v12, vcc, s6, v12
	v_addc_co_u32_e32 v13, vcc, v3, v13, vcc
	global_load_dwordx2 v[12:13], v[12:13], off
	v_ashrrev_i32_e32 v7, 31, v6
	v_lshlrev_b64 v[14:15], 2, v[6:7]
	v_add_co_u32_e32 v8, vcc, 64, v8
	v_add_co_u32_e64 v14, s[0:1], s12, v14
	v_add_u32_e32 v0, 16, v0
	v_addc_co_u32_e32 v9, vcc, 0, v9, vcc
	v_lshlrev_b64 v[16:17], 3, v[6:7]
	v_addc_co_u32_e64 v15, s[0:1], v1, v15, s[0:1]
	v_cmp_le_i32_e32 vcc, s14, v0
	v_add_co_u32_e64 v16, s[0:1], s2, v16
	v_add_u32_e32 v4, s10, v4
	v_add_u32_e32 v6, s8, v6
	v_addc_co_u32_e64 v17, s[0:1], v10, v17, s[0:1]
	s_or_b64 s[4:5], vcc, s[4:5]
	s_waitcnt vmcnt(1)
	v_subrev_u32_e32 v5, s11, v11
	v_mad_u64_u32 v[18:19], s[0:1], v5, s9, v[2:3]
	global_store_dword v[14:15], v18, off
	s_waitcnt vmcnt(1)
	global_store_dwordx2 v[16:17], v[12:13], off
	s_andn2_b64 exec, exec, s[4:5]
	s_cbranch_execnz .LBB77_5
.LBB77_6:
	s_endpgm
	.section	.rodata,"a",@progbits
	.p2align	6, 0x0
	.amdhsa_kernel _ZN9rocsparseL35gebsr2csr_block_per_row_1_32_kernelILi1024ELi32ELi2EdEEv20rocsparse_direction_ii21rocsparse_index_base_PKT2_PKiS7_iiS2_PS3_PiS9_
		.amdhsa_group_segment_fixed_size 0
		.amdhsa_private_segment_fixed_size 0
		.amdhsa_kernarg_size 80
		.amdhsa_user_sgpr_count 6
		.amdhsa_user_sgpr_private_segment_buffer 1
		.amdhsa_user_sgpr_dispatch_ptr 0
		.amdhsa_user_sgpr_queue_ptr 0
		.amdhsa_user_sgpr_kernarg_segment_ptr 1
		.amdhsa_user_sgpr_dispatch_id 0
		.amdhsa_user_sgpr_flat_scratch_init 0
		.amdhsa_user_sgpr_kernarg_preload_length 0
		.amdhsa_user_sgpr_kernarg_preload_offset 0
		.amdhsa_user_sgpr_private_segment_size 0
		.amdhsa_uses_dynamic_stack 0
		.amdhsa_system_sgpr_private_segment_wavefront_offset 0
		.amdhsa_system_sgpr_workgroup_id_x 1
		.amdhsa_system_sgpr_workgroup_id_y 0
		.amdhsa_system_sgpr_workgroup_id_z 0
		.amdhsa_system_sgpr_workgroup_info 0
		.amdhsa_system_vgpr_workitem_id 0
		.amdhsa_next_free_vgpr 20
		.amdhsa_next_free_sgpr 19
		.amdhsa_accum_offset 20
		.amdhsa_reserve_vcc 1
		.amdhsa_reserve_flat_scratch 0
		.amdhsa_float_round_mode_32 0
		.amdhsa_float_round_mode_16_64 0
		.amdhsa_float_denorm_mode_32 3
		.amdhsa_float_denorm_mode_16_64 3
		.amdhsa_dx10_clamp 1
		.amdhsa_ieee_mode 1
		.amdhsa_fp16_overflow 0
		.amdhsa_tg_split 0
		.amdhsa_exception_fp_ieee_invalid_op 0
		.amdhsa_exception_fp_denorm_src 0
		.amdhsa_exception_fp_ieee_div_zero 0
		.amdhsa_exception_fp_ieee_overflow 0
		.amdhsa_exception_fp_ieee_underflow 0
		.amdhsa_exception_fp_ieee_inexact 0
		.amdhsa_exception_int_div_zero 0
	.end_amdhsa_kernel
	.section	.text._ZN9rocsparseL35gebsr2csr_block_per_row_1_32_kernelILi1024ELi32ELi2EdEEv20rocsparse_direction_ii21rocsparse_index_base_PKT2_PKiS7_iiS2_PS3_PiS9_,"axG",@progbits,_ZN9rocsparseL35gebsr2csr_block_per_row_1_32_kernelILi1024ELi32ELi2EdEEv20rocsparse_direction_ii21rocsparse_index_base_PKT2_PKiS7_iiS2_PS3_PiS9_,comdat
.Lfunc_end77:
	.size	_ZN9rocsparseL35gebsr2csr_block_per_row_1_32_kernelILi1024ELi32ELi2EdEEv20rocsparse_direction_ii21rocsparse_index_base_PKT2_PKiS7_iiS2_PS3_PiS9_, .Lfunc_end77-_ZN9rocsparseL35gebsr2csr_block_per_row_1_32_kernelILi1024ELi32ELi2EdEEv20rocsparse_direction_ii21rocsparse_index_base_PKT2_PKiS7_iiS2_PS3_PiS9_
                                        ; -- End function
	.section	.AMDGPU.csdata,"",@progbits
; Kernel info:
; codeLenInByte = 564
; NumSgprs: 23
; NumVgprs: 20
; NumAgprs: 0
; TotalNumVgprs: 20
; ScratchSize: 0
; MemoryBound: 0
; FloatMode: 240
; IeeeMode: 1
; LDSByteSize: 0 bytes/workgroup (compile time only)
; SGPRBlocks: 2
; VGPRBlocks: 2
; NumSGPRsForWavesPerEU: 23
; NumVGPRsForWavesPerEU: 20
; AccumOffset: 20
; Occupancy: 8
; WaveLimiterHint : 0
; COMPUTE_PGM_RSRC2:SCRATCH_EN: 0
; COMPUTE_PGM_RSRC2:USER_SGPR: 6
; COMPUTE_PGM_RSRC2:TRAP_HANDLER: 0
; COMPUTE_PGM_RSRC2:TGID_X_EN: 1
; COMPUTE_PGM_RSRC2:TGID_Y_EN: 0
; COMPUTE_PGM_RSRC2:TGID_Z_EN: 0
; COMPUTE_PGM_RSRC2:TIDIG_COMP_CNT: 0
; COMPUTE_PGM_RSRC3_GFX90A:ACCUM_OFFSET: 4
; COMPUTE_PGM_RSRC3_GFX90A:TG_SPLIT: 0
	.section	.text._ZN9rocsparseL35gebsr2csr_block_per_row_1_32_kernelILi1024ELi32ELi4EdEEv20rocsparse_direction_ii21rocsparse_index_base_PKT2_PKiS7_iiS2_PS3_PiS9_,"axG",@progbits,_ZN9rocsparseL35gebsr2csr_block_per_row_1_32_kernelILi1024ELi32ELi4EdEEv20rocsparse_direction_ii21rocsparse_index_base_PKT2_PKiS7_iiS2_PS3_PiS9_,comdat
	.globl	_ZN9rocsparseL35gebsr2csr_block_per_row_1_32_kernelILi1024ELi32ELi4EdEEv20rocsparse_direction_ii21rocsparse_index_base_PKT2_PKiS7_iiS2_PS3_PiS9_ ; -- Begin function _ZN9rocsparseL35gebsr2csr_block_per_row_1_32_kernelILi1024ELi32ELi4EdEEv20rocsparse_direction_ii21rocsparse_index_base_PKT2_PKiS7_iiS2_PS3_PiS9_
	.p2align	8
	.type	_ZN9rocsparseL35gebsr2csr_block_per_row_1_32_kernelILi1024ELi32ELi4EdEEv20rocsparse_direction_ii21rocsparse_index_base_PKT2_PKiS7_iiS2_PS3_PiS9_,@function
_ZN9rocsparseL35gebsr2csr_block_per_row_1_32_kernelILi1024ELi32ELi4EdEEv20rocsparse_direction_ii21rocsparse_index_base_PKT2_PKiS7_iiS2_PS3_PiS9_: ; @_ZN9rocsparseL35gebsr2csr_block_per_row_1_32_kernelILi1024ELi32ELi4EdEEv20rocsparse_direction_ii21rocsparse_index_base_PKT2_PKiS7_iiS2_PS3_PiS9_
; %bb.0:
	s_load_dwordx2 s[0:1], s[4:5], 0x18
	s_load_dwordx4 s[8:11], s[4:5], 0x28
	s_load_dwordx2 s[2:3], s[4:5], 0x40
	s_ashr_i32 s7, s6, 31
	s_lshl_b64 s[12:13], s[6:7], 2
	s_waitcnt lgkmcnt(0)
	s_add_u32 s12, s0, s12
	v_or_b32_e32 v1, s6, v0
	s_addc_u32 s13, s1, s13
	v_cmp_eq_u32_e32 vcc, 0, v1
	s_and_saveexec_b64 s[0:1], vcc
	s_cbranch_execz .LBB78_2
; %bb.1:
	v_mov_b32_e32 v1, 0
	v_mov_b32_e32 v2, s10
	global_store_dword v1, v2, s[2:3]
.LBB78_2:
	s_or_b64 exec, exec, s[0:1]
	v_and_b32_e32 v6, 3, v0
	v_bfe_u32 v8, v0, 2, 5
	v_cmp_gt_i32_e32 vcc, s8, v8
	v_cmp_gt_i32_e64 s[0:1], s9, v6
	s_and_b64 s[0:1], vcc, s[0:1]
	s_and_saveexec_b64 s[14:15], s[0:1]
	s_cbranch_execz .LBB78_6
; %bb.3:
	s_load_dwordx2 s[14:15], s[12:13], 0x0
	s_load_dword s11, s[4:5], 0xc
	s_mul_i32 s6, s6, s8
	v_add_u32_e32 v2, s6, v8
	s_mul_i32 s1, s9, s8
	v_ashrrev_i32_e32 v3, 31, v2
	s_waitcnt lgkmcnt(0)
	s_sub_i32 s0, s14, s11
	s_sub_i32 s14, s15, s11
	;; [unrolled: 1-line block ×3, first 2 shown]
	s_mul_i32 s12, s15, s9
	v_lshrrev_b32_e32 v1, 7, v0
	s_mul_i32 s7, s0, s1
	v_mul_lo_u32 v0, s12, v8
	s_add_i32 s12, s12, s10
	v_lshlrev_b64 v[2:3], 2, v[2:3]
	s_add_i32 s12, s12, s7
	v_mov_b32_e32 v4, s3
	v_add_co_u32_e32 v2, vcc, s2, v2
	v_add_u32_e32 v0, s12, v0
	v_addc_co_u32_e32 v3, vcc, v4, v3, vcc
	global_store_dword v[2:3], v0, off offset:4
	v_add_u32_e32 v0, s0, v1
	v_cmp_gt_i32_e32 vcc, s14, v0
	s_and_b64 exec, exec, vcc
	s_cbranch_execz .LBB78_6
; %bb.4:
	s_load_dwordx2 s[16:17], s[4:5], 0x20
	s_load_dwordx2 s[2:3], s[4:5], 0x38
	s_load_dword s18, s[4:5], 0x0
	s_load_dwordx2 s[6:7], s[4:5], 0x10
	s_load_dwordx2 s[12:13], s[4:5], 0x48
	v_mad_u64_u32 v[4:5], s[4:5], v6, s8, v[8:9]
	s_waitcnt lgkmcnt(0)
	s_cmp_eq_u32 s18, 0
	v_mad_u64_u32 v[10:11], s[4:5], v8, s9, v[6:7]
	s_cselect_b64 vcc, -1, 0
	s_mul_i32 s0, s8, s0
	v_mul_lo_u32 v3, s15, v8
	v_cndmask_b32_e32 v4, v4, v10, vcc
	v_add3_u32 v1, v1, s0, v3
	v_add_u32_e32 v2, s10, v6
	v_mad_u64_u32 v[4:5], s[4:5], s1, v0, v[4:5]
	s_lshl_b32 s10, s1, 3
	v_mad_u64_u32 v[6:7], s[0:1], s9, v1, v[6:7]
	v_ashrrev_i32_e32 v1, 31, v0
	v_lshlrev_b64 v[8:9], 2, v[0:1]
	v_mov_b32_e32 v1, s17
	v_add_co_u32_e32 v8, vcc, s16, v8
	s_lshl_b32 s8, s9, 3
	v_addc_co_u32_e32 v9, vcc, v1, v9, vcc
	s_mov_b64 s[4:5], 0
	v_mov_b32_e32 v1, s13
	v_mov_b32_e32 v3, s7
	;; [unrolled: 1-line block ×3, first 2 shown]
.LBB78_5:                               ; =>This Inner Loop Header: Depth=1
	v_ashrrev_i32_e32 v5, 31, v4
	global_load_dword v11, v[8:9], off
	v_lshlrev_b64 v[12:13], 3, v[4:5]
	v_add_co_u32_e32 v12, vcc, s6, v12
	v_addc_co_u32_e32 v13, vcc, v3, v13, vcc
	global_load_dwordx2 v[12:13], v[12:13], off
	v_ashrrev_i32_e32 v7, 31, v6
	v_lshlrev_b64 v[14:15], 2, v[6:7]
	v_add_co_u32_e32 v8, vcc, 32, v8
	v_add_co_u32_e64 v14, s[0:1], s12, v14
	v_add_u32_e32 v0, 8, v0
	v_addc_co_u32_e32 v9, vcc, 0, v9, vcc
	v_lshlrev_b64 v[16:17], 3, v[6:7]
	v_addc_co_u32_e64 v15, s[0:1], v1, v15, s[0:1]
	v_cmp_le_i32_e32 vcc, s14, v0
	v_add_co_u32_e64 v16, s[0:1], s2, v16
	v_add_u32_e32 v4, s10, v4
	v_add_u32_e32 v6, s8, v6
	v_addc_co_u32_e64 v17, s[0:1], v10, v17, s[0:1]
	s_or_b64 s[4:5], vcc, s[4:5]
	s_waitcnt vmcnt(1)
	v_subrev_u32_e32 v5, s11, v11
	v_mad_u64_u32 v[18:19], s[0:1], v5, s9, v[2:3]
	global_store_dword v[14:15], v18, off
	s_waitcnt vmcnt(1)
	global_store_dwordx2 v[16:17], v[12:13], off
	s_andn2_b64 exec, exec, s[4:5]
	s_cbranch_execnz .LBB78_5
.LBB78_6:
	s_endpgm
	.section	.rodata,"a",@progbits
	.p2align	6, 0x0
	.amdhsa_kernel _ZN9rocsparseL35gebsr2csr_block_per_row_1_32_kernelILi1024ELi32ELi4EdEEv20rocsparse_direction_ii21rocsparse_index_base_PKT2_PKiS7_iiS2_PS3_PiS9_
		.amdhsa_group_segment_fixed_size 0
		.amdhsa_private_segment_fixed_size 0
		.amdhsa_kernarg_size 80
		.amdhsa_user_sgpr_count 6
		.amdhsa_user_sgpr_private_segment_buffer 1
		.amdhsa_user_sgpr_dispatch_ptr 0
		.amdhsa_user_sgpr_queue_ptr 0
		.amdhsa_user_sgpr_kernarg_segment_ptr 1
		.amdhsa_user_sgpr_dispatch_id 0
		.amdhsa_user_sgpr_flat_scratch_init 0
		.amdhsa_user_sgpr_kernarg_preload_length 0
		.amdhsa_user_sgpr_kernarg_preload_offset 0
		.amdhsa_user_sgpr_private_segment_size 0
		.amdhsa_uses_dynamic_stack 0
		.amdhsa_system_sgpr_private_segment_wavefront_offset 0
		.amdhsa_system_sgpr_workgroup_id_x 1
		.amdhsa_system_sgpr_workgroup_id_y 0
		.amdhsa_system_sgpr_workgroup_id_z 0
		.amdhsa_system_sgpr_workgroup_info 0
		.amdhsa_system_vgpr_workitem_id 0
		.amdhsa_next_free_vgpr 20
		.amdhsa_next_free_sgpr 19
		.amdhsa_accum_offset 20
		.amdhsa_reserve_vcc 1
		.amdhsa_reserve_flat_scratch 0
		.amdhsa_float_round_mode_32 0
		.amdhsa_float_round_mode_16_64 0
		.amdhsa_float_denorm_mode_32 3
		.amdhsa_float_denorm_mode_16_64 3
		.amdhsa_dx10_clamp 1
		.amdhsa_ieee_mode 1
		.amdhsa_fp16_overflow 0
		.amdhsa_tg_split 0
		.amdhsa_exception_fp_ieee_invalid_op 0
		.amdhsa_exception_fp_denorm_src 0
		.amdhsa_exception_fp_ieee_div_zero 0
		.amdhsa_exception_fp_ieee_overflow 0
		.amdhsa_exception_fp_ieee_underflow 0
		.amdhsa_exception_fp_ieee_inexact 0
		.amdhsa_exception_int_div_zero 0
	.end_amdhsa_kernel
	.section	.text._ZN9rocsparseL35gebsr2csr_block_per_row_1_32_kernelILi1024ELi32ELi4EdEEv20rocsparse_direction_ii21rocsparse_index_base_PKT2_PKiS7_iiS2_PS3_PiS9_,"axG",@progbits,_ZN9rocsparseL35gebsr2csr_block_per_row_1_32_kernelILi1024ELi32ELi4EdEEv20rocsparse_direction_ii21rocsparse_index_base_PKT2_PKiS7_iiS2_PS3_PiS9_,comdat
.Lfunc_end78:
	.size	_ZN9rocsparseL35gebsr2csr_block_per_row_1_32_kernelILi1024ELi32ELi4EdEEv20rocsparse_direction_ii21rocsparse_index_base_PKT2_PKiS7_iiS2_PS3_PiS9_, .Lfunc_end78-_ZN9rocsparseL35gebsr2csr_block_per_row_1_32_kernelILi1024ELi32ELi4EdEEv20rocsparse_direction_ii21rocsparse_index_base_PKT2_PKiS7_iiS2_PS3_PiS9_
                                        ; -- End function
	.section	.AMDGPU.csdata,"",@progbits
; Kernel info:
; codeLenInByte = 564
; NumSgprs: 23
; NumVgprs: 20
; NumAgprs: 0
; TotalNumVgprs: 20
; ScratchSize: 0
; MemoryBound: 0
; FloatMode: 240
; IeeeMode: 1
; LDSByteSize: 0 bytes/workgroup (compile time only)
; SGPRBlocks: 2
; VGPRBlocks: 2
; NumSGPRsForWavesPerEU: 23
; NumVGPRsForWavesPerEU: 20
; AccumOffset: 20
; Occupancy: 8
; WaveLimiterHint : 0
; COMPUTE_PGM_RSRC2:SCRATCH_EN: 0
; COMPUTE_PGM_RSRC2:USER_SGPR: 6
; COMPUTE_PGM_RSRC2:TRAP_HANDLER: 0
; COMPUTE_PGM_RSRC2:TGID_X_EN: 1
; COMPUTE_PGM_RSRC2:TGID_Y_EN: 0
; COMPUTE_PGM_RSRC2:TGID_Z_EN: 0
; COMPUTE_PGM_RSRC2:TIDIG_COMP_CNT: 0
; COMPUTE_PGM_RSRC3_GFX90A:ACCUM_OFFSET: 4
; COMPUTE_PGM_RSRC3_GFX90A:TG_SPLIT: 0
	.section	.text._ZN9rocsparseL35gebsr2csr_block_per_row_1_32_kernelILi1024ELi32ELi8EdEEv20rocsparse_direction_ii21rocsparse_index_base_PKT2_PKiS7_iiS2_PS3_PiS9_,"axG",@progbits,_ZN9rocsparseL35gebsr2csr_block_per_row_1_32_kernelILi1024ELi32ELi8EdEEv20rocsparse_direction_ii21rocsparse_index_base_PKT2_PKiS7_iiS2_PS3_PiS9_,comdat
	.globl	_ZN9rocsparseL35gebsr2csr_block_per_row_1_32_kernelILi1024ELi32ELi8EdEEv20rocsparse_direction_ii21rocsparse_index_base_PKT2_PKiS7_iiS2_PS3_PiS9_ ; -- Begin function _ZN9rocsparseL35gebsr2csr_block_per_row_1_32_kernelILi1024ELi32ELi8EdEEv20rocsparse_direction_ii21rocsparse_index_base_PKT2_PKiS7_iiS2_PS3_PiS9_
	.p2align	8
	.type	_ZN9rocsparseL35gebsr2csr_block_per_row_1_32_kernelILi1024ELi32ELi8EdEEv20rocsparse_direction_ii21rocsparse_index_base_PKT2_PKiS7_iiS2_PS3_PiS9_,@function
_ZN9rocsparseL35gebsr2csr_block_per_row_1_32_kernelILi1024ELi32ELi8EdEEv20rocsparse_direction_ii21rocsparse_index_base_PKT2_PKiS7_iiS2_PS3_PiS9_: ; @_ZN9rocsparseL35gebsr2csr_block_per_row_1_32_kernelILi1024ELi32ELi8EdEEv20rocsparse_direction_ii21rocsparse_index_base_PKT2_PKiS7_iiS2_PS3_PiS9_
; %bb.0:
	s_load_dwordx2 s[0:1], s[4:5], 0x18
	s_load_dwordx4 s[8:11], s[4:5], 0x28
	s_load_dwordx2 s[2:3], s[4:5], 0x40
	s_ashr_i32 s7, s6, 31
	s_lshl_b64 s[12:13], s[6:7], 2
	s_waitcnt lgkmcnt(0)
	s_add_u32 s12, s0, s12
	v_or_b32_e32 v1, s6, v0
	s_addc_u32 s13, s1, s13
	v_cmp_eq_u32_e32 vcc, 0, v1
	s_and_saveexec_b64 s[0:1], vcc
	s_cbranch_execz .LBB79_2
; %bb.1:
	v_mov_b32_e32 v1, 0
	v_mov_b32_e32 v2, s10
	global_store_dword v1, v2, s[2:3]
.LBB79_2:
	s_or_b64 exec, exec, s[0:1]
	v_and_b32_e32 v6, 7, v0
	v_bfe_u32 v8, v0, 3, 5
	v_cmp_gt_i32_e32 vcc, s8, v8
	v_cmp_gt_i32_e64 s[0:1], s9, v6
	s_and_b64 s[0:1], vcc, s[0:1]
	s_and_saveexec_b64 s[14:15], s[0:1]
	s_cbranch_execz .LBB79_6
; %bb.3:
	s_load_dwordx2 s[14:15], s[12:13], 0x0
	s_load_dword s11, s[4:5], 0xc
	s_mul_i32 s6, s6, s8
	v_add_u32_e32 v2, s6, v8
	s_mul_i32 s1, s9, s8
	v_ashrrev_i32_e32 v3, 31, v2
	s_waitcnt lgkmcnt(0)
	s_sub_i32 s0, s14, s11
	s_sub_i32 s14, s15, s11
	;; [unrolled: 1-line block ×3, first 2 shown]
	s_mul_i32 s12, s15, s9
	v_lshrrev_b32_e32 v1, 8, v0
	s_mul_i32 s7, s0, s1
	v_mul_lo_u32 v0, s12, v8
	s_add_i32 s12, s12, s10
	v_lshlrev_b64 v[2:3], 2, v[2:3]
	s_add_i32 s12, s12, s7
	v_mov_b32_e32 v4, s3
	v_add_co_u32_e32 v2, vcc, s2, v2
	v_add_u32_e32 v0, s12, v0
	v_addc_co_u32_e32 v3, vcc, v4, v3, vcc
	global_store_dword v[2:3], v0, off offset:4
	v_add_u32_e32 v0, s0, v1
	v_cmp_gt_i32_e32 vcc, s14, v0
	s_and_b64 exec, exec, vcc
	s_cbranch_execz .LBB79_6
; %bb.4:
	s_load_dwordx2 s[16:17], s[4:5], 0x20
	s_load_dwordx2 s[2:3], s[4:5], 0x38
	s_load_dword s18, s[4:5], 0x0
	s_load_dwordx2 s[6:7], s[4:5], 0x10
	s_load_dwordx2 s[12:13], s[4:5], 0x48
	v_mad_u64_u32 v[4:5], s[4:5], v6, s8, v[8:9]
	s_waitcnt lgkmcnt(0)
	s_cmp_eq_u32 s18, 0
	v_mad_u64_u32 v[10:11], s[4:5], v8, s9, v[6:7]
	s_cselect_b64 vcc, -1, 0
	s_mul_i32 s0, s8, s0
	v_mul_lo_u32 v3, s15, v8
	v_cndmask_b32_e32 v4, v4, v10, vcc
	v_add3_u32 v1, v1, s0, v3
	v_add_u32_e32 v2, s10, v6
	v_mad_u64_u32 v[4:5], s[4:5], s1, v0, v[4:5]
	s_lshl_b32 s10, s1, 2
	v_mad_u64_u32 v[6:7], s[0:1], s9, v1, v[6:7]
	v_ashrrev_i32_e32 v1, 31, v0
	v_lshlrev_b64 v[8:9], 2, v[0:1]
	v_mov_b32_e32 v1, s17
	v_add_co_u32_e32 v8, vcc, s16, v8
	s_lshl_b32 s8, s9, 2
	v_addc_co_u32_e32 v9, vcc, v1, v9, vcc
	s_mov_b64 s[4:5], 0
	v_mov_b32_e32 v1, s13
	v_mov_b32_e32 v3, s7
	v_mov_b32_e32 v10, s3
.LBB79_5:                               ; =>This Inner Loop Header: Depth=1
	v_ashrrev_i32_e32 v5, 31, v4
	global_load_dword v11, v[8:9], off
	v_lshlrev_b64 v[12:13], 3, v[4:5]
	v_add_co_u32_e32 v12, vcc, s6, v12
	v_addc_co_u32_e32 v13, vcc, v3, v13, vcc
	global_load_dwordx2 v[12:13], v[12:13], off
	v_ashrrev_i32_e32 v7, 31, v6
	v_lshlrev_b64 v[14:15], 2, v[6:7]
	v_add_co_u32_e32 v8, vcc, 16, v8
	v_add_co_u32_e64 v14, s[0:1], s12, v14
	v_add_u32_e32 v0, 4, v0
	v_addc_co_u32_e32 v9, vcc, 0, v9, vcc
	v_lshlrev_b64 v[16:17], 3, v[6:7]
	v_addc_co_u32_e64 v15, s[0:1], v1, v15, s[0:1]
	v_cmp_le_i32_e32 vcc, s14, v0
	v_add_co_u32_e64 v16, s[0:1], s2, v16
	v_add_u32_e32 v4, s10, v4
	v_add_u32_e32 v6, s8, v6
	v_addc_co_u32_e64 v17, s[0:1], v10, v17, s[0:1]
	s_or_b64 s[4:5], vcc, s[4:5]
	s_waitcnt vmcnt(1)
	v_subrev_u32_e32 v5, s11, v11
	v_mad_u64_u32 v[18:19], s[0:1], v5, s9, v[2:3]
	global_store_dword v[14:15], v18, off
	s_waitcnt vmcnt(1)
	global_store_dwordx2 v[16:17], v[12:13], off
	s_andn2_b64 exec, exec, s[4:5]
	s_cbranch_execnz .LBB79_5
.LBB79_6:
	s_endpgm
	.section	.rodata,"a",@progbits
	.p2align	6, 0x0
	.amdhsa_kernel _ZN9rocsparseL35gebsr2csr_block_per_row_1_32_kernelILi1024ELi32ELi8EdEEv20rocsparse_direction_ii21rocsparse_index_base_PKT2_PKiS7_iiS2_PS3_PiS9_
		.amdhsa_group_segment_fixed_size 0
		.amdhsa_private_segment_fixed_size 0
		.amdhsa_kernarg_size 80
		.amdhsa_user_sgpr_count 6
		.amdhsa_user_sgpr_private_segment_buffer 1
		.amdhsa_user_sgpr_dispatch_ptr 0
		.amdhsa_user_sgpr_queue_ptr 0
		.amdhsa_user_sgpr_kernarg_segment_ptr 1
		.amdhsa_user_sgpr_dispatch_id 0
		.amdhsa_user_sgpr_flat_scratch_init 0
		.amdhsa_user_sgpr_kernarg_preload_length 0
		.amdhsa_user_sgpr_kernarg_preload_offset 0
		.amdhsa_user_sgpr_private_segment_size 0
		.amdhsa_uses_dynamic_stack 0
		.amdhsa_system_sgpr_private_segment_wavefront_offset 0
		.amdhsa_system_sgpr_workgroup_id_x 1
		.amdhsa_system_sgpr_workgroup_id_y 0
		.amdhsa_system_sgpr_workgroup_id_z 0
		.amdhsa_system_sgpr_workgroup_info 0
		.amdhsa_system_vgpr_workitem_id 0
		.amdhsa_next_free_vgpr 20
		.amdhsa_next_free_sgpr 19
		.amdhsa_accum_offset 20
		.amdhsa_reserve_vcc 1
		.amdhsa_reserve_flat_scratch 0
		.amdhsa_float_round_mode_32 0
		.amdhsa_float_round_mode_16_64 0
		.amdhsa_float_denorm_mode_32 3
		.amdhsa_float_denorm_mode_16_64 3
		.amdhsa_dx10_clamp 1
		.amdhsa_ieee_mode 1
		.amdhsa_fp16_overflow 0
		.amdhsa_tg_split 0
		.amdhsa_exception_fp_ieee_invalid_op 0
		.amdhsa_exception_fp_denorm_src 0
		.amdhsa_exception_fp_ieee_div_zero 0
		.amdhsa_exception_fp_ieee_overflow 0
		.amdhsa_exception_fp_ieee_underflow 0
		.amdhsa_exception_fp_ieee_inexact 0
		.amdhsa_exception_int_div_zero 0
	.end_amdhsa_kernel
	.section	.text._ZN9rocsparseL35gebsr2csr_block_per_row_1_32_kernelILi1024ELi32ELi8EdEEv20rocsparse_direction_ii21rocsparse_index_base_PKT2_PKiS7_iiS2_PS3_PiS9_,"axG",@progbits,_ZN9rocsparseL35gebsr2csr_block_per_row_1_32_kernelILi1024ELi32ELi8EdEEv20rocsparse_direction_ii21rocsparse_index_base_PKT2_PKiS7_iiS2_PS3_PiS9_,comdat
.Lfunc_end79:
	.size	_ZN9rocsparseL35gebsr2csr_block_per_row_1_32_kernelILi1024ELi32ELi8EdEEv20rocsparse_direction_ii21rocsparse_index_base_PKT2_PKiS7_iiS2_PS3_PiS9_, .Lfunc_end79-_ZN9rocsparseL35gebsr2csr_block_per_row_1_32_kernelILi1024ELi32ELi8EdEEv20rocsparse_direction_ii21rocsparse_index_base_PKT2_PKiS7_iiS2_PS3_PiS9_
                                        ; -- End function
	.section	.AMDGPU.csdata,"",@progbits
; Kernel info:
; codeLenInByte = 564
; NumSgprs: 23
; NumVgprs: 20
; NumAgprs: 0
; TotalNumVgprs: 20
; ScratchSize: 0
; MemoryBound: 0
; FloatMode: 240
; IeeeMode: 1
; LDSByteSize: 0 bytes/workgroup (compile time only)
; SGPRBlocks: 2
; VGPRBlocks: 2
; NumSGPRsForWavesPerEU: 23
; NumVGPRsForWavesPerEU: 20
; AccumOffset: 20
; Occupancy: 8
; WaveLimiterHint : 0
; COMPUTE_PGM_RSRC2:SCRATCH_EN: 0
; COMPUTE_PGM_RSRC2:USER_SGPR: 6
; COMPUTE_PGM_RSRC2:TRAP_HANDLER: 0
; COMPUTE_PGM_RSRC2:TGID_X_EN: 1
; COMPUTE_PGM_RSRC2:TGID_Y_EN: 0
; COMPUTE_PGM_RSRC2:TGID_Z_EN: 0
; COMPUTE_PGM_RSRC2:TIDIG_COMP_CNT: 0
; COMPUTE_PGM_RSRC3_GFX90A:ACCUM_OFFSET: 4
; COMPUTE_PGM_RSRC3_GFX90A:TG_SPLIT: 0
	.section	.text._ZN9rocsparseL35gebsr2csr_block_per_row_1_32_kernelILi1024ELi32ELi16EdEEv20rocsparse_direction_ii21rocsparse_index_base_PKT2_PKiS7_iiS2_PS3_PiS9_,"axG",@progbits,_ZN9rocsparseL35gebsr2csr_block_per_row_1_32_kernelILi1024ELi32ELi16EdEEv20rocsparse_direction_ii21rocsparse_index_base_PKT2_PKiS7_iiS2_PS3_PiS9_,comdat
	.globl	_ZN9rocsparseL35gebsr2csr_block_per_row_1_32_kernelILi1024ELi32ELi16EdEEv20rocsparse_direction_ii21rocsparse_index_base_PKT2_PKiS7_iiS2_PS3_PiS9_ ; -- Begin function _ZN9rocsparseL35gebsr2csr_block_per_row_1_32_kernelILi1024ELi32ELi16EdEEv20rocsparse_direction_ii21rocsparse_index_base_PKT2_PKiS7_iiS2_PS3_PiS9_
	.p2align	8
	.type	_ZN9rocsparseL35gebsr2csr_block_per_row_1_32_kernelILi1024ELi32ELi16EdEEv20rocsparse_direction_ii21rocsparse_index_base_PKT2_PKiS7_iiS2_PS3_PiS9_,@function
_ZN9rocsparseL35gebsr2csr_block_per_row_1_32_kernelILi1024ELi32ELi16EdEEv20rocsparse_direction_ii21rocsparse_index_base_PKT2_PKiS7_iiS2_PS3_PiS9_: ; @_ZN9rocsparseL35gebsr2csr_block_per_row_1_32_kernelILi1024ELi32ELi16EdEEv20rocsparse_direction_ii21rocsparse_index_base_PKT2_PKiS7_iiS2_PS3_PiS9_
; %bb.0:
	s_load_dwordx2 s[0:1], s[4:5], 0x18
	s_load_dwordx4 s[8:11], s[4:5], 0x28
	s_load_dwordx2 s[2:3], s[4:5], 0x40
	s_ashr_i32 s7, s6, 31
	s_lshl_b64 s[12:13], s[6:7], 2
	s_waitcnt lgkmcnt(0)
	s_add_u32 s12, s0, s12
	v_or_b32_e32 v1, s6, v0
	s_addc_u32 s13, s1, s13
	v_cmp_eq_u32_e32 vcc, 0, v1
	s_and_saveexec_b64 s[0:1], vcc
	s_cbranch_execz .LBB80_2
; %bb.1:
	v_mov_b32_e32 v1, 0
	v_mov_b32_e32 v2, s10
	global_store_dword v1, v2, s[2:3]
.LBB80_2:
	s_or_b64 exec, exec, s[0:1]
	v_and_b32_e32 v6, 15, v0
	v_bfe_u32 v8, v0, 4, 5
	v_cmp_gt_i32_e32 vcc, s8, v8
	v_cmp_gt_i32_e64 s[0:1], s9, v6
	s_and_b64 s[0:1], vcc, s[0:1]
	s_and_saveexec_b64 s[14:15], s[0:1]
	s_cbranch_execz .LBB80_6
; %bb.3:
	s_load_dwordx2 s[14:15], s[12:13], 0x0
	s_load_dword s11, s[4:5], 0xc
	s_mul_i32 s6, s6, s8
	v_add_u32_e32 v2, s6, v8
	s_mul_i32 s1, s9, s8
	v_ashrrev_i32_e32 v3, 31, v2
	s_waitcnt lgkmcnt(0)
	s_sub_i32 s0, s14, s11
	s_sub_i32 s14, s15, s11
	;; [unrolled: 1-line block ×3, first 2 shown]
	s_mul_i32 s12, s15, s9
	v_lshrrev_b32_e32 v1, 9, v0
	s_mul_i32 s7, s0, s1
	v_mul_lo_u32 v0, s12, v8
	s_add_i32 s12, s12, s10
	v_lshlrev_b64 v[2:3], 2, v[2:3]
	s_add_i32 s12, s12, s7
	v_mov_b32_e32 v4, s3
	v_add_co_u32_e32 v2, vcc, s2, v2
	v_add_u32_e32 v0, s12, v0
	v_addc_co_u32_e32 v3, vcc, v4, v3, vcc
	global_store_dword v[2:3], v0, off offset:4
	v_add_u32_e32 v0, s0, v1
	v_cmp_gt_i32_e32 vcc, s14, v0
	s_and_b64 exec, exec, vcc
	s_cbranch_execz .LBB80_6
; %bb.4:
	s_load_dwordx2 s[16:17], s[4:5], 0x20
	s_load_dwordx2 s[2:3], s[4:5], 0x38
	s_load_dword s18, s[4:5], 0x0
	s_load_dwordx2 s[6:7], s[4:5], 0x10
	s_load_dwordx2 s[12:13], s[4:5], 0x48
	v_mad_u64_u32 v[4:5], s[4:5], v6, s8, v[8:9]
	s_waitcnt lgkmcnt(0)
	s_cmp_eq_u32 s18, 0
	v_mad_u64_u32 v[10:11], s[4:5], v8, s9, v[6:7]
	s_cselect_b64 vcc, -1, 0
	s_mul_i32 s0, s8, s0
	v_mul_lo_u32 v3, s15, v8
	v_cndmask_b32_e32 v4, v4, v10, vcc
	v_add3_u32 v1, v1, s0, v3
	v_add_u32_e32 v2, s10, v6
	v_mad_u64_u32 v[4:5], s[4:5], s1, v0, v[4:5]
	s_lshl_b32 s10, s1, 1
	v_mad_u64_u32 v[6:7], s[0:1], s9, v1, v[6:7]
	v_ashrrev_i32_e32 v1, 31, v0
	v_lshlrev_b64 v[8:9], 2, v[0:1]
	v_mov_b32_e32 v1, s17
	v_add_co_u32_e32 v8, vcc, s16, v8
	s_lshl_b32 s8, s9, 1
	v_addc_co_u32_e32 v9, vcc, v1, v9, vcc
	s_mov_b64 s[4:5], 0
	v_mov_b32_e32 v1, s13
	v_mov_b32_e32 v3, s7
	;; [unrolled: 1-line block ×3, first 2 shown]
.LBB80_5:                               ; =>This Inner Loop Header: Depth=1
	v_ashrrev_i32_e32 v5, 31, v4
	global_load_dword v11, v[8:9], off
	v_lshlrev_b64 v[12:13], 3, v[4:5]
	v_add_co_u32_e32 v12, vcc, s6, v12
	v_addc_co_u32_e32 v13, vcc, v3, v13, vcc
	global_load_dwordx2 v[12:13], v[12:13], off
	v_ashrrev_i32_e32 v7, 31, v6
	v_lshlrev_b64 v[14:15], 2, v[6:7]
	v_add_co_u32_e32 v8, vcc, 8, v8
	v_add_co_u32_e64 v14, s[0:1], s12, v14
	v_add_u32_e32 v0, 2, v0
	v_addc_co_u32_e32 v9, vcc, 0, v9, vcc
	v_lshlrev_b64 v[16:17], 3, v[6:7]
	v_addc_co_u32_e64 v15, s[0:1], v1, v15, s[0:1]
	v_cmp_le_i32_e32 vcc, s14, v0
	v_add_co_u32_e64 v16, s[0:1], s2, v16
	v_add_u32_e32 v4, s10, v4
	v_add_u32_e32 v6, s8, v6
	v_addc_co_u32_e64 v17, s[0:1], v10, v17, s[0:1]
	s_or_b64 s[4:5], vcc, s[4:5]
	s_waitcnt vmcnt(1)
	v_subrev_u32_e32 v5, s11, v11
	v_mad_u64_u32 v[18:19], s[0:1], v5, s9, v[2:3]
	global_store_dword v[14:15], v18, off
	s_waitcnt vmcnt(1)
	global_store_dwordx2 v[16:17], v[12:13], off
	s_andn2_b64 exec, exec, s[4:5]
	s_cbranch_execnz .LBB80_5
.LBB80_6:
	s_endpgm
	.section	.rodata,"a",@progbits
	.p2align	6, 0x0
	.amdhsa_kernel _ZN9rocsparseL35gebsr2csr_block_per_row_1_32_kernelILi1024ELi32ELi16EdEEv20rocsparse_direction_ii21rocsparse_index_base_PKT2_PKiS7_iiS2_PS3_PiS9_
		.amdhsa_group_segment_fixed_size 0
		.amdhsa_private_segment_fixed_size 0
		.amdhsa_kernarg_size 80
		.amdhsa_user_sgpr_count 6
		.amdhsa_user_sgpr_private_segment_buffer 1
		.amdhsa_user_sgpr_dispatch_ptr 0
		.amdhsa_user_sgpr_queue_ptr 0
		.amdhsa_user_sgpr_kernarg_segment_ptr 1
		.amdhsa_user_sgpr_dispatch_id 0
		.amdhsa_user_sgpr_flat_scratch_init 0
		.amdhsa_user_sgpr_kernarg_preload_length 0
		.amdhsa_user_sgpr_kernarg_preload_offset 0
		.amdhsa_user_sgpr_private_segment_size 0
		.amdhsa_uses_dynamic_stack 0
		.amdhsa_system_sgpr_private_segment_wavefront_offset 0
		.amdhsa_system_sgpr_workgroup_id_x 1
		.amdhsa_system_sgpr_workgroup_id_y 0
		.amdhsa_system_sgpr_workgroup_id_z 0
		.amdhsa_system_sgpr_workgroup_info 0
		.amdhsa_system_vgpr_workitem_id 0
		.amdhsa_next_free_vgpr 20
		.amdhsa_next_free_sgpr 19
		.amdhsa_accum_offset 20
		.amdhsa_reserve_vcc 1
		.amdhsa_reserve_flat_scratch 0
		.amdhsa_float_round_mode_32 0
		.amdhsa_float_round_mode_16_64 0
		.amdhsa_float_denorm_mode_32 3
		.amdhsa_float_denorm_mode_16_64 3
		.amdhsa_dx10_clamp 1
		.amdhsa_ieee_mode 1
		.amdhsa_fp16_overflow 0
		.amdhsa_tg_split 0
		.amdhsa_exception_fp_ieee_invalid_op 0
		.amdhsa_exception_fp_denorm_src 0
		.amdhsa_exception_fp_ieee_div_zero 0
		.amdhsa_exception_fp_ieee_overflow 0
		.amdhsa_exception_fp_ieee_underflow 0
		.amdhsa_exception_fp_ieee_inexact 0
		.amdhsa_exception_int_div_zero 0
	.end_amdhsa_kernel
	.section	.text._ZN9rocsparseL35gebsr2csr_block_per_row_1_32_kernelILi1024ELi32ELi16EdEEv20rocsparse_direction_ii21rocsparse_index_base_PKT2_PKiS7_iiS2_PS3_PiS9_,"axG",@progbits,_ZN9rocsparseL35gebsr2csr_block_per_row_1_32_kernelILi1024ELi32ELi16EdEEv20rocsparse_direction_ii21rocsparse_index_base_PKT2_PKiS7_iiS2_PS3_PiS9_,comdat
.Lfunc_end80:
	.size	_ZN9rocsparseL35gebsr2csr_block_per_row_1_32_kernelILi1024ELi32ELi16EdEEv20rocsparse_direction_ii21rocsparse_index_base_PKT2_PKiS7_iiS2_PS3_PiS9_, .Lfunc_end80-_ZN9rocsparseL35gebsr2csr_block_per_row_1_32_kernelILi1024ELi32ELi16EdEEv20rocsparse_direction_ii21rocsparse_index_base_PKT2_PKiS7_iiS2_PS3_PiS9_
                                        ; -- End function
	.section	.AMDGPU.csdata,"",@progbits
; Kernel info:
; codeLenInByte = 564
; NumSgprs: 23
; NumVgprs: 20
; NumAgprs: 0
; TotalNumVgprs: 20
; ScratchSize: 0
; MemoryBound: 0
; FloatMode: 240
; IeeeMode: 1
; LDSByteSize: 0 bytes/workgroup (compile time only)
; SGPRBlocks: 2
; VGPRBlocks: 2
; NumSGPRsForWavesPerEU: 23
; NumVGPRsForWavesPerEU: 20
; AccumOffset: 20
; Occupancy: 8
; WaveLimiterHint : 0
; COMPUTE_PGM_RSRC2:SCRATCH_EN: 0
; COMPUTE_PGM_RSRC2:USER_SGPR: 6
; COMPUTE_PGM_RSRC2:TRAP_HANDLER: 0
; COMPUTE_PGM_RSRC2:TGID_X_EN: 1
; COMPUTE_PGM_RSRC2:TGID_Y_EN: 0
; COMPUTE_PGM_RSRC2:TGID_Z_EN: 0
; COMPUTE_PGM_RSRC2:TIDIG_COMP_CNT: 0
; COMPUTE_PGM_RSRC3_GFX90A:ACCUM_OFFSET: 4
; COMPUTE_PGM_RSRC3_GFX90A:TG_SPLIT: 0
	.section	.text._ZN9rocsparseL35gebsr2csr_block_per_row_1_32_kernelILi1024ELi32ELi32EdEEv20rocsparse_direction_ii21rocsparse_index_base_PKT2_PKiS7_iiS2_PS3_PiS9_,"axG",@progbits,_ZN9rocsparseL35gebsr2csr_block_per_row_1_32_kernelILi1024ELi32ELi32EdEEv20rocsparse_direction_ii21rocsparse_index_base_PKT2_PKiS7_iiS2_PS3_PiS9_,comdat
	.globl	_ZN9rocsparseL35gebsr2csr_block_per_row_1_32_kernelILi1024ELi32ELi32EdEEv20rocsparse_direction_ii21rocsparse_index_base_PKT2_PKiS7_iiS2_PS3_PiS9_ ; -- Begin function _ZN9rocsparseL35gebsr2csr_block_per_row_1_32_kernelILi1024ELi32ELi32EdEEv20rocsparse_direction_ii21rocsparse_index_base_PKT2_PKiS7_iiS2_PS3_PiS9_
	.p2align	8
	.type	_ZN9rocsparseL35gebsr2csr_block_per_row_1_32_kernelILi1024ELi32ELi32EdEEv20rocsparse_direction_ii21rocsparse_index_base_PKT2_PKiS7_iiS2_PS3_PiS9_,@function
_ZN9rocsparseL35gebsr2csr_block_per_row_1_32_kernelILi1024ELi32ELi32EdEEv20rocsparse_direction_ii21rocsparse_index_base_PKT2_PKiS7_iiS2_PS3_PiS9_: ; @_ZN9rocsparseL35gebsr2csr_block_per_row_1_32_kernelILi1024ELi32ELi32EdEEv20rocsparse_direction_ii21rocsparse_index_base_PKT2_PKiS7_iiS2_PS3_PiS9_
; %bb.0:
	s_load_dwordx2 s[0:1], s[4:5], 0x18
	s_load_dwordx4 s[8:11], s[4:5], 0x28
	s_load_dwordx2 s[2:3], s[4:5], 0x40
	s_ashr_i32 s7, s6, 31
	s_lshl_b64 s[12:13], s[6:7], 2
	s_waitcnt lgkmcnt(0)
	s_add_u32 s12, s0, s12
	v_or_b32_e32 v1, s6, v0
	s_addc_u32 s13, s1, s13
	v_cmp_eq_u32_e32 vcc, 0, v1
	s_and_saveexec_b64 s[0:1], vcc
	s_cbranch_execz .LBB81_2
; %bb.1:
	v_mov_b32_e32 v1, 0
	v_mov_b32_e32 v2, s10
	global_store_dword v1, v2, s[2:3]
.LBB81_2:
	s_or_b64 exec, exec, s[0:1]
	v_and_b32_e32 v2, 31, v0
	v_lshrrev_b32_e32 v4, 5, v0
	v_cmp_gt_i32_e32 vcc, s8, v4
	v_cmp_gt_i32_e64 s[0:1], s9, v2
	s_and_b64 s[0:1], vcc, s[0:1]
	s_and_saveexec_b64 s[14:15], s[0:1]
	s_cbranch_execz .LBB81_6
; %bb.3:
	s_load_dwordx2 s[18:19], s[12:13], 0x0
	s_load_dword s11, s[4:5], 0xc
	s_mul_i32 s14, s9, s8
	s_mul_i32 s6, s6, s8
	v_mov_b32_e32 v5, s3
	s_waitcnt lgkmcnt(0)
	s_sub_i32 s0, s18, s11
	s_sub_i32 s15, s19, s11
	;; [unrolled: 1-line block ×3, first 2 shown]
	s_mul_i32 s7, s1, s9
	s_mul_i32 s16, s0, s14
	v_mul_lo_u32 v0, s7, v4
	s_add_i32 s7, s7, s10
	s_add_i32 s7, s7, s16
	v_add_u32_e32 v3, s7, v0
	v_add_u32_e32 v0, s6, v4
	v_ashrrev_i32_e32 v1, 31, v0
	v_lshlrev_b64 v[0:1], 2, v[0:1]
	v_add_co_u32_e32 v0, vcc, s2, v0
	v_addc_co_u32_e32 v1, vcc, v5, v1, vcc
	s_cmp_ge_i32 s18, s19
	global_store_dword v[0:1], v3, off offset:4
	s_cbranch_scc1 .LBB81_6
; %bb.4:
	s_load_dwordx2 s[18:19], s[4:5], 0x20
	s_load_dwordx2 s[2:3], s[4:5], 0x38
	s_load_dword s17, s[4:5], 0x0
	s_load_dwordx2 s[6:7], s[4:5], 0x10
	s_load_dwordx2 s[12:13], s[4:5], 0x48
	v_add_u32_e32 v5, s10, v2
	v_mad_u64_u32 v[0:1], s[4:5], v2, s8, v[4:5]
	v_mad_u64_u32 v[6:7], s[4:5], v4, s9, v[2:3]
	s_mul_i32 s4, s8, s0
	v_mul_lo_u32 v1, v4, s1
	s_waitcnt lgkmcnt(0)
	s_cmp_eq_u32 s17, 0
	v_add_u32_e32 v1, s4, v1
	s_cselect_b64 vcc, -1, 0
	v_mad_u64_u32 v[2:3], s[4:5], s9, v1, v[2:3]
	s_ashr_i32 s1, s0, 31
	s_lshl_b64 s[4:5], s[0:1], 2
	v_cndmask_b32_e32 v0, v0, v6, vcc
	s_add_u32 s4, s18, s4
	v_add_u32_e32 v0, s16, v0
	s_addc_u32 s5, s19, s5
	v_mov_b32_e32 v4, s13
	v_mov_b32_e32 v6, s7
	;; [unrolled: 1-line block ×3, first 2 shown]
.LBB81_5:                               ; =>This Inner Loop Header: Depth=1
	v_ashrrev_i32_e32 v1, 31, v0
	v_lshlrev_b64 v[8:9], 3, v[0:1]
	v_add_co_u32_e32 v8, vcc, s6, v8
	v_addc_co_u32_e32 v9, vcc, v6, v9, vcc
	global_load_dwordx2 v[8:9], v[8:9], off
	s_load_dword s1, s[4:5], 0x0
	v_ashrrev_i32_e32 v3, 31, v2
	v_lshlrev_b64 v[10:11], 2, v[2:3]
	s_add_i32 s0, s0, 1
	v_add_co_u32_e32 v10, vcc, s12, v10
	s_waitcnt lgkmcnt(0)
	s_sub_i32 s1, s1, s11
	v_lshlrev_b64 v[12:13], 3, v[2:3]
	v_addc_co_u32_e32 v11, vcc, v4, v11, vcc
	s_add_u32 s4, s4, 4
	v_add_co_u32_e32 v12, vcc, s2, v12
	s_mul_i32 s1, s1, s9
	s_addc_u32 s5, s5, 0
	v_add_u32_e32 v0, s14, v0
	v_add_u32_e32 v2, s9, v2
	v_addc_co_u32_e32 v13, vcc, v7, v13, vcc
	v_add_u32_e32 v1, s1, v5
	s_cmp_lt_i32 s0, s15
	global_store_dword v[10:11], v1, off
	s_waitcnt vmcnt(1)
	global_store_dwordx2 v[12:13], v[8:9], off
	s_cbranch_scc1 .LBB81_5
.LBB81_6:
	s_endpgm
	.section	.rodata,"a",@progbits
	.p2align	6, 0x0
	.amdhsa_kernel _ZN9rocsparseL35gebsr2csr_block_per_row_1_32_kernelILi1024ELi32ELi32EdEEv20rocsparse_direction_ii21rocsparse_index_base_PKT2_PKiS7_iiS2_PS3_PiS9_
		.amdhsa_group_segment_fixed_size 0
		.amdhsa_private_segment_fixed_size 0
		.amdhsa_kernarg_size 80
		.amdhsa_user_sgpr_count 6
		.amdhsa_user_sgpr_private_segment_buffer 1
		.amdhsa_user_sgpr_dispatch_ptr 0
		.amdhsa_user_sgpr_queue_ptr 0
		.amdhsa_user_sgpr_kernarg_segment_ptr 1
		.amdhsa_user_sgpr_dispatch_id 0
		.amdhsa_user_sgpr_flat_scratch_init 0
		.amdhsa_user_sgpr_kernarg_preload_length 0
		.amdhsa_user_sgpr_kernarg_preload_offset 0
		.amdhsa_user_sgpr_private_segment_size 0
		.amdhsa_uses_dynamic_stack 0
		.amdhsa_system_sgpr_private_segment_wavefront_offset 0
		.amdhsa_system_sgpr_workgroup_id_x 1
		.amdhsa_system_sgpr_workgroup_id_y 0
		.amdhsa_system_sgpr_workgroup_id_z 0
		.amdhsa_system_sgpr_workgroup_info 0
		.amdhsa_system_vgpr_workitem_id 0
		.amdhsa_next_free_vgpr 14
		.amdhsa_next_free_sgpr 20
		.amdhsa_accum_offset 16
		.amdhsa_reserve_vcc 1
		.amdhsa_reserve_flat_scratch 0
		.amdhsa_float_round_mode_32 0
		.amdhsa_float_round_mode_16_64 0
		.amdhsa_float_denorm_mode_32 3
		.amdhsa_float_denorm_mode_16_64 3
		.amdhsa_dx10_clamp 1
		.amdhsa_ieee_mode 1
		.amdhsa_fp16_overflow 0
		.amdhsa_tg_split 0
		.amdhsa_exception_fp_ieee_invalid_op 0
		.amdhsa_exception_fp_denorm_src 0
		.amdhsa_exception_fp_ieee_div_zero 0
		.amdhsa_exception_fp_ieee_overflow 0
		.amdhsa_exception_fp_ieee_underflow 0
		.amdhsa_exception_fp_ieee_inexact 0
		.amdhsa_exception_int_div_zero 0
	.end_amdhsa_kernel
	.section	.text._ZN9rocsparseL35gebsr2csr_block_per_row_1_32_kernelILi1024ELi32ELi32EdEEv20rocsparse_direction_ii21rocsparse_index_base_PKT2_PKiS7_iiS2_PS3_PiS9_,"axG",@progbits,_ZN9rocsparseL35gebsr2csr_block_per_row_1_32_kernelILi1024ELi32ELi32EdEEv20rocsparse_direction_ii21rocsparse_index_base_PKT2_PKiS7_iiS2_PS3_PiS9_,comdat
.Lfunc_end81:
	.size	_ZN9rocsparseL35gebsr2csr_block_per_row_1_32_kernelILi1024ELi32ELi32EdEEv20rocsparse_direction_ii21rocsparse_index_base_PKT2_PKiS7_iiS2_PS3_PiS9_, .Lfunc_end81-_ZN9rocsparseL35gebsr2csr_block_per_row_1_32_kernelILi1024ELi32ELi32EdEEv20rocsparse_direction_ii21rocsparse_index_base_PKT2_PKiS7_iiS2_PS3_PiS9_
                                        ; -- End function
	.section	.AMDGPU.csdata,"",@progbits
; Kernel info:
; codeLenInByte = 496
; NumSgprs: 24
; NumVgprs: 14
; NumAgprs: 0
; TotalNumVgprs: 14
; ScratchSize: 0
; MemoryBound: 0
; FloatMode: 240
; IeeeMode: 1
; LDSByteSize: 0 bytes/workgroup (compile time only)
; SGPRBlocks: 2
; VGPRBlocks: 1
; NumSGPRsForWavesPerEU: 24
; NumVGPRsForWavesPerEU: 14
; AccumOffset: 16
; Occupancy: 8
; WaveLimiterHint : 0
; COMPUTE_PGM_RSRC2:SCRATCH_EN: 0
; COMPUTE_PGM_RSRC2:USER_SGPR: 6
; COMPUTE_PGM_RSRC2:TRAP_HANDLER: 0
; COMPUTE_PGM_RSRC2:TGID_X_EN: 1
; COMPUTE_PGM_RSRC2:TGID_Y_EN: 0
; COMPUTE_PGM_RSRC2:TGID_Z_EN: 0
; COMPUTE_PGM_RSRC2:TIDIG_COMP_CNT: 0
; COMPUTE_PGM_RSRC3_GFX90A:ACCUM_OFFSET: 3
; COMPUTE_PGM_RSRC3_GFX90A:TG_SPLIT: 0
	.section	.text._ZN9rocsparseL37gebsr2csr_block_per_row_33_128_kernelILi1024ELi32ELi64ELi32ELi32EdEEv20rocsparse_direction_ii21rocsparse_index_base_PKT4_PKiS7_iiS2_PS3_PiS9_,"axG",@progbits,_ZN9rocsparseL37gebsr2csr_block_per_row_33_128_kernelILi1024ELi32ELi64ELi32ELi32EdEEv20rocsparse_direction_ii21rocsparse_index_base_PKT4_PKiS7_iiS2_PS3_PiS9_,comdat
	.globl	_ZN9rocsparseL37gebsr2csr_block_per_row_33_128_kernelILi1024ELi32ELi64ELi32ELi32EdEEv20rocsparse_direction_ii21rocsparse_index_base_PKT4_PKiS7_iiS2_PS3_PiS9_ ; -- Begin function _ZN9rocsparseL37gebsr2csr_block_per_row_33_128_kernelILi1024ELi32ELi64ELi32ELi32EdEEv20rocsparse_direction_ii21rocsparse_index_base_PKT4_PKiS7_iiS2_PS3_PiS9_
	.p2align	8
	.type	_ZN9rocsparseL37gebsr2csr_block_per_row_33_128_kernelILi1024ELi32ELi64ELi32ELi32EdEEv20rocsparse_direction_ii21rocsparse_index_base_PKT4_PKiS7_iiS2_PS3_PiS9_,@function
_ZN9rocsparseL37gebsr2csr_block_per_row_33_128_kernelILi1024ELi32ELi64ELi32ELi32EdEEv20rocsparse_direction_ii21rocsparse_index_base_PKT4_PKiS7_iiS2_PS3_PiS9_: ; @_ZN9rocsparseL37gebsr2csr_block_per_row_33_128_kernelILi1024ELi32ELi64ELi32ELi32EdEEv20rocsparse_direction_ii21rocsparse_index_base_PKT4_PKiS7_iiS2_PS3_PiS9_
; %bb.0:
	s_load_dwordx2 s[0:1], s[4:5], 0x18
	s_load_dwordx4 s[8:11], s[4:5], 0x28
	s_load_dwordx2 s[2:3], s[4:5], 0x40
	s_ashr_i32 s7, s6, 31
	s_lshl_b64 s[12:13], s[6:7], 2
	s_waitcnt lgkmcnt(0)
	s_add_u32 s0, s0, s12
	s_addc_u32 s1, s1, s13
	s_load_dwordx2 s[14:15], s[0:1], 0x0
	v_or_b32_e32 v1, s6, v0
	v_cmp_eq_u32_e32 vcc, 0, v1
	s_and_saveexec_b64 s[0:1], vcc
	s_cbranch_execz .LBB82_2
; %bb.1:
	v_mov_b32_e32 v1, 0
	v_mov_b32_e32 v2, s10
	global_store_dword v1, v2, s[2:3]
.LBB82_2:
	s_or_b64 exec, exec, s[0:1]
	s_load_dword s11, s[4:5], 0xc
	v_lshrrev_b32_e32 v4, 5, v0
	v_cmp_gt_i32_e64 s[0:1], s8, v4
	s_mul_i32 s23, s9, s8
	s_waitcnt lgkmcnt(0)
	s_sub_i32 s12, s14, s11
	s_sub_i32 s22, s15, s11
	s_and_saveexec_b64 s[16:17], s[0:1]
	s_cbranch_execz .LBB82_4
; %bb.3:
	s_mul_i32 s6, s6, s8
	v_add_u32_e32 v2, s6, v4
	s_mul_i32 s7, s23, s12
	s_sub_i32 s13, s22, s12
	v_ashrrev_i32_e32 v3, 31, v2
	s_mul_i32 s13, s13, s9
	s_add_i32 s7, s7, s10
	v_lshlrev_b64 v[2:3], 2, v[2:3]
	v_mul_lo_u32 v1, s13, v4
	s_add_i32 s7, s7, s13
	v_mov_b32_e32 v5, s3
	v_add_co_u32_e32 v2, vcc, s2, v2
	v_add_u32_e32 v1, s7, v1
	v_addc_co_u32_e32 v3, vcc, v5, v3, vcc
	global_store_dword v[2:3], v1, off offset:4
.LBB82_4:
	s_or_b64 exec, exec, s[16:17]
	s_cmp_ge_i32 s14, s15
	s_cbranch_scc1 .LBB82_11
; %bb.5:
	s_load_dwordx2 s[18:19], s[4:5], 0x20
	s_load_dwordx2 s[6:7], s[4:5], 0x38
	;; [unrolled: 1-line block ×4, first 2 shown]
	s_load_dword s2, s[4:5], 0x0
	s_mul_i32 s13, s8, s12
	v_and_b32_e32 v0, 31, v0
	v_add_u32_e32 v1, s13, v4
	v_mad_u64_u32 v[2:3], s[4:5], s9, v1, v[0:1]
	s_mul_i32 s4, s9, s12
	s_sub_i32 s3, s22, s12
	v_add_u32_e32 v3, s4, v0
	v_mul_lo_u32 v6, s3, v4
	s_waitcnt lgkmcnt(0)
	s_cmp_eq_u32 s2, 0
	v_cmp_gt_i32_e64 s[2:3], s9, v0
	v_mad_u64_u32 v[8:9], s[4:5], s8, v3, v[4:5]
	v_or_b32_e32 v1, 32, v0
	s_cselect_b64 vcc, -1, 0
	s_and_b64 s[4:5], s[0:1], s[2:3]
	v_cmp_gt_i32_e64 s[2:3], s9, v1
	v_add_u32_e32 v3, 32, v3
	s_and_b64 s[2:3], s[0:1], s[2:3]
	v_mad_u64_u32 v[4:5], s[0:1], s8, v3, v[4:5]
	v_add_u32_e32 v3, s13, v6
	v_mad_u64_u32 v[6:7], s[0:1], s9, v3, v[0:1]
	s_ashr_i32 s13, s12, 31
	s_lshl_b64 s[0:1], s[12:13], 2
	s_add_u32 s18, s18, s0
	s_mov_b32 s24, 0
	s_addc_u32 s19, s19, s1
	v_cndmask_b32_e32 v3, v8, v2, vcc
	s_branch .LBB82_7
.LBB82_6:                               ;   in Loop: Header=BB82_7 Depth=1
	s_or_b64 exec, exec, s[20:21]
	s_add_i32 s12, s12, 1
	s_add_i32 s24, s24, s23
	s_add_u32 s18, s18, 4
	s_addc_u32 s19, s19, 0
	s_cmp_ge_i32 s12, s22
	v_add_u32_e32 v6, s9, v6
	s_cbranch_scc1 .LBB82_11
.LBB82_7:                               ; =>This Inner Loop Header: Depth=1
	s_load_dword s0, s[18:19], 0x0
	s_waitcnt lgkmcnt(0)
	s_sub_i32 s0, s0, s11
	s_mul_i32 s8, s0, s9
	s_add_i32 s8, s8, s10
	s_and_saveexec_b64 s[20:21], s[4:5]
	s_cbranch_execz .LBB82_9
; %bb.8:                                ;   in Loop: Header=BB82_7 Depth=1
	v_add_u32_e32 v8, s24, v3
	v_ashrrev_i32_e32 v9, 31, v8
	v_lshlrev_b64 v[8:9], 3, v[8:9]
	v_mov_b32_e32 v5, s17
	v_add_co_u32_e64 v8, s[0:1], s16, v8
	v_addc_co_u32_e64 v9, s[0:1], v5, v9, s[0:1]
	global_load_dwordx2 v[8:9], v[8:9], off
	v_ashrrev_i32_e32 v7, 31, v6
	v_lshlrev_b64 v[10:11], 2, v[6:7]
	v_mov_b32_e32 v12, s15
	v_add_co_u32_e64 v10, s[0:1], s14, v10
	v_add_u32_e32 v5, s8, v0
	v_addc_co_u32_e64 v11, s[0:1], v12, v11, s[0:1]
	global_store_dword v[10:11], v5, off
	v_lshlrev_b64 v[10:11], 3, v[6:7]
	v_mov_b32_e32 v5, s7
	v_add_co_u32_e64 v10, s[0:1], s6, v10
	v_addc_co_u32_e64 v11, s[0:1], v5, v11, s[0:1]
	s_waitcnt vmcnt(1)
	global_store_dwordx2 v[10:11], v[8:9], off
.LBB82_9:                               ;   in Loop: Header=BB82_7 Depth=1
	s_or_b64 exec, exec, s[20:21]
	s_and_saveexec_b64 s[20:21], s[2:3]
	s_cbranch_execz .LBB82_6
; %bb.10:                               ;   in Loop: Header=BB82_7 Depth=1
	v_add3_u32 v5, v2, s24, 32
	v_add_u32_e32 v7, s24, v4
	v_cndmask_b32_e32 v8, v7, v5, vcc
	v_ashrrev_i32_e32 v9, 31, v8
	v_lshlrev_b64 v[8:9], 3, v[8:9]
	v_mov_b32_e32 v5, s17
	v_add_co_u32_e64 v8, s[0:1], s16, v8
	v_addc_co_u32_e64 v9, s[0:1], v5, v9, s[0:1]
	global_load_dwordx2 v[8:9], v[8:9], off
	v_add_u32_e32 v10, 32, v6
	v_ashrrev_i32_e32 v11, 31, v10
	v_lshlrev_b64 v[12:13], 2, v[10:11]
	v_mov_b32_e32 v7, s15
	v_add_co_u32_e64 v12, s[0:1], s14, v12
	v_add_u32_e32 v5, s8, v1
	v_addc_co_u32_e64 v13, s[0:1], v7, v13, s[0:1]
	v_lshlrev_b64 v[10:11], 3, v[10:11]
	global_store_dword v[12:13], v5, off
	v_mov_b32_e32 v5, s7
	v_add_co_u32_e64 v10, s[0:1], s6, v10
	v_addc_co_u32_e64 v11, s[0:1], v5, v11, s[0:1]
	s_waitcnt vmcnt(1)
	global_store_dwordx2 v[10:11], v[8:9], off
	s_branch .LBB82_6
.LBB82_11:
	s_endpgm
	.section	.rodata,"a",@progbits
	.p2align	6, 0x0
	.amdhsa_kernel _ZN9rocsparseL37gebsr2csr_block_per_row_33_128_kernelILi1024ELi32ELi64ELi32ELi32EdEEv20rocsparse_direction_ii21rocsparse_index_base_PKT4_PKiS7_iiS2_PS3_PiS9_
		.amdhsa_group_segment_fixed_size 0
		.amdhsa_private_segment_fixed_size 0
		.amdhsa_kernarg_size 80
		.amdhsa_user_sgpr_count 6
		.amdhsa_user_sgpr_private_segment_buffer 1
		.amdhsa_user_sgpr_dispatch_ptr 0
		.amdhsa_user_sgpr_queue_ptr 0
		.amdhsa_user_sgpr_kernarg_segment_ptr 1
		.amdhsa_user_sgpr_dispatch_id 0
		.amdhsa_user_sgpr_flat_scratch_init 0
		.amdhsa_user_sgpr_kernarg_preload_length 0
		.amdhsa_user_sgpr_kernarg_preload_offset 0
		.amdhsa_user_sgpr_private_segment_size 0
		.amdhsa_uses_dynamic_stack 0
		.amdhsa_system_sgpr_private_segment_wavefront_offset 0
		.amdhsa_system_sgpr_workgroup_id_x 1
		.amdhsa_system_sgpr_workgroup_id_y 0
		.amdhsa_system_sgpr_workgroup_id_z 0
		.amdhsa_system_sgpr_workgroup_info 0
		.amdhsa_system_vgpr_workitem_id 0
		.amdhsa_next_free_vgpr 14
		.amdhsa_next_free_sgpr 25
		.amdhsa_accum_offset 16
		.amdhsa_reserve_vcc 1
		.amdhsa_reserve_flat_scratch 0
		.amdhsa_float_round_mode_32 0
		.amdhsa_float_round_mode_16_64 0
		.amdhsa_float_denorm_mode_32 3
		.amdhsa_float_denorm_mode_16_64 3
		.amdhsa_dx10_clamp 1
		.amdhsa_ieee_mode 1
		.amdhsa_fp16_overflow 0
		.amdhsa_tg_split 0
		.amdhsa_exception_fp_ieee_invalid_op 0
		.amdhsa_exception_fp_denorm_src 0
		.amdhsa_exception_fp_ieee_div_zero 0
		.amdhsa_exception_fp_ieee_overflow 0
		.amdhsa_exception_fp_ieee_underflow 0
		.amdhsa_exception_fp_ieee_inexact 0
		.amdhsa_exception_int_div_zero 0
	.end_amdhsa_kernel
	.section	.text._ZN9rocsparseL37gebsr2csr_block_per_row_33_128_kernelILi1024ELi32ELi64ELi32ELi32EdEEv20rocsparse_direction_ii21rocsparse_index_base_PKT4_PKiS7_iiS2_PS3_PiS9_,"axG",@progbits,_ZN9rocsparseL37gebsr2csr_block_per_row_33_128_kernelILi1024ELi32ELi64ELi32ELi32EdEEv20rocsparse_direction_ii21rocsparse_index_base_PKT4_PKiS7_iiS2_PS3_PiS9_,comdat
.Lfunc_end82:
	.size	_ZN9rocsparseL37gebsr2csr_block_per_row_33_128_kernelILi1024ELi32ELi64ELi32ELi32EdEEv20rocsparse_direction_ii21rocsparse_index_base_PKT4_PKiS7_iiS2_PS3_PiS9_, .Lfunc_end82-_ZN9rocsparseL37gebsr2csr_block_per_row_33_128_kernelILi1024ELi32ELi64ELi32ELi32EdEEv20rocsparse_direction_ii21rocsparse_index_base_PKT4_PKiS7_iiS2_PS3_PiS9_
                                        ; -- End function
	.section	.AMDGPU.csdata,"",@progbits
; Kernel info:
; codeLenInByte = 752
; NumSgprs: 29
; NumVgprs: 14
; NumAgprs: 0
; TotalNumVgprs: 14
; ScratchSize: 0
; MemoryBound: 0
; FloatMode: 240
; IeeeMode: 1
; LDSByteSize: 0 bytes/workgroup (compile time only)
; SGPRBlocks: 3
; VGPRBlocks: 1
; NumSGPRsForWavesPerEU: 29
; NumVGPRsForWavesPerEU: 14
; AccumOffset: 16
; Occupancy: 8
; WaveLimiterHint : 1
; COMPUTE_PGM_RSRC2:SCRATCH_EN: 0
; COMPUTE_PGM_RSRC2:USER_SGPR: 6
; COMPUTE_PGM_RSRC2:TRAP_HANDLER: 0
; COMPUTE_PGM_RSRC2:TGID_X_EN: 1
; COMPUTE_PGM_RSRC2:TGID_Y_EN: 0
; COMPUTE_PGM_RSRC2:TGID_Z_EN: 0
; COMPUTE_PGM_RSRC2:TIDIG_COMP_CNT: 0
; COMPUTE_PGM_RSRC3_GFX90A:ACCUM_OFFSET: 3
; COMPUTE_PGM_RSRC3_GFX90A:TG_SPLIT: 0
	.section	.text._ZN9rocsparseL37gebsr2csr_block_per_row_33_128_kernelILi1024ELi32ELi128ELi32ELi32EdEEv20rocsparse_direction_ii21rocsparse_index_base_PKT4_PKiS7_iiS2_PS3_PiS9_,"axG",@progbits,_ZN9rocsparseL37gebsr2csr_block_per_row_33_128_kernelILi1024ELi32ELi128ELi32ELi32EdEEv20rocsparse_direction_ii21rocsparse_index_base_PKT4_PKiS7_iiS2_PS3_PiS9_,comdat
	.globl	_ZN9rocsparseL37gebsr2csr_block_per_row_33_128_kernelILi1024ELi32ELi128ELi32ELi32EdEEv20rocsparse_direction_ii21rocsparse_index_base_PKT4_PKiS7_iiS2_PS3_PiS9_ ; -- Begin function _ZN9rocsparseL37gebsr2csr_block_per_row_33_128_kernelILi1024ELi32ELi128ELi32ELi32EdEEv20rocsparse_direction_ii21rocsparse_index_base_PKT4_PKiS7_iiS2_PS3_PiS9_
	.p2align	8
	.type	_ZN9rocsparseL37gebsr2csr_block_per_row_33_128_kernelILi1024ELi32ELi128ELi32ELi32EdEEv20rocsparse_direction_ii21rocsparse_index_base_PKT4_PKiS7_iiS2_PS3_PiS9_,@function
_ZN9rocsparseL37gebsr2csr_block_per_row_33_128_kernelILi1024ELi32ELi128ELi32ELi32EdEEv20rocsparse_direction_ii21rocsparse_index_base_PKT4_PKiS7_iiS2_PS3_PiS9_: ; @_ZN9rocsparseL37gebsr2csr_block_per_row_33_128_kernelILi1024ELi32ELi128ELi32ELi32EdEEv20rocsparse_direction_ii21rocsparse_index_base_PKT4_PKiS7_iiS2_PS3_PiS9_
; %bb.0:
	s_load_dwordx2 s[0:1], s[4:5], 0x18
	s_load_dwordx4 s[8:11], s[4:5], 0x28
	s_load_dwordx2 s[2:3], s[4:5], 0x40
	s_ashr_i32 s7, s6, 31
	s_lshl_b64 s[12:13], s[6:7], 2
	s_waitcnt lgkmcnt(0)
	s_add_u32 s0, s0, s12
	s_addc_u32 s1, s1, s13
	s_load_dwordx2 s[14:15], s[0:1], 0x0
	v_or_b32_e32 v1, s6, v0
	v_cmp_eq_u32_e32 vcc, 0, v1
	s_and_saveexec_b64 s[0:1], vcc
	s_cbranch_execz .LBB83_2
; %bb.1:
	v_mov_b32_e32 v1, 0
	v_mov_b32_e32 v2, s10
	global_store_dword v1, v2, s[2:3]
.LBB83_2:
	s_or_b64 exec, exec, s[0:1]
	s_load_dword s11, s[4:5], 0xc
	v_lshrrev_b32_e32 v1, 5, v0
	v_cmp_gt_i32_e64 s[0:1], s8, v1
	s_mul_i32 s27, s9, s8
	s_waitcnt lgkmcnt(0)
	s_sub_i32 s12, s14, s11
	s_sub_i32 s26, s15, s11
	s_and_saveexec_b64 s[16:17], s[0:1]
	s_cbranch_execz .LBB83_4
; %bb.3:
	s_mul_i32 s7, s27, s12
	s_sub_i32 s13, s26, s12
	s_mul_i32 s13, s13, s9
	s_add_i32 s7, s7, s10
	v_mul_lo_u32 v2, s13, v1
	s_add_i32 s7, s7, s13
	s_mul_i32 s6, s6, s8
	v_add_u32_e32 v4, s7, v2
	v_add_u32_e32 v2, s6, v1
	v_ashrrev_i32_e32 v3, 31, v2
	v_lshlrev_b64 v[2:3], 2, v[2:3]
	v_mov_b32_e32 v5, s3
	v_add_co_u32_e32 v2, vcc, s2, v2
	v_addc_co_u32_e32 v3, vcc, v5, v3, vcc
	global_store_dword v[2:3], v4, off offset:4
.LBB83_4:
	s_or_b64 exec, exec, s[16:17]
	s_cmp_ge_i32 s14, s15
	s_cbranch_scc1 .LBB83_15
; %bb.5:
	s_load_dwordx2 s[22:23], s[4:5], 0x20
	s_load_dwordx2 s[6:7], s[4:5], 0x38
	;; [unrolled: 1-line block ×3, first 2 shown]
	s_load_dword s2, s[4:5], 0x0
	s_load_dwordx2 s[16:17], s[4:5], 0x48
	v_and_b32_e32 v0, 31, v0
	s_sub_i32 s3, s26, s12
	v_mul_lo_u32 v10, s3, v1
	s_waitcnt lgkmcnt(0)
	s_cmp_eq_u32 s2, 0
	v_cmp_gt_i32_e64 s[2:3], s9, v0
	v_or_b32_e32 v2, 32, v0
	s_cselect_b64 vcc, -1, 0
	s_and_b64 s[4:5], s[0:1], s[2:3]
	v_cmp_gt_i32_e64 s[2:3], s9, v2
	v_or_b32_e32 v3, 64, v0
	s_and_b64 s[18:19], s[0:1], s[2:3]
	v_cmp_gt_i32_e64 s[2:3], s9, v3
	v_or_b32_e32 v4, 0x60, v0
	s_and_b64 s[20:21], s[0:1], s[2:3]
	v_cmp_gt_i32_e64 s[2:3], s9, v4
	s_and_b64 s[2:3], s[0:1], s[2:3]
	s_mul_i32 s0, s8, s12
	s_mul_i32 s1, s9, s12
	s_ashr_i32 s13, s12, 31
	v_add_u32_e32 v5, s0, v1
	v_add_u32_e32 v9, s1, v0
	;; [unrolled: 1-line block ×3, first 2 shown]
	s_lshl_b64 s[0:1], s[12:13], 2
	v_add_u32_e32 v6, 0x60, v9
	v_add_u32_e32 v7, 64, v9
	;; [unrolled: 1-line block ×3, first 2 shown]
	s_add_u32 s22, s22, s0
	s_movk_i32 s28, 0x60
	v_mul_lo_u32 v5, s9, v5
	v_mul_lo_u32 v6, s8, v6
	;; [unrolled: 1-line block ×6, first 2 shown]
	s_addc_u32 s23, s23, s1
	s_branch .LBB83_7
.LBB83_6:                               ;   in Loop: Header=BB83_7 Depth=1
	s_or_b64 exec, exec, s[24:25]
	s_add_i32 s12, s12, 1
	s_add_u32 s22, s22, 4
	s_addc_u32 s23, s23, 0
	v_add_u32_e32 v5, s27, v5
	v_add_u32_e32 v1, s27, v1
	s_cmp_ge_i32 s12, s26
	v_add_u32_e32 v10, s9, v10
	s_cbranch_scc1 .LBB83_15
.LBB83_7:                               ; =>This Inner Loop Header: Depth=1
	s_load_dword s0, s[22:23], 0x0
	s_waitcnt lgkmcnt(0)
	s_sub_i32 s0, s0, s11
	s_mul_i32 s8, s0, s9
	s_add_i32 s8, s8, s10
	s_and_saveexec_b64 s[24:25], s[4:5]
	s_cbranch_execnz .LBB83_11
; %bb.8:                                ;   in Loop: Header=BB83_7 Depth=1
	s_or_b64 exec, exec, s[24:25]
	s_and_saveexec_b64 s[24:25], s[18:19]
	s_cbranch_execnz .LBB83_12
.LBB83_9:                               ;   in Loop: Header=BB83_7 Depth=1
	s_or_b64 exec, exec, s[24:25]
	s_and_saveexec_b64 s[24:25], s[20:21]
	s_cbranch_execnz .LBB83_13
.LBB83_10:                              ;   in Loop: Header=BB83_7 Depth=1
	s_or_b64 exec, exec, s[24:25]
	s_and_saveexec_b64 s[24:25], s[2:3]
	s_cbranch_execz .LBB83_6
	s_branch .LBB83_14
.LBB83_11:                              ;   in Loop: Header=BB83_7 Depth=1
	v_add_u32_e32 v11, v0, v5
	v_add_u32_e32 v12, v9, v1
	v_cndmask_b32_e32 v12, v12, v11, vcc
	v_ashrrev_i32_e32 v13, 31, v12
	v_lshlrev_b64 v[12:13], 3, v[12:13]
	v_mov_b32_e32 v11, s15
	v_add_co_u32_e64 v12, s[0:1], s14, v12
	v_addc_co_u32_e64 v13, s[0:1], v11, v13, s[0:1]
	global_load_dwordx2 v[12:13], v[12:13], off
	v_add_u32_e32 v14, v0, v10
	v_ashrrev_i32_e32 v15, 31, v14
	v_lshlrev_b64 v[16:17], 2, v[14:15]
	v_mov_b32_e32 v18, s17
	v_add_co_u32_e64 v16, s[0:1], s16, v16
	v_add_u32_e32 v11, s8, v0
	v_addc_co_u32_e64 v17, s[0:1], v18, v17, s[0:1]
	v_lshlrev_b64 v[14:15], 3, v[14:15]
	global_store_dword v[16:17], v11, off
	v_mov_b32_e32 v11, s7
	v_add_co_u32_e64 v14, s[0:1], s6, v14
	v_addc_co_u32_e64 v15, s[0:1], v11, v15, s[0:1]
	s_waitcnt vmcnt(1)
	global_store_dwordx2 v[14:15], v[12:13], off
	s_or_b64 exec, exec, s[24:25]
	s_and_saveexec_b64 s[24:25], s[18:19]
	s_cbranch_execz .LBB83_9
.LBB83_12:                              ;   in Loop: Header=BB83_7 Depth=1
	v_add3_u32 v11, v0, v5, 32
	v_add_u32_e32 v12, v8, v1
	v_cndmask_b32_e32 v12, v12, v11, vcc
	v_ashrrev_i32_e32 v13, 31, v12
	v_lshlrev_b64 v[12:13], 3, v[12:13]
	v_mov_b32_e32 v11, s15
	v_add_co_u32_e64 v12, s[0:1], s14, v12
	v_addc_co_u32_e64 v13, s[0:1], v11, v13, s[0:1]
	global_load_dwordx2 v[12:13], v[12:13], off
	v_add3_u32 v14, v0, v10, 32
	v_ashrrev_i32_e32 v15, 31, v14
	v_lshlrev_b64 v[16:17], 2, v[14:15]
	v_mov_b32_e32 v18, s17
	v_add_co_u32_e64 v16, s[0:1], s16, v16
	v_add_u32_e32 v11, s8, v2
	v_addc_co_u32_e64 v17, s[0:1], v18, v17, s[0:1]
	v_lshlrev_b64 v[14:15], 3, v[14:15]
	global_store_dword v[16:17], v11, off
	v_mov_b32_e32 v11, s7
	v_add_co_u32_e64 v14, s[0:1], s6, v14
	v_addc_co_u32_e64 v15, s[0:1], v11, v15, s[0:1]
	s_waitcnt vmcnt(1)
	global_store_dwordx2 v[14:15], v[12:13], off
	s_or_b64 exec, exec, s[24:25]
	s_and_saveexec_b64 s[24:25], s[20:21]
	s_cbranch_execz .LBB83_10
.LBB83_13:                              ;   in Loop: Header=BB83_7 Depth=1
	v_add3_u32 v11, v0, v5, 64
	v_add_u32_e32 v12, v7, v1
	v_cndmask_b32_e32 v12, v12, v11, vcc
	v_ashrrev_i32_e32 v13, 31, v12
	v_lshlrev_b64 v[12:13], 3, v[12:13]
	v_mov_b32_e32 v11, s15
	v_add_co_u32_e64 v12, s[0:1], s14, v12
	v_addc_co_u32_e64 v13, s[0:1], v11, v13, s[0:1]
	global_load_dwordx2 v[12:13], v[12:13], off
	v_add3_u32 v14, v0, v10, 64
	v_ashrrev_i32_e32 v15, 31, v14
	v_lshlrev_b64 v[16:17], 2, v[14:15]
	v_mov_b32_e32 v18, s17
	v_add_co_u32_e64 v16, s[0:1], s16, v16
	v_add_u32_e32 v11, s8, v3
	v_addc_co_u32_e64 v17, s[0:1], v18, v17, s[0:1]
	v_lshlrev_b64 v[14:15], 3, v[14:15]
	global_store_dword v[16:17], v11, off
	v_mov_b32_e32 v11, s7
	v_add_co_u32_e64 v14, s[0:1], s6, v14
	v_addc_co_u32_e64 v15, s[0:1], v11, v15, s[0:1]
	s_waitcnt vmcnt(1)
	global_store_dwordx2 v[14:15], v[12:13], off
	s_or_b64 exec, exec, s[24:25]
	s_and_saveexec_b64 s[24:25], s[2:3]
	s_cbranch_execz .LBB83_6
.LBB83_14:                              ;   in Loop: Header=BB83_7 Depth=1
	v_add3_u32 v11, v0, v5, s28
	v_add_u32_e32 v12, v6, v1
	v_cndmask_b32_e32 v12, v12, v11, vcc
	v_ashrrev_i32_e32 v13, 31, v12
	v_lshlrev_b64 v[12:13], 3, v[12:13]
	v_mov_b32_e32 v11, s15
	v_add_co_u32_e64 v12, s[0:1], s14, v12
	v_addc_co_u32_e64 v13, s[0:1], v11, v13, s[0:1]
	global_load_dwordx2 v[12:13], v[12:13], off
	v_add3_u32 v14, v0, v10, s28
	v_ashrrev_i32_e32 v15, 31, v14
	v_lshlrev_b64 v[16:17], 2, v[14:15]
	v_mov_b32_e32 v18, s17
	v_add_co_u32_e64 v16, s[0:1], s16, v16
	v_add_u32_e32 v11, s8, v4
	v_addc_co_u32_e64 v17, s[0:1], v18, v17, s[0:1]
	v_lshlrev_b64 v[14:15], 3, v[14:15]
	global_store_dword v[16:17], v11, off
	v_mov_b32_e32 v11, s7
	v_add_co_u32_e64 v14, s[0:1], s6, v14
	v_addc_co_u32_e64 v15, s[0:1], v11, v15, s[0:1]
	s_waitcnt vmcnt(1)
	global_store_dwordx2 v[14:15], v[12:13], off
	s_branch .LBB83_6
.LBB83_15:
	s_endpgm
	.section	.rodata,"a",@progbits
	.p2align	6, 0x0
	.amdhsa_kernel _ZN9rocsparseL37gebsr2csr_block_per_row_33_128_kernelILi1024ELi32ELi128ELi32ELi32EdEEv20rocsparse_direction_ii21rocsparse_index_base_PKT4_PKiS7_iiS2_PS3_PiS9_
		.amdhsa_group_segment_fixed_size 0
		.amdhsa_private_segment_fixed_size 0
		.amdhsa_kernarg_size 80
		.amdhsa_user_sgpr_count 6
		.amdhsa_user_sgpr_private_segment_buffer 1
		.amdhsa_user_sgpr_dispatch_ptr 0
		.amdhsa_user_sgpr_queue_ptr 0
		.amdhsa_user_sgpr_kernarg_segment_ptr 1
		.amdhsa_user_sgpr_dispatch_id 0
		.amdhsa_user_sgpr_flat_scratch_init 0
		.amdhsa_user_sgpr_kernarg_preload_length 0
		.amdhsa_user_sgpr_kernarg_preload_offset 0
		.amdhsa_user_sgpr_private_segment_size 0
		.amdhsa_uses_dynamic_stack 0
		.amdhsa_system_sgpr_private_segment_wavefront_offset 0
		.amdhsa_system_sgpr_workgroup_id_x 1
		.amdhsa_system_sgpr_workgroup_id_y 0
		.amdhsa_system_sgpr_workgroup_id_z 0
		.amdhsa_system_sgpr_workgroup_info 0
		.amdhsa_system_vgpr_workitem_id 0
		.amdhsa_next_free_vgpr 19
		.amdhsa_next_free_sgpr 29
		.amdhsa_accum_offset 20
		.amdhsa_reserve_vcc 1
		.amdhsa_reserve_flat_scratch 0
		.amdhsa_float_round_mode_32 0
		.amdhsa_float_round_mode_16_64 0
		.amdhsa_float_denorm_mode_32 3
		.amdhsa_float_denorm_mode_16_64 3
		.amdhsa_dx10_clamp 1
		.amdhsa_ieee_mode 1
		.amdhsa_fp16_overflow 0
		.amdhsa_tg_split 0
		.amdhsa_exception_fp_ieee_invalid_op 0
		.amdhsa_exception_fp_denorm_src 0
		.amdhsa_exception_fp_ieee_div_zero 0
		.amdhsa_exception_fp_ieee_overflow 0
		.amdhsa_exception_fp_ieee_underflow 0
		.amdhsa_exception_fp_ieee_inexact 0
		.amdhsa_exception_int_div_zero 0
	.end_amdhsa_kernel
	.section	.text._ZN9rocsparseL37gebsr2csr_block_per_row_33_128_kernelILi1024ELi32ELi128ELi32ELi32EdEEv20rocsparse_direction_ii21rocsparse_index_base_PKT4_PKiS7_iiS2_PS3_PiS9_,"axG",@progbits,_ZN9rocsparseL37gebsr2csr_block_per_row_33_128_kernelILi1024ELi32ELi128ELi32ELi32EdEEv20rocsparse_direction_ii21rocsparse_index_base_PKT4_PKiS7_iiS2_PS3_PiS9_,comdat
.Lfunc_end83:
	.size	_ZN9rocsparseL37gebsr2csr_block_per_row_33_128_kernelILi1024ELi32ELi128ELi32ELi32EdEEv20rocsparse_direction_ii21rocsparse_index_base_PKT4_PKiS7_iiS2_PS3_PiS9_, .Lfunc_end83-_ZN9rocsparseL37gebsr2csr_block_per_row_33_128_kernelILi1024ELi32ELi128ELi32ELi32EdEEv20rocsparse_direction_ii21rocsparse_index_base_PKT4_PKiS7_iiS2_PS3_PiS9_
                                        ; -- End function
	.section	.AMDGPU.csdata,"",@progbits
; Kernel info:
; codeLenInByte = 1192
; NumSgprs: 33
; NumVgprs: 19
; NumAgprs: 0
; TotalNumVgprs: 19
; ScratchSize: 0
; MemoryBound: 0
; FloatMode: 240
; IeeeMode: 1
; LDSByteSize: 0 bytes/workgroup (compile time only)
; SGPRBlocks: 4
; VGPRBlocks: 2
; NumSGPRsForWavesPerEU: 33
; NumVGPRsForWavesPerEU: 19
; AccumOffset: 20
; Occupancy: 8
; WaveLimiterHint : 1
; COMPUTE_PGM_RSRC2:SCRATCH_EN: 0
; COMPUTE_PGM_RSRC2:USER_SGPR: 6
; COMPUTE_PGM_RSRC2:TRAP_HANDLER: 0
; COMPUTE_PGM_RSRC2:TGID_X_EN: 1
; COMPUTE_PGM_RSRC2:TGID_Y_EN: 0
; COMPUTE_PGM_RSRC2:TGID_Z_EN: 0
; COMPUTE_PGM_RSRC2:TIDIG_COMP_CNT: 0
; COMPUTE_PGM_RSRC3_GFX90A:ACCUM_OFFSET: 4
; COMPUTE_PGM_RSRC3_GFX90A:TG_SPLIT: 0
	.section	.text._ZN9rocsparseL37gebsr2csr_block_per_row_33_128_kernelILi1024ELi64ELi2ELi32ELi2EdEEv20rocsparse_direction_ii21rocsparse_index_base_PKT4_PKiS7_iiS2_PS3_PiS9_,"axG",@progbits,_ZN9rocsparseL37gebsr2csr_block_per_row_33_128_kernelILi1024ELi64ELi2ELi32ELi2EdEEv20rocsparse_direction_ii21rocsparse_index_base_PKT4_PKiS7_iiS2_PS3_PiS9_,comdat
	.globl	_ZN9rocsparseL37gebsr2csr_block_per_row_33_128_kernelILi1024ELi64ELi2ELi32ELi2EdEEv20rocsparse_direction_ii21rocsparse_index_base_PKT4_PKiS7_iiS2_PS3_PiS9_ ; -- Begin function _ZN9rocsparseL37gebsr2csr_block_per_row_33_128_kernelILi1024ELi64ELi2ELi32ELi2EdEEv20rocsparse_direction_ii21rocsparse_index_base_PKT4_PKiS7_iiS2_PS3_PiS9_
	.p2align	8
	.type	_ZN9rocsparseL37gebsr2csr_block_per_row_33_128_kernelILi1024ELi64ELi2ELi32ELi2EdEEv20rocsparse_direction_ii21rocsparse_index_base_PKT4_PKiS7_iiS2_PS3_PiS9_,@function
_ZN9rocsparseL37gebsr2csr_block_per_row_33_128_kernelILi1024ELi64ELi2ELi32ELi2EdEEv20rocsparse_direction_ii21rocsparse_index_base_PKT4_PKiS7_iiS2_PS3_PiS9_: ; @_ZN9rocsparseL37gebsr2csr_block_per_row_33_128_kernelILi1024ELi64ELi2ELi32ELi2EdEEv20rocsparse_direction_ii21rocsparse_index_base_PKT4_PKiS7_iiS2_PS3_PiS9_
; %bb.0:
	s_load_dwordx2 s[0:1], s[4:5], 0x18
	s_load_dwordx4 s[8:11], s[4:5], 0x28
	s_load_dwordx2 s[14:15], s[4:5], 0x40
	s_ashr_i32 s7, s6, 31
	s_lshl_b64 s[2:3], s[6:7], 2
	s_waitcnt lgkmcnt(0)
	s_add_u32 s0, s0, s2
	s_addc_u32 s1, s1, s3
	s_load_dwordx2 s[18:19], s[0:1], 0x0
	v_or_b32_e32 v1, s6, v0
	v_cmp_eq_u32_e32 vcc, 0, v1
	s_and_saveexec_b64 s[0:1], vcc
	s_cbranch_execz .LBB84_2
; %bb.1:
	v_mov_b32_e32 v1, 0
	v_mov_b32_e32 v2, s10
	global_store_dword v1, v2, s[14:15]
.LBB84_2:
	s_or_b64 exec, exec, s[0:1]
	s_load_dword s20, s[4:5], 0xc
	v_lshrrev_b32_e32 v4, 1, v0
	s_mul_i32 s16, s6, s8
	s_waitcnt lgkmcnt(0)
	s_sub_i32 s12, s18, s20
	s_sub_i32 s21, s19, s20
	s_mul_i32 s11, s12, s9
	s_sub_i32 s13, s21, s12
	s_mul_i32 s0, s11, s8
	s_mul_i32 s17, s13, s9
	s_add_i32 s22, s0, s10
	s_add_i32 s22, s22, s17
	v_cmp_gt_i32_e64 s[0:1], s8, v4
	s_and_saveexec_b64 s[2:3], s[0:1]
	s_cbranch_execz .LBB84_4
; %bb.3:
	v_add_u32_e32 v2, s16, v4
	v_ashrrev_i32_e32 v3, 31, v2
	v_lshlrev_b64 v[2:3], 2, v[2:3]
	v_mul_lo_u32 v1, v4, s17
	v_mov_b32_e32 v5, s15
	v_add_co_u32_e32 v2, vcc, s14, v2
	v_add_u32_e32 v1, s22, v1
	v_addc_co_u32_e32 v3, vcc, v5, v3, vcc
	global_store_dword v[2:3], v1, off offset:4
.LBB84_4:
	s_or_b64 exec, exec, s[2:3]
	v_add_u32_e32 v1, 32, v4
	v_cmp_gt_i32_e64 s[2:3], s8, v1
	s_and_saveexec_b64 s[6:7], s[2:3]
	s_cbranch_execz .LBB84_6
; %bb.5:
	s_add_u32 s14, s14, 4
	s_addc_u32 s15, s15, 0
	v_mul_lo_u32 v1, v1, s17
	s_ashr_i32 s17, s16, 31
	v_mov_b32_e32 v3, s17
	v_add_co_u32_e32 v2, vcc, s16, v4
	v_addc_co_u32_e32 v3, vcc, 0, v3, vcc
	v_lshlrev_b64 v[2:3], 2, v[2:3]
	v_mov_b32_e32 v5, s15
	v_add_co_u32_e32 v2, vcc, s14, v2
	v_add_u32_e32 v1, s22, v1
	v_addc_co_u32_e32 v3, vcc, v5, v3, vcc
	global_store_dword v[2:3], v1, off offset:128
.LBB84_6:
	s_or_b64 exec, exec, s[6:7]
	s_cmp_lt_i32 s18, s19
	s_cbranch_scc0 .LBB84_13
; %bb.7:
	s_load_dwordx2 s[24:25], s[4:5], 0x20
	s_load_dwordx2 s[6:7], s[4:5], 0x38
	;; [unrolled: 1-line block ×4, first 2 shown]
	s_load_dword s26, s[4:5], 0x0
	v_and_b32_e32 v0, 1, v0
	s_mul_i32 s28, s8, s12
	v_add_u32_e32 v5, s28, v4
	v_add_u32_e32 v2, s11, v0
	;; [unrolled: 1-line block ×3, first 2 shown]
	v_mad_u64_u32 v[2:3], s[10:11], s8, v2, v[4:5]
	v_cmp_gt_i32_e64 s[4:5], s9, v0
	s_waitcnt lgkmcnt(0)
	s_cmp_eq_u32 s26, 0
	v_mul_lo_u32 v3, v4, s13
	v_add_u32_e32 v4, 32, v5
	v_mad_u64_u32 v[6:7], s[26:27], s9, v5, v[0:1]
	s_cselect_b64 vcc, -1, 0
	s_and_b64 s[10:11], s[4:5], s[0:1]
	v_mad_u64_u32 v[4:5], s[0:1], s9, v4, v[0:1]
	v_add_u32_e32 v5, s28, v3
	v_lshl_add_u32 v3, s19, 5, v5
	s_lshl_b32 s0, s18, 5
	s_ashr_i32 s13, s12, 31
	s_and_b64 s[2:3], s[4:5], s[2:3]
	v_subrev_u32_e32 v3, s0, v3
	s_lshl_b64 s[0:1], s[12:13], 2
	s_add_u32 s4, s24, s0
	s_mul_i32 s22, s9, s8
	s_mov_b32 s23, 0
	v_mul_lo_u32 v3, s9, v3
	v_mul_lo_u32 v5, s9, v5
	s_addc_u32 s5, s25, s1
	v_cndmask_b32_e32 v6, v2, v6, vcc
	s_branch .LBB84_9
.LBB84_8:                               ;   in Loop: Header=BB84_9 Depth=1
	s_or_b64 exec, exec, s[18:19]
	s_add_i32 s12, s12, 1
	s_add_i32 s23, s23, s22
	s_add_u32 s4, s4, 4
	s_addc_u32 s5, s5, 0
	s_cmp_ge_i32 s12, s21
	v_add_u32_e32 v0, s9, v0
	s_cbranch_scc1 .LBB84_13
.LBB84_9:                               ; =>This Inner Loop Header: Depth=1
	s_load_dword s0, s[4:5], 0x0
	s_waitcnt lgkmcnt(0)
	s_sub_i32 s0, s0, s20
	s_mul_i32 s0, s0, s9
	v_add_u32_e32 v7, s0, v1
	s_and_saveexec_b64 s[18:19], s[10:11]
	s_cbranch_execz .LBB84_11
; %bb.10:                               ;   in Loop: Header=BB84_9 Depth=1
	v_add_u32_e32 v8, s23, v6
	v_ashrrev_i32_e32 v9, 31, v8
	v_lshlrev_b64 v[8:9], 3, v[8:9]
	v_mov_b32_e32 v10, s17
	v_add_co_u32_e64 v8, s[0:1], s16, v8
	v_addc_co_u32_e64 v9, s[0:1], v10, v9, s[0:1]
	global_load_dwordx2 v[8:9], v[8:9], off
	v_add_u32_e32 v10, v5, v0
	v_ashrrev_i32_e32 v11, 31, v10
	v_lshlrev_b64 v[12:13], 2, v[10:11]
	v_mov_b32_e32 v14, s15
	v_add_co_u32_e64 v12, s[0:1], s14, v12
	v_addc_co_u32_e64 v13, s[0:1], v14, v13, s[0:1]
	v_lshlrev_b64 v[10:11], 3, v[10:11]
	global_store_dword v[12:13], v7, off
	v_mov_b32_e32 v12, s7
	v_add_co_u32_e64 v10, s[0:1], s6, v10
	v_addc_co_u32_e64 v11, s[0:1], v12, v11, s[0:1]
	s_waitcnt vmcnt(1)
	global_store_dwordx2 v[10:11], v[8:9], off
.LBB84_11:                              ;   in Loop: Header=BB84_9 Depth=1
	s_or_b64 exec, exec, s[18:19]
	s_and_saveexec_b64 s[18:19], s[2:3]
	s_cbranch_execz .LBB84_8
; %bb.12:                               ;   in Loop: Header=BB84_9 Depth=1
	v_add_u32_e32 v8, s23, v4
	v_add3_u32 v9, v2, s23, 32
	v_cndmask_b32_e32 v8, v9, v8, vcc
	v_ashrrev_i32_e32 v9, 31, v8
	v_lshlrev_b64 v[8:9], 3, v[8:9]
	v_mov_b32_e32 v10, s17
	v_add_co_u32_e64 v8, s[0:1], s16, v8
	v_addc_co_u32_e64 v9, s[0:1], v10, v9, s[0:1]
	global_load_dwordx2 v[8:9], v[8:9], off
	v_add_u32_e32 v10, v3, v0
	v_ashrrev_i32_e32 v11, 31, v10
	v_lshlrev_b64 v[12:13], 2, v[10:11]
	v_mov_b32_e32 v14, s15
	v_add_co_u32_e64 v12, s[0:1], s14, v12
	v_addc_co_u32_e64 v13, s[0:1], v14, v13, s[0:1]
	v_lshlrev_b64 v[10:11], 3, v[10:11]
	global_store_dword v[12:13], v7, off
	v_mov_b32_e32 v7, s7
	v_add_co_u32_e64 v10, s[0:1], s6, v10
	v_addc_co_u32_e64 v11, s[0:1], v7, v11, s[0:1]
	s_waitcnt vmcnt(1)
	global_store_dwordx2 v[10:11], v[8:9], off
	s_branch .LBB84_8
.LBB84_13:
	s_endpgm
	.section	.rodata,"a",@progbits
	.p2align	6, 0x0
	.amdhsa_kernel _ZN9rocsparseL37gebsr2csr_block_per_row_33_128_kernelILi1024ELi64ELi2ELi32ELi2EdEEv20rocsparse_direction_ii21rocsparse_index_base_PKT4_PKiS7_iiS2_PS3_PiS9_
		.amdhsa_group_segment_fixed_size 0
		.amdhsa_private_segment_fixed_size 0
		.amdhsa_kernarg_size 80
		.amdhsa_user_sgpr_count 6
		.amdhsa_user_sgpr_private_segment_buffer 1
		.amdhsa_user_sgpr_dispatch_ptr 0
		.amdhsa_user_sgpr_queue_ptr 0
		.amdhsa_user_sgpr_kernarg_segment_ptr 1
		.amdhsa_user_sgpr_dispatch_id 0
		.amdhsa_user_sgpr_flat_scratch_init 0
		.amdhsa_user_sgpr_kernarg_preload_length 0
		.amdhsa_user_sgpr_kernarg_preload_offset 0
		.amdhsa_user_sgpr_private_segment_size 0
		.amdhsa_uses_dynamic_stack 0
		.amdhsa_system_sgpr_private_segment_wavefront_offset 0
		.amdhsa_system_sgpr_workgroup_id_x 1
		.amdhsa_system_sgpr_workgroup_id_y 0
		.amdhsa_system_sgpr_workgroup_id_z 0
		.amdhsa_system_sgpr_workgroup_info 0
		.amdhsa_system_vgpr_workitem_id 0
		.amdhsa_next_free_vgpr 15
		.amdhsa_next_free_sgpr 29
		.amdhsa_accum_offset 16
		.amdhsa_reserve_vcc 1
		.amdhsa_reserve_flat_scratch 0
		.amdhsa_float_round_mode_32 0
		.amdhsa_float_round_mode_16_64 0
		.amdhsa_float_denorm_mode_32 3
		.amdhsa_float_denorm_mode_16_64 3
		.amdhsa_dx10_clamp 1
		.amdhsa_ieee_mode 1
		.amdhsa_fp16_overflow 0
		.amdhsa_tg_split 0
		.amdhsa_exception_fp_ieee_invalid_op 0
		.amdhsa_exception_fp_denorm_src 0
		.amdhsa_exception_fp_ieee_div_zero 0
		.amdhsa_exception_fp_ieee_overflow 0
		.amdhsa_exception_fp_ieee_underflow 0
		.amdhsa_exception_fp_ieee_inexact 0
		.amdhsa_exception_int_div_zero 0
	.end_amdhsa_kernel
	.section	.text._ZN9rocsparseL37gebsr2csr_block_per_row_33_128_kernelILi1024ELi64ELi2ELi32ELi2EdEEv20rocsparse_direction_ii21rocsparse_index_base_PKT4_PKiS7_iiS2_PS3_PiS9_,"axG",@progbits,_ZN9rocsparseL37gebsr2csr_block_per_row_33_128_kernelILi1024ELi64ELi2ELi32ELi2EdEEv20rocsparse_direction_ii21rocsparse_index_base_PKT4_PKiS7_iiS2_PS3_PiS9_,comdat
.Lfunc_end84:
	.size	_ZN9rocsparseL37gebsr2csr_block_per_row_33_128_kernelILi1024ELi64ELi2ELi32ELi2EdEEv20rocsparse_direction_ii21rocsparse_index_base_PKT4_PKiS7_iiS2_PS3_PiS9_, .Lfunc_end84-_ZN9rocsparseL37gebsr2csr_block_per_row_33_128_kernelILi1024ELi64ELi2ELi32ELi2EdEEv20rocsparse_direction_ii21rocsparse_index_base_PKT4_PKiS7_iiS2_PS3_PiS9_
                                        ; -- End function
	.section	.AMDGPU.csdata,"",@progbits
; Kernel info:
; codeLenInByte = 848
; NumSgprs: 33
; NumVgprs: 15
; NumAgprs: 0
; TotalNumVgprs: 15
; ScratchSize: 0
; MemoryBound: 0
; FloatMode: 240
; IeeeMode: 1
; LDSByteSize: 0 bytes/workgroup (compile time only)
; SGPRBlocks: 4
; VGPRBlocks: 1
; NumSGPRsForWavesPerEU: 33
; NumVGPRsForWavesPerEU: 15
; AccumOffset: 16
; Occupancy: 8
; WaveLimiterHint : 1
; COMPUTE_PGM_RSRC2:SCRATCH_EN: 0
; COMPUTE_PGM_RSRC2:USER_SGPR: 6
; COMPUTE_PGM_RSRC2:TRAP_HANDLER: 0
; COMPUTE_PGM_RSRC2:TGID_X_EN: 1
; COMPUTE_PGM_RSRC2:TGID_Y_EN: 0
; COMPUTE_PGM_RSRC2:TGID_Z_EN: 0
; COMPUTE_PGM_RSRC2:TIDIG_COMP_CNT: 0
; COMPUTE_PGM_RSRC3_GFX90A:ACCUM_OFFSET: 3
; COMPUTE_PGM_RSRC3_GFX90A:TG_SPLIT: 0
	.section	.text._ZN9rocsparseL37gebsr2csr_block_per_row_33_128_kernelILi1024ELi64ELi4ELi32ELi4EdEEv20rocsparse_direction_ii21rocsparse_index_base_PKT4_PKiS7_iiS2_PS3_PiS9_,"axG",@progbits,_ZN9rocsparseL37gebsr2csr_block_per_row_33_128_kernelILi1024ELi64ELi4ELi32ELi4EdEEv20rocsparse_direction_ii21rocsparse_index_base_PKT4_PKiS7_iiS2_PS3_PiS9_,comdat
	.globl	_ZN9rocsparseL37gebsr2csr_block_per_row_33_128_kernelILi1024ELi64ELi4ELi32ELi4EdEEv20rocsparse_direction_ii21rocsparse_index_base_PKT4_PKiS7_iiS2_PS3_PiS9_ ; -- Begin function _ZN9rocsparseL37gebsr2csr_block_per_row_33_128_kernelILi1024ELi64ELi4ELi32ELi4EdEEv20rocsparse_direction_ii21rocsparse_index_base_PKT4_PKiS7_iiS2_PS3_PiS9_
	.p2align	8
	.type	_ZN9rocsparseL37gebsr2csr_block_per_row_33_128_kernelILi1024ELi64ELi4ELi32ELi4EdEEv20rocsparse_direction_ii21rocsparse_index_base_PKT4_PKiS7_iiS2_PS3_PiS9_,@function
_ZN9rocsparseL37gebsr2csr_block_per_row_33_128_kernelILi1024ELi64ELi4ELi32ELi4EdEEv20rocsparse_direction_ii21rocsparse_index_base_PKT4_PKiS7_iiS2_PS3_PiS9_: ; @_ZN9rocsparseL37gebsr2csr_block_per_row_33_128_kernelILi1024ELi64ELi4ELi32ELi4EdEEv20rocsparse_direction_ii21rocsparse_index_base_PKT4_PKiS7_iiS2_PS3_PiS9_
; %bb.0:
	s_load_dwordx2 s[0:1], s[4:5], 0x18
	s_load_dwordx4 s[8:11], s[4:5], 0x28
	s_load_dwordx2 s[14:15], s[4:5], 0x40
	s_ashr_i32 s7, s6, 31
	s_lshl_b64 s[2:3], s[6:7], 2
	s_waitcnt lgkmcnt(0)
	s_add_u32 s0, s0, s2
	s_addc_u32 s1, s1, s3
	s_load_dwordx2 s[18:19], s[0:1], 0x0
	v_or_b32_e32 v1, s6, v0
	v_cmp_eq_u32_e32 vcc, 0, v1
	s_and_saveexec_b64 s[0:1], vcc
	s_cbranch_execz .LBB85_2
; %bb.1:
	v_mov_b32_e32 v1, 0
	v_mov_b32_e32 v2, s10
	global_store_dword v1, v2, s[14:15]
.LBB85_2:
	s_or_b64 exec, exec, s[0:1]
	s_load_dword s20, s[4:5], 0xc
	v_lshrrev_b32_e32 v4, 2, v0
	s_mul_i32 s16, s6, s8
	s_waitcnt lgkmcnt(0)
	s_sub_i32 s12, s18, s20
	s_sub_i32 s21, s19, s20
	s_mul_i32 s11, s12, s9
	s_sub_i32 s13, s21, s12
	s_mul_i32 s0, s11, s8
	s_mul_i32 s17, s13, s9
	s_add_i32 s22, s0, s10
	s_add_i32 s22, s22, s17
	v_cmp_gt_i32_e64 s[0:1], s8, v4
	s_and_saveexec_b64 s[2:3], s[0:1]
	s_cbranch_execz .LBB85_4
; %bb.3:
	v_add_u32_e32 v2, s16, v4
	v_ashrrev_i32_e32 v3, 31, v2
	v_lshlrev_b64 v[2:3], 2, v[2:3]
	v_mul_lo_u32 v1, v4, s17
	v_mov_b32_e32 v5, s15
	v_add_co_u32_e32 v2, vcc, s14, v2
	v_add_u32_e32 v1, s22, v1
	v_addc_co_u32_e32 v3, vcc, v5, v3, vcc
	global_store_dword v[2:3], v1, off offset:4
.LBB85_4:
	s_or_b64 exec, exec, s[2:3]
	v_add_u32_e32 v1, 32, v4
	v_cmp_gt_i32_e64 s[2:3], s8, v1
	s_and_saveexec_b64 s[6:7], s[2:3]
	s_cbranch_execz .LBB85_6
; %bb.5:
	s_add_u32 s14, s14, 4
	s_addc_u32 s15, s15, 0
	v_mul_lo_u32 v1, v1, s17
	s_ashr_i32 s17, s16, 31
	v_mov_b32_e32 v3, s17
	v_add_co_u32_e32 v2, vcc, s16, v4
	v_addc_co_u32_e32 v3, vcc, 0, v3, vcc
	v_lshlrev_b64 v[2:3], 2, v[2:3]
	v_mov_b32_e32 v5, s15
	v_add_co_u32_e32 v2, vcc, s14, v2
	v_add_u32_e32 v1, s22, v1
	v_addc_co_u32_e32 v3, vcc, v5, v3, vcc
	global_store_dword v[2:3], v1, off offset:128
.LBB85_6:
	s_or_b64 exec, exec, s[6:7]
	s_cmp_lt_i32 s18, s19
	s_cbranch_scc0 .LBB85_13
; %bb.7:
	s_load_dwordx2 s[24:25], s[4:5], 0x20
	s_load_dwordx2 s[6:7], s[4:5], 0x38
	;; [unrolled: 1-line block ×4, first 2 shown]
	s_load_dword s26, s[4:5], 0x0
	v_and_b32_e32 v0, 3, v0
	s_mul_i32 s28, s8, s12
	v_add_u32_e32 v5, s28, v4
	v_add_u32_e32 v2, s11, v0
	v_add_u32_e32 v1, s10, v0
	v_mad_u64_u32 v[2:3], s[10:11], s8, v2, v[4:5]
	v_cmp_gt_i32_e64 s[4:5], s9, v0
	s_waitcnt lgkmcnt(0)
	s_cmp_eq_u32 s26, 0
	v_mul_lo_u32 v3, v4, s13
	v_add_u32_e32 v4, 32, v5
	v_mad_u64_u32 v[6:7], s[26:27], s9, v5, v[0:1]
	s_cselect_b64 vcc, -1, 0
	s_and_b64 s[10:11], s[4:5], s[0:1]
	v_mad_u64_u32 v[4:5], s[0:1], s9, v4, v[0:1]
	v_add_u32_e32 v5, s28, v3
	v_lshl_add_u32 v3, s19, 5, v5
	s_lshl_b32 s0, s18, 5
	s_ashr_i32 s13, s12, 31
	s_and_b64 s[2:3], s[4:5], s[2:3]
	v_subrev_u32_e32 v3, s0, v3
	s_lshl_b64 s[0:1], s[12:13], 2
	s_add_u32 s4, s24, s0
	s_mul_i32 s22, s9, s8
	s_mov_b32 s23, 0
	v_mul_lo_u32 v3, s9, v3
	v_mul_lo_u32 v5, s9, v5
	s_addc_u32 s5, s25, s1
	v_cndmask_b32_e32 v6, v2, v6, vcc
	s_branch .LBB85_9
.LBB85_8:                               ;   in Loop: Header=BB85_9 Depth=1
	s_or_b64 exec, exec, s[18:19]
	s_add_i32 s12, s12, 1
	s_add_i32 s23, s23, s22
	s_add_u32 s4, s4, 4
	s_addc_u32 s5, s5, 0
	s_cmp_ge_i32 s12, s21
	v_add_u32_e32 v0, s9, v0
	s_cbranch_scc1 .LBB85_13
.LBB85_9:                               ; =>This Inner Loop Header: Depth=1
	s_load_dword s0, s[4:5], 0x0
	s_waitcnt lgkmcnt(0)
	s_sub_i32 s0, s0, s20
	s_mul_i32 s0, s0, s9
	v_add_u32_e32 v7, s0, v1
	s_and_saveexec_b64 s[18:19], s[10:11]
	s_cbranch_execz .LBB85_11
; %bb.10:                               ;   in Loop: Header=BB85_9 Depth=1
	v_add_u32_e32 v8, s23, v6
	v_ashrrev_i32_e32 v9, 31, v8
	v_lshlrev_b64 v[8:9], 3, v[8:9]
	v_mov_b32_e32 v10, s17
	v_add_co_u32_e64 v8, s[0:1], s16, v8
	v_addc_co_u32_e64 v9, s[0:1], v10, v9, s[0:1]
	global_load_dwordx2 v[8:9], v[8:9], off
	v_add_u32_e32 v10, v5, v0
	v_ashrrev_i32_e32 v11, 31, v10
	v_lshlrev_b64 v[12:13], 2, v[10:11]
	v_mov_b32_e32 v14, s15
	v_add_co_u32_e64 v12, s[0:1], s14, v12
	v_addc_co_u32_e64 v13, s[0:1], v14, v13, s[0:1]
	v_lshlrev_b64 v[10:11], 3, v[10:11]
	global_store_dword v[12:13], v7, off
	v_mov_b32_e32 v12, s7
	v_add_co_u32_e64 v10, s[0:1], s6, v10
	v_addc_co_u32_e64 v11, s[0:1], v12, v11, s[0:1]
	s_waitcnt vmcnt(1)
	global_store_dwordx2 v[10:11], v[8:9], off
.LBB85_11:                              ;   in Loop: Header=BB85_9 Depth=1
	s_or_b64 exec, exec, s[18:19]
	s_and_saveexec_b64 s[18:19], s[2:3]
	s_cbranch_execz .LBB85_8
; %bb.12:                               ;   in Loop: Header=BB85_9 Depth=1
	v_add_u32_e32 v8, s23, v4
	v_add3_u32 v9, v2, s23, 32
	v_cndmask_b32_e32 v8, v9, v8, vcc
	v_ashrrev_i32_e32 v9, 31, v8
	v_lshlrev_b64 v[8:9], 3, v[8:9]
	v_mov_b32_e32 v10, s17
	v_add_co_u32_e64 v8, s[0:1], s16, v8
	v_addc_co_u32_e64 v9, s[0:1], v10, v9, s[0:1]
	global_load_dwordx2 v[8:9], v[8:9], off
	v_add_u32_e32 v10, v3, v0
	v_ashrrev_i32_e32 v11, 31, v10
	v_lshlrev_b64 v[12:13], 2, v[10:11]
	v_mov_b32_e32 v14, s15
	v_add_co_u32_e64 v12, s[0:1], s14, v12
	v_addc_co_u32_e64 v13, s[0:1], v14, v13, s[0:1]
	v_lshlrev_b64 v[10:11], 3, v[10:11]
	global_store_dword v[12:13], v7, off
	v_mov_b32_e32 v7, s7
	v_add_co_u32_e64 v10, s[0:1], s6, v10
	v_addc_co_u32_e64 v11, s[0:1], v7, v11, s[0:1]
	s_waitcnt vmcnt(1)
	global_store_dwordx2 v[10:11], v[8:9], off
	s_branch .LBB85_8
.LBB85_13:
	s_endpgm
	.section	.rodata,"a",@progbits
	.p2align	6, 0x0
	.amdhsa_kernel _ZN9rocsparseL37gebsr2csr_block_per_row_33_128_kernelILi1024ELi64ELi4ELi32ELi4EdEEv20rocsparse_direction_ii21rocsparse_index_base_PKT4_PKiS7_iiS2_PS3_PiS9_
		.amdhsa_group_segment_fixed_size 0
		.amdhsa_private_segment_fixed_size 0
		.amdhsa_kernarg_size 80
		.amdhsa_user_sgpr_count 6
		.amdhsa_user_sgpr_private_segment_buffer 1
		.amdhsa_user_sgpr_dispatch_ptr 0
		.amdhsa_user_sgpr_queue_ptr 0
		.amdhsa_user_sgpr_kernarg_segment_ptr 1
		.amdhsa_user_sgpr_dispatch_id 0
		.amdhsa_user_sgpr_flat_scratch_init 0
		.amdhsa_user_sgpr_kernarg_preload_length 0
		.amdhsa_user_sgpr_kernarg_preload_offset 0
		.amdhsa_user_sgpr_private_segment_size 0
		.amdhsa_uses_dynamic_stack 0
		.amdhsa_system_sgpr_private_segment_wavefront_offset 0
		.amdhsa_system_sgpr_workgroup_id_x 1
		.amdhsa_system_sgpr_workgroup_id_y 0
		.amdhsa_system_sgpr_workgroup_id_z 0
		.amdhsa_system_sgpr_workgroup_info 0
		.amdhsa_system_vgpr_workitem_id 0
		.amdhsa_next_free_vgpr 15
		.amdhsa_next_free_sgpr 29
		.amdhsa_accum_offset 16
		.amdhsa_reserve_vcc 1
		.amdhsa_reserve_flat_scratch 0
		.amdhsa_float_round_mode_32 0
		.amdhsa_float_round_mode_16_64 0
		.amdhsa_float_denorm_mode_32 3
		.amdhsa_float_denorm_mode_16_64 3
		.amdhsa_dx10_clamp 1
		.amdhsa_ieee_mode 1
		.amdhsa_fp16_overflow 0
		.amdhsa_tg_split 0
		.amdhsa_exception_fp_ieee_invalid_op 0
		.amdhsa_exception_fp_denorm_src 0
		.amdhsa_exception_fp_ieee_div_zero 0
		.amdhsa_exception_fp_ieee_overflow 0
		.amdhsa_exception_fp_ieee_underflow 0
		.amdhsa_exception_fp_ieee_inexact 0
		.amdhsa_exception_int_div_zero 0
	.end_amdhsa_kernel
	.section	.text._ZN9rocsparseL37gebsr2csr_block_per_row_33_128_kernelILi1024ELi64ELi4ELi32ELi4EdEEv20rocsparse_direction_ii21rocsparse_index_base_PKT4_PKiS7_iiS2_PS3_PiS9_,"axG",@progbits,_ZN9rocsparseL37gebsr2csr_block_per_row_33_128_kernelILi1024ELi64ELi4ELi32ELi4EdEEv20rocsparse_direction_ii21rocsparse_index_base_PKT4_PKiS7_iiS2_PS3_PiS9_,comdat
.Lfunc_end85:
	.size	_ZN9rocsparseL37gebsr2csr_block_per_row_33_128_kernelILi1024ELi64ELi4ELi32ELi4EdEEv20rocsparse_direction_ii21rocsparse_index_base_PKT4_PKiS7_iiS2_PS3_PiS9_, .Lfunc_end85-_ZN9rocsparseL37gebsr2csr_block_per_row_33_128_kernelILi1024ELi64ELi4ELi32ELi4EdEEv20rocsparse_direction_ii21rocsparse_index_base_PKT4_PKiS7_iiS2_PS3_PiS9_
                                        ; -- End function
	.section	.AMDGPU.csdata,"",@progbits
; Kernel info:
; codeLenInByte = 848
; NumSgprs: 33
; NumVgprs: 15
; NumAgprs: 0
; TotalNumVgprs: 15
; ScratchSize: 0
; MemoryBound: 0
; FloatMode: 240
; IeeeMode: 1
; LDSByteSize: 0 bytes/workgroup (compile time only)
; SGPRBlocks: 4
; VGPRBlocks: 1
; NumSGPRsForWavesPerEU: 33
; NumVGPRsForWavesPerEU: 15
; AccumOffset: 16
; Occupancy: 8
; WaveLimiterHint : 1
; COMPUTE_PGM_RSRC2:SCRATCH_EN: 0
; COMPUTE_PGM_RSRC2:USER_SGPR: 6
; COMPUTE_PGM_RSRC2:TRAP_HANDLER: 0
; COMPUTE_PGM_RSRC2:TGID_X_EN: 1
; COMPUTE_PGM_RSRC2:TGID_Y_EN: 0
; COMPUTE_PGM_RSRC2:TGID_Z_EN: 0
; COMPUTE_PGM_RSRC2:TIDIG_COMP_CNT: 0
; COMPUTE_PGM_RSRC3_GFX90A:ACCUM_OFFSET: 3
; COMPUTE_PGM_RSRC3_GFX90A:TG_SPLIT: 0
	.section	.text._ZN9rocsparseL37gebsr2csr_block_per_row_33_128_kernelILi1024ELi64ELi8ELi32ELi8EdEEv20rocsparse_direction_ii21rocsparse_index_base_PKT4_PKiS7_iiS2_PS3_PiS9_,"axG",@progbits,_ZN9rocsparseL37gebsr2csr_block_per_row_33_128_kernelILi1024ELi64ELi8ELi32ELi8EdEEv20rocsparse_direction_ii21rocsparse_index_base_PKT4_PKiS7_iiS2_PS3_PiS9_,comdat
	.globl	_ZN9rocsparseL37gebsr2csr_block_per_row_33_128_kernelILi1024ELi64ELi8ELi32ELi8EdEEv20rocsparse_direction_ii21rocsparse_index_base_PKT4_PKiS7_iiS2_PS3_PiS9_ ; -- Begin function _ZN9rocsparseL37gebsr2csr_block_per_row_33_128_kernelILi1024ELi64ELi8ELi32ELi8EdEEv20rocsparse_direction_ii21rocsparse_index_base_PKT4_PKiS7_iiS2_PS3_PiS9_
	.p2align	8
	.type	_ZN9rocsparseL37gebsr2csr_block_per_row_33_128_kernelILi1024ELi64ELi8ELi32ELi8EdEEv20rocsparse_direction_ii21rocsparse_index_base_PKT4_PKiS7_iiS2_PS3_PiS9_,@function
_ZN9rocsparseL37gebsr2csr_block_per_row_33_128_kernelILi1024ELi64ELi8ELi32ELi8EdEEv20rocsparse_direction_ii21rocsparse_index_base_PKT4_PKiS7_iiS2_PS3_PiS9_: ; @_ZN9rocsparseL37gebsr2csr_block_per_row_33_128_kernelILi1024ELi64ELi8ELi32ELi8EdEEv20rocsparse_direction_ii21rocsparse_index_base_PKT4_PKiS7_iiS2_PS3_PiS9_
; %bb.0:
	s_load_dwordx2 s[0:1], s[4:5], 0x18
	s_load_dwordx4 s[8:11], s[4:5], 0x28
	s_load_dwordx2 s[14:15], s[4:5], 0x40
	s_ashr_i32 s7, s6, 31
	s_lshl_b64 s[2:3], s[6:7], 2
	s_waitcnt lgkmcnt(0)
	s_add_u32 s0, s0, s2
	s_addc_u32 s1, s1, s3
	s_load_dwordx2 s[18:19], s[0:1], 0x0
	v_or_b32_e32 v1, s6, v0
	v_cmp_eq_u32_e32 vcc, 0, v1
	s_and_saveexec_b64 s[0:1], vcc
	s_cbranch_execz .LBB86_2
; %bb.1:
	v_mov_b32_e32 v1, 0
	v_mov_b32_e32 v2, s10
	global_store_dword v1, v2, s[14:15]
.LBB86_2:
	s_or_b64 exec, exec, s[0:1]
	s_load_dword s20, s[4:5], 0xc
	v_lshrrev_b32_e32 v4, 3, v0
	s_mul_i32 s16, s6, s8
	s_waitcnt lgkmcnt(0)
	s_sub_i32 s12, s18, s20
	s_sub_i32 s21, s19, s20
	s_mul_i32 s11, s12, s9
	s_sub_i32 s13, s21, s12
	s_mul_i32 s0, s11, s8
	s_mul_i32 s17, s13, s9
	s_add_i32 s22, s0, s10
	s_add_i32 s22, s22, s17
	v_cmp_gt_i32_e64 s[0:1], s8, v4
	s_and_saveexec_b64 s[2:3], s[0:1]
	s_cbranch_execz .LBB86_4
; %bb.3:
	v_add_u32_e32 v2, s16, v4
	v_ashrrev_i32_e32 v3, 31, v2
	v_lshlrev_b64 v[2:3], 2, v[2:3]
	v_mul_lo_u32 v1, v4, s17
	v_mov_b32_e32 v5, s15
	v_add_co_u32_e32 v2, vcc, s14, v2
	v_add_u32_e32 v1, s22, v1
	v_addc_co_u32_e32 v3, vcc, v5, v3, vcc
	global_store_dword v[2:3], v1, off offset:4
.LBB86_4:
	s_or_b64 exec, exec, s[2:3]
	v_add_u32_e32 v1, 32, v4
	v_cmp_gt_i32_e64 s[2:3], s8, v1
	s_and_saveexec_b64 s[6:7], s[2:3]
	s_cbranch_execz .LBB86_6
; %bb.5:
	s_add_u32 s14, s14, 4
	s_addc_u32 s15, s15, 0
	v_mul_lo_u32 v1, v1, s17
	s_ashr_i32 s17, s16, 31
	v_mov_b32_e32 v3, s17
	v_add_co_u32_e32 v2, vcc, s16, v4
	v_addc_co_u32_e32 v3, vcc, 0, v3, vcc
	v_lshlrev_b64 v[2:3], 2, v[2:3]
	v_mov_b32_e32 v5, s15
	v_add_co_u32_e32 v2, vcc, s14, v2
	v_add_u32_e32 v1, s22, v1
	v_addc_co_u32_e32 v3, vcc, v5, v3, vcc
	global_store_dword v[2:3], v1, off offset:128
.LBB86_6:
	s_or_b64 exec, exec, s[6:7]
	s_cmp_lt_i32 s18, s19
	s_cbranch_scc0 .LBB86_13
; %bb.7:
	s_load_dwordx2 s[24:25], s[4:5], 0x20
	s_load_dwordx2 s[6:7], s[4:5], 0x38
	;; [unrolled: 1-line block ×4, first 2 shown]
	s_load_dword s26, s[4:5], 0x0
	v_and_b32_e32 v0, 7, v0
	s_mul_i32 s28, s8, s12
	v_add_u32_e32 v5, s28, v4
	v_add_u32_e32 v2, s11, v0
	v_add_u32_e32 v1, s10, v0
	v_mad_u64_u32 v[2:3], s[10:11], s8, v2, v[4:5]
	v_cmp_gt_i32_e64 s[4:5], s9, v0
	s_waitcnt lgkmcnt(0)
	s_cmp_eq_u32 s26, 0
	v_mul_lo_u32 v3, v4, s13
	v_add_u32_e32 v4, 32, v5
	v_mad_u64_u32 v[6:7], s[26:27], s9, v5, v[0:1]
	s_cselect_b64 vcc, -1, 0
	s_and_b64 s[10:11], s[4:5], s[0:1]
	v_mad_u64_u32 v[4:5], s[0:1], s9, v4, v[0:1]
	v_add_u32_e32 v5, s28, v3
	v_lshl_add_u32 v3, s19, 5, v5
	s_lshl_b32 s0, s18, 5
	s_ashr_i32 s13, s12, 31
	s_and_b64 s[2:3], s[4:5], s[2:3]
	v_subrev_u32_e32 v3, s0, v3
	s_lshl_b64 s[0:1], s[12:13], 2
	s_add_u32 s4, s24, s0
	s_mul_i32 s22, s9, s8
	s_mov_b32 s23, 0
	v_mul_lo_u32 v3, s9, v3
	v_mul_lo_u32 v5, s9, v5
	s_addc_u32 s5, s25, s1
	v_cndmask_b32_e32 v6, v2, v6, vcc
	s_branch .LBB86_9
.LBB86_8:                               ;   in Loop: Header=BB86_9 Depth=1
	s_or_b64 exec, exec, s[18:19]
	s_add_i32 s12, s12, 1
	s_add_i32 s23, s23, s22
	s_add_u32 s4, s4, 4
	s_addc_u32 s5, s5, 0
	s_cmp_ge_i32 s12, s21
	v_add_u32_e32 v0, s9, v0
	s_cbranch_scc1 .LBB86_13
.LBB86_9:                               ; =>This Inner Loop Header: Depth=1
	s_load_dword s0, s[4:5], 0x0
	s_waitcnt lgkmcnt(0)
	s_sub_i32 s0, s0, s20
	s_mul_i32 s0, s0, s9
	v_add_u32_e32 v7, s0, v1
	s_and_saveexec_b64 s[18:19], s[10:11]
	s_cbranch_execz .LBB86_11
; %bb.10:                               ;   in Loop: Header=BB86_9 Depth=1
	v_add_u32_e32 v8, s23, v6
	v_ashrrev_i32_e32 v9, 31, v8
	v_lshlrev_b64 v[8:9], 3, v[8:9]
	v_mov_b32_e32 v10, s17
	v_add_co_u32_e64 v8, s[0:1], s16, v8
	v_addc_co_u32_e64 v9, s[0:1], v10, v9, s[0:1]
	global_load_dwordx2 v[8:9], v[8:9], off
	v_add_u32_e32 v10, v5, v0
	v_ashrrev_i32_e32 v11, 31, v10
	v_lshlrev_b64 v[12:13], 2, v[10:11]
	v_mov_b32_e32 v14, s15
	v_add_co_u32_e64 v12, s[0:1], s14, v12
	v_addc_co_u32_e64 v13, s[0:1], v14, v13, s[0:1]
	v_lshlrev_b64 v[10:11], 3, v[10:11]
	global_store_dword v[12:13], v7, off
	v_mov_b32_e32 v12, s7
	v_add_co_u32_e64 v10, s[0:1], s6, v10
	v_addc_co_u32_e64 v11, s[0:1], v12, v11, s[0:1]
	s_waitcnt vmcnt(1)
	global_store_dwordx2 v[10:11], v[8:9], off
.LBB86_11:                              ;   in Loop: Header=BB86_9 Depth=1
	s_or_b64 exec, exec, s[18:19]
	s_and_saveexec_b64 s[18:19], s[2:3]
	s_cbranch_execz .LBB86_8
; %bb.12:                               ;   in Loop: Header=BB86_9 Depth=1
	v_add_u32_e32 v8, s23, v4
	v_add3_u32 v9, v2, s23, 32
	v_cndmask_b32_e32 v8, v9, v8, vcc
	v_ashrrev_i32_e32 v9, 31, v8
	v_lshlrev_b64 v[8:9], 3, v[8:9]
	v_mov_b32_e32 v10, s17
	v_add_co_u32_e64 v8, s[0:1], s16, v8
	v_addc_co_u32_e64 v9, s[0:1], v10, v9, s[0:1]
	global_load_dwordx2 v[8:9], v[8:9], off
	v_add_u32_e32 v10, v3, v0
	v_ashrrev_i32_e32 v11, 31, v10
	v_lshlrev_b64 v[12:13], 2, v[10:11]
	v_mov_b32_e32 v14, s15
	v_add_co_u32_e64 v12, s[0:1], s14, v12
	v_addc_co_u32_e64 v13, s[0:1], v14, v13, s[0:1]
	v_lshlrev_b64 v[10:11], 3, v[10:11]
	global_store_dword v[12:13], v7, off
	v_mov_b32_e32 v7, s7
	v_add_co_u32_e64 v10, s[0:1], s6, v10
	v_addc_co_u32_e64 v11, s[0:1], v7, v11, s[0:1]
	s_waitcnt vmcnt(1)
	global_store_dwordx2 v[10:11], v[8:9], off
	s_branch .LBB86_8
.LBB86_13:
	s_endpgm
	.section	.rodata,"a",@progbits
	.p2align	6, 0x0
	.amdhsa_kernel _ZN9rocsparseL37gebsr2csr_block_per_row_33_128_kernelILi1024ELi64ELi8ELi32ELi8EdEEv20rocsparse_direction_ii21rocsparse_index_base_PKT4_PKiS7_iiS2_PS3_PiS9_
		.amdhsa_group_segment_fixed_size 0
		.amdhsa_private_segment_fixed_size 0
		.amdhsa_kernarg_size 80
		.amdhsa_user_sgpr_count 6
		.amdhsa_user_sgpr_private_segment_buffer 1
		.amdhsa_user_sgpr_dispatch_ptr 0
		.amdhsa_user_sgpr_queue_ptr 0
		.amdhsa_user_sgpr_kernarg_segment_ptr 1
		.amdhsa_user_sgpr_dispatch_id 0
		.amdhsa_user_sgpr_flat_scratch_init 0
		.amdhsa_user_sgpr_kernarg_preload_length 0
		.amdhsa_user_sgpr_kernarg_preload_offset 0
		.amdhsa_user_sgpr_private_segment_size 0
		.amdhsa_uses_dynamic_stack 0
		.amdhsa_system_sgpr_private_segment_wavefront_offset 0
		.amdhsa_system_sgpr_workgroup_id_x 1
		.amdhsa_system_sgpr_workgroup_id_y 0
		.amdhsa_system_sgpr_workgroup_id_z 0
		.amdhsa_system_sgpr_workgroup_info 0
		.amdhsa_system_vgpr_workitem_id 0
		.amdhsa_next_free_vgpr 15
		.amdhsa_next_free_sgpr 29
		.amdhsa_accum_offset 16
		.amdhsa_reserve_vcc 1
		.amdhsa_reserve_flat_scratch 0
		.amdhsa_float_round_mode_32 0
		.amdhsa_float_round_mode_16_64 0
		.amdhsa_float_denorm_mode_32 3
		.amdhsa_float_denorm_mode_16_64 3
		.amdhsa_dx10_clamp 1
		.amdhsa_ieee_mode 1
		.amdhsa_fp16_overflow 0
		.amdhsa_tg_split 0
		.amdhsa_exception_fp_ieee_invalid_op 0
		.amdhsa_exception_fp_denorm_src 0
		.amdhsa_exception_fp_ieee_div_zero 0
		.amdhsa_exception_fp_ieee_overflow 0
		.amdhsa_exception_fp_ieee_underflow 0
		.amdhsa_exception_fp_ieee_inexact 0
		.amdhsa_exception_int_div_zero 0
	.end_amdhsa_kernel
	.section	.text._ZN9rocsparseL37gebsr2csr_block_per_row_33_128_kernelILi1024ELi64ELi8ELi32ELi8EdEEv20rocsparse_direction_ii21rocsparse_index_base_PKT4_PKiS7_iiS2_PS3_PiS9_,"axG",@progbits,_ZN9rocsparseL37gebsr2csr_block_per_row_33_128_kernelILi1024ELi64ELi8ELi32ELi8EdEEv20rocsparse_direction_ii21rocsparse_index_base_PKT4_PKiS7_iiS2_PS3_PiS9_,comdat
.Lfunc_end86:
	.size	_ZN9rocsparseL37gebsr2csr_block_per_row_33_128_kernelILi1024ELi64ELi8ELi32ELi8EdEEv20rocsparse_direction_ii21rocsparse_index_base_PKT4_PKiS7_iiS2_PS3_PiS9_, .Lfunc_end86-_ZN9rocsparseL37gebsr2csr_block_per_row_33_128_kernelILi1024ELi64ELi8ELi32ELi8EdEEv20rocsparse_direction_ii21rocsparse_index_base_PKT4_PKiS7_iiS2_PS3_PiS9_
                                        ; -- End function
	.section	.AMDGPU.csdata,"",@progbits
; Kernel info:
; codeLenInByte = 848
; NumSgprs: 33
; NumVgprs: 15
; NumAgprs: 0
; TotalNumVgprs: 15
; ScratchSize: 0
; MemoryBound: 0
; FloatMode: 240
; IeeeMode: 1
; LDSByteSize: 0 bytes/workgroup (compile time only)
; SGPRBlocks: 4
; VGPRBlocks: 1
; NumSGPRsForWavesPerEU: 33
; NumVGPRsForWavesPerEU: 15
; AccumOffset: 16
; Occupancy: 8
; WaveLimiterHint : 1
; COMPUTE_PGM_RSRC2:SCRATCH_EN: 0
; COMPUTE_PGM_RSRC2:USER_SGPR: 6
; COMPUTE_PGM_RSRC2:TRAP_HANDLER: 0
; COMPUTE_PGM_RSRC2:TGID_X_EN: 1
; COMPUTE_PGM_RSRC2:TGID_Y_EN: 0
; COMPUTE_PGM_RSRC2:TGID_Z_EN: 0
; COMPUTE_PGM_RSRC2:TIDIG_COMP_CNT: 0
; COMPUTE_PGM_RSRC3_GFX90A:ACCUM_OFFSET: 3
; COMPUTE_PGM_RSRC3_GFX90A:TG_SPLIT: 0
	.section	.text._ZN9rocsparseL37gebsr2csr_block_per_row_33_128_kernelILi1024ELi64ELi16ELi32ELi16EdEEv20rocsparse_direction_ii21rocsparse_index_base_PKT4_PKiS7_iiS2_PS3_PiS9_,"axG",@progbits,_ZN9rocsparseL37gebsr2csr_block_per_row_33_128_kernelILi1024ELi64ELi16ELi32ELi16EdEEv20rocsparse_direction_ii21rocsparse_index_base_PKT4_PKiS7_iiS2_PS3_PiS9_,comdat
	.globl	_ZN9rocsparseL37gebsr2csr_block_per_row_33_128_kernelILi1024ELi64ELi16ELi32ELi16EdEEv20rocsparse_direction_ii21rocsparse_index_base_PKT4_PKiS7_iiS2_PS3_PiS9_ ; -- Begin function _ZN9rocsparseL37gebsr2csr_block_per_row_33_128_kernelILi1024ELi64ELi16ELi32ELi16EdEEv20rocsparse_direction_ii21rocsparse_index_base_PKT4_PKiS7_iiS2_PS3_PiS9_
	.p2align	8
	.type	_ZN9rocsparseL37gebsr2csr_block_per_row_33_128_kernelILi1024ELi64ELi16ELi32ELi16EdEEv20rocsparse_direction_ii21rocsparse_index_base_PKT4_PKiS7_iiS2_PS3_PiS9_,@function
_ZN9rocsparseL37gebsr2csr_block_per_row_33_128_kernelILi1024ELi64ELi16ELi32ELi16EdEEv20rocsparse_direction_ii21rocsparse_index_base_PKT4_PKiS7_iiS2_PS3_PiS9_: ; @_ZN9rocsparseL37gebsr2csr_block_per_row_33_128_kernelILi1024ELi64ELi16ELi32ELi16EdEEv20rocsparse_direction_ii21rocsparse_index_base_PKT4_PKiS7_iiS2_PS3_PiS9_
; %bb.0:
	s_load_dwordx2 s[0:1], s[4:5], 0x18
	s_load_dwordx4 s[8:11], s[4:5], 0x28
	s_load_dwordx2 s[14:15], s[4:5], 0x40
	s_ashr_i32 s7, s6, 31
	s_lshl_b64 s[2:3], s[6:7], 2
	s_waitcnt lgkmcnt(0)
	s_add_u32 s0, s0, s2
	s_addc_u32 s1, s1, s3
	s_load_dwordx2 s[18:19], s[0:1], 0x0
	v_or_b32_e32 v1, s6, v0
	v_cmp_eq_u32_e32 vcc, 0, v1
	s_and_saveexec_b64 s[0:1], vcc
	s_cbranch_execz .LBB87_2
; %bb.1:
	v_mov_b32_e32 v1, 0
	v_mov_b32_e32 v2, s10
	global_store_dword v1, v2, s[14:15]
.LBB87_2:
	s_or_b64 exec, exec, s[0:1]
	s_load_dword s20, s[4:5], 0xc
	v_lshrrev_b32_e32 v4, 4, v0
	s_mul_i32 s16, s6, s8
	s_waitcnt lgkmcnt(0)
	s_sub_i32 s12, s18, s20
	s_sub_i32 s21, s19, s20
	s_mul_i32 s11, s12, s9
	s_sub_i32 s13, s21, s12
	s_mul_i32 s0, s11, s8
	s_mul_i32 s17, s13, s9
	s_add_i32 s22, s0, s10
	s_add_i32 s22, s22, s17
	v_cmp_gt_i32_e64 s[0:1], s8, v4
	s_and_saveexec_b64 s[2:3], s[0:1]
	s_cbranch_execz .LBB87_4
; %bb.3:
	v_add_u32_e32 v2, s16, v4
	v_ashrrev_i32_e32 v3, 31, v2
	v_lshlrev_b64 v[2:3], 2, v[2:3]
	v_mul_lo_u32 v1, v4, s17
	v_mov_b32_e32 v5, s15
	v_add_co_u32_e32 v2, vcc, s14, v2
	v_add_u32_e32 v1, s22, v1
	v_addc_co_u32_e32 v3, vcc, v5, v3, vcc
	global_store_dword v[2:3], v1, off offset:4
.LBB87_4:
	s_or_b64 exec, exec, s[2:3]
	v_add_u32_e32 v1, 32, v4
	v_cmp_gt_i32_e64 s[2:3], s8, v1
	s_and_saveexec_b64 s[6:7], s[2:3]
	s_cbranch_execz .LBB87_6
; %bb.5:
	s_add_u32 s14, s14, 4
	s_addc_u32 s15, s15, 0
	v_mul_lo_u32 v1, v1, s17
	s_ashr_i32 s17, s16, 31
	v_mov_b32_e32 v3, s17
	v_add_co_u32_e32 v2, vcc, s16, v4
	v_addc_co_u32_e32 v3, vcc, 0, v3, vcc
	v_lshlrev_b64 v[2:3], 2, v[2:3]
	v_mov_b32_e32 v5, s15
	v_add_co_u32_e32 v2, vcc, s14, v2
	v_add_u32_e32 v1, s22, v1
	v_addc_co_u32_e32 v3, vcc, v5, v3, vcc
	global_store_dword v[2:3], v1, off offset:128
.LBB87_6:
	s_or_b64 exec, exec, s[6:7]
	s_cmp_lt_i32 s18, s19
	s_cbranch_scc0 .LBB87_13
; %bb.7:
	s_load_dwordx2 s[24:25], s[4:5], 0x20
	s_load_dwordx2 s[6:7], s[4:5], 0x38
	;; [unrolled: 1-line block ×4, first 2 shown]
	s_load_dword s26, s[4:5], 0x0
	v_and_b32_e32 v0, 15, v0
	s_mul_i32 s28, s8, s12
	v_add_u32_e32 v5, s28, v4
	v_add_u32_e32 v2, s11, v0
	;; [unrolled: 1-line block ×3, first 2 shown]
	v_mad_u64_u32 v[2:3], s[10:11], s8, v2, v[4:5]
	v_cmp_gt_i32_e64 s[4:5], s9, v0
	s_waitcnt lgkmcnt(0)
	s_cmp_eq_u32 s26, 0
	v_mul_lo_u32 v3, v4, s13
	v_add_u32_e32 v4, 32, v5
	v_mad_u64_u32 v[6:7], s[26:27], s9, v5, v[0:1]
	s_cselect_b64 vcc, -1, 0
	s_and_b64 s[10:11], s[4:5], s[0:1]
	v_mad_u64_u32 v[4:5], s[0:1], s9, v4, v[0:1]
	v_add_u32_e32 v5, s28, v3
	v_lshl_add_u32 v3, s19, 5, v5
	s_lshl_b32 s0, s18, 5
	s_ashr_i32 s13, s12, 31
	s_and_b64 s[2:3], s[4:5], s[2:3]
	v_subrev_u32_e32 v3, s0, v3
	s_lshl_b64 s[0:1], s[12:13], 2
	s_add_u32 s4, s24, s0
	s_mul_i32 s22, s9, s8
	s_mov_b32 s23, 0
	v_mul_lo_u32 v3, s9, v3
	v_mul_lo_u32 v5, s9, v5
	s_addc_u32 s5, s25, s1
	v_cndmask_b32_e32 v6, v2, v6, vcc
	s_branch .LBB87_9
.LBB87_8:                               ;   in Loop: Header=BB87_9 Depth=1
	s_or_b64 exec, exec, s[18:19]
	s_add_i32 s12, s12, 1
	s_add_i32 s23, s23, s22
	s_add_u32 s4, s4, 4
	s_addc_u32 s5, s5, 0
	s_cmp_ge_i32 s12, s21
	v_add_u32_e32 v0, s9, v0
	s_cbranch_scc1 .LBB87_13
.LBB87_9:                               ; =>This Inner Loop Header: Depth=1
	s_load_dword s0, s[4:5], 0x0
	s_waitcnt lgkmcnt(0)
	s_sub_i32 s0, s0, s20
	s_mul_i32 s0, s0, s9
	v_add_u32_e32 v7, s0, v1
	s_and_saveexec_b64 s[18:19], s[10:11]
	s_cbranch_execz .LBB87_11
; %bb.10:                               ;   in Loop: Header=BB87_9 Depth=1
	v_add_u32_e32 v8, s23, v6
	v_ashrrev_i32_e32 v9, 31, v8
	v_lshlrev_b64 v[8:9], 3, v[8:9]
	v_mov_b32_e32 v10, s17
	v_add_co_u32_e64 v8, s[0:1], s16, v8
	v_addc_co_u32_e64 v9, s[0:1], v10, v9, s[0:1]
	global_load_dwordx2 v[8:9], v[8:9], off
	v_add_u32_e32 v10, v5, v0
	v_ashrrev_i32_e32 v11, 31, v10
	v_lshlrev_b64 v[12:13], 2, v[10:11]
	v_mov_b32_e32 v14, s15
	v_add_co_u32_e64 v12, s[0:1], s14, v12
	v_addc_co_u32_e64 v13, s[0:1], v14, v13, s[0:1]
	v_lshlrev_b64 v[10:11], 3, v[10:11]
	global_store_dword v[12:13], v7, off
	v_mov_b32_e32 v12, s7
	v_add_co_u32_e64 v10, s[0:1], s6, v10
	v_addc_co_u32_e64 v11, s[0:1], v12, v11, s[0:1]
	s_waitcnt vmcnt(1)
	global_store_dwordx2 v[10:11], v[8:9], off
.LBB87_11:                              ;   in Loop: Header=BB87_9 Depth=1
	s_or_b64 exec, exec, s[18:19]
	s_and_saveexec_b64 s[18:19], s[2:3]
	s_cbranch_execz .LBB87_8
; %bb.12:                               ;   in Loop: Header=BB87_9 Depth=1
	v_add_u32_e32 v8, s23, v4
	v_add3_u32 v9, v2, s23, 32
	v_cndmask_b32_e32 v8, v9, v8, vcc
	v_ashrrev_i32_e32 v9, 31, v8
	v_lshlrev_b64 v[8:9], 3, v[8:9]
	v_mov_b32_e32 v10, s17
	v_add_co_u32_e64 v8, s[0:1], s16, v8
	v_addc_co_u32_e64 v9, s[0:1], v10, v9, s[0:1]
	global_load_dwordx2 v[8:9], v[8:9], off
	v_add_u32_e32 v10, v3, v0
	v_ashrrev_i32_e32 v11, 31, v10
	v_lshlrev_b64 v[12:13], 2, v[10:11]
	v_mov_b32_e32 v14, s15
	v_add_co_u32_e64 v12, s[0:1], s14, v12
	v_addc_co_u32_e64 v13, s[0:1], v14, v13, s[0:1]
	v_lshlrev_b64 v[10:11], 3, v[10:11]
	global_store_dword v[12:13], v7, off
	v_mov_b32_e32 v7, s7
	v_add_co_u32_e64 v10, s[0:1], s6, v10
	v_addc_co_u32_e64 v11, s[0:1], v7, v11, s[0:1]
	s_waitcnt vmcnt(1)
	global_store_dwordx2 v[10:11], v[8:9], off
	s_branch .LBB87_8
.LBB87_13:
	s_endpgm
	.section	.rodata,"a",@progbits
	.p2align	6, 0x0
	.amdhsa_kernel _ZN9rocsparseL37gebsr2csr_block_per_row_33_128_kernelILi1024ELi64ELi16ELi32ELi16EdEEv20rocsparse_direction_ii21rocsparse_index_base_PKT4_PKiS7_iiS2_PS3_PiS9_
		.amdhsa_group_segment_fixed_size 0
		.amdhsa_private_segment_fixed_size 0
		.amdhsa_kernarg_size 80
		.amdhsa_user_sgpr_count 6
		.amdhsa_user_sgpr_private_segment_buffer 1
		.amdhsa_user_sgpr_dispatch_ptr 0
		.amdhsa_user_sgpr_queue_ptr 0
		.amdhsa_user_sgpr_kernarg_segment_ptr 1
		.amdhsa_user_sgpr_dispatch_id 0
		.amdhsa_user_sgpr_flat_scratch_init 0
		.amdhsa_user_sgpr_kernarg_preload_length 0
		.amdhsa_user_sgpr_kernarg_preload_offset 0
		.amdhsa_user_sgpr_private_segment_size 0
		.amdhsa_uses_dynamic_stack 0
		.amdhsa_system_sgpr_private_segment_wavefront_offset 0
		.amdhsa_system_sgpr_workgroup_id_x 1
		.amdhsa_system_sgpr_workgroup_id_y 0
		.amdhsa_system_sgpr_workgroup_id_z 0
		.amdhsa_system_sgpr_workgroup_info 0
		.amdhsa_system_vgpr_workitem_id 0
		.amdhsa_next_free_vgpr 15
		.amdhsa_next_free_sgpr 29
		.amdhsa_accum_offset 16
		.amdhsa_reserve_vcc 1
		.amdhsa_reserve_flat_scratch 0
		.amdhsa_float_round_mode_32 0
		.amdhsa_float_round_mode_16_64 0
		.amdhsa_float_denorm_mode_32 3
		.amdhsa_float_denorm_mode_16_64 3
		.amdhsa_dx10_clamp 1
		.amdhsa_ieee_mode 1
		.amdhsa_fp16_overflow 0
		.amdhsa_tg_split 0
		.amdhsa_exception_fp_ieee_invalid_op 0
		.amdhsa_exception_fp_denorm_src 0
		.amdhsa_exception_fp_ieee_div_zero 0
		.amdhsa_exception_fp_ieee_overflow 0
		.amdhsa_exception_fp_ieee_underflow 0
		.amdhsa_exception_fp_ieee_inexact 0
		.amdhsa_exception_int_div_zero 0
	.end_amdhsa_kernel
	.section	.text._ZN9rocsparseL37gebsr2csr_block_per_row_33_128_kernelILi1024ELi64ELi16ELi32ELi16EdEEv20rocsparse_direction_ii21rocsparse_index_base_PKT4_PKiS7_iiS2_PS3_PiS9_,"axG",@progbits,_ZN9rocsparseL37gebsr2csr_block_per_row_33_128_kernelILi1024ELi64ELi16ELi32ELi16EdEEv20rocsparse_direction_ii21rocsparse_index_base_PKT4_PKiS7_iiS2_PS3_PiS9_,comdat
.Lfunc_end87:
	.size	_ZN9rocsparseL37gebsr2csr_block_per_row_33_128_kernelILi1024ELi64ELi16ELi32ELi16EdEEv20rocsparse_direction_ii21rocsparse_index_base_PKT4_PKiS7_iiS2_PS3_PiS9_, .Lfunc_end87-_ZN9rocsparseL37gebsr2csr_block_per_row_33_128_kernelILi1024ELi64ELi16ELi32ELi16EdEEv20rocsparse_direction_ii21rocsparse_index_base_PKT4_PKiS7_iiS2_PS3_PiS9_
                                        ; -- End function
	.section	.AMDGPU.csdata,"",@progbits
; Kernel info:
; codeLenInByte = 848
; NumSgprs: 33
; NumVgprs: 15
; NumAgprs: 0
; TotalNumVgprs: 15
; ScratchSize: 0
; MemoryBound: 0
; FloatMode: 240
; IeeeMode: 1
; LDSByteSize: 0 bytes/workgroup (compile time only)
; SGPRBlocks: 4
; VGPRBlocks: 1
; NumSGPRsForWavesPerEU: 33
; NumVGPRsForWavesPerEU: 15
; AccumOffset: 16
; Occupancy: 8
; WaveLimiterHint : 1
; COMPUTE_PGM_RSRC2:SCRATCH_EN: 0
; COMPUTE_PGM_RSRC2:USER_SGPR: 6
; COMPUTE_PGM_RSRC2:TRAP_HANDLER: 0
; COMPUTE_PGM_RSRC2:TGID_X_EN: 1
; COMPUTE_PGM_RSRC2:TGID_Y_EN: 0
; COMPUTE_PGM_RSRC2:TGID_Z_EN: 0
; COMPUTE_PGM_RSRC2:TIDIG_COMP_CNT: 0
; COMPUTE_PGM_RSRC3_GFX90A:ACCUM_OFFSET: 3
; COMPUTE_PGM_RSRC3_GFX90A:TG_SPLIT: 0
	.section	.text._ZN9rocsparseL37gebsr2csr_block_per_row_33_128_kernelILi1024ELi64ELi32ELi32ELi32EdEEv20rocsparse_direction_ii21rocsparse_index_base_PKT4_PKiS7_iiS2_PS3_PiS9_,"axG",@progbits,_ZN9rocsparseL37gebsr2csr_block_per_row_33_128_kernelILi1024ELi64ELi32ELi32ELi32EdEEv20rocsparse_direction_ii21rocsparse_index_base_PKT4_PKiS7_iiS2_PS3_PiS9_,comdat
	.globl	_ZN9rocsparseL37gebsr2csr_block_per_row_33_128_kernelILi1024ELi64ELi32ELi32ELi32EdEEv20rocsparse_direction_ii21rocsparse_index_base_PKT4_PKiS7_iiS2_PS3_PiS9_ ; -- Begin function _ZN9rocsparseL37gebsr2csr_block_per_row_33_128_kernelILi1024ELi64ELi32ELi32ELi32EdEEv20rocsparse_direction_ii21rocsparse_index_base_PKT4_PKiS7_iiS2_PS3_PiS9_
	.p2align	8
	.type	_ZN9rocsparseL37gebsr2csr_block_per_row_33_128_kernelILi1024ELi64ELi32ELi32ELi32EdEEv20rocsparse_direction_ii21rocsparse_index_base_PKT4_PKiS7_iiS2_PS3_PiS9_,@function
_ZN9rocsparseL37gebsr2csr_block_per_row_33_128_kernelILi1024ELi64ELi32ELi32ELi32EdEEv20rocsparse_direction_ii21rocsparse_index_base_PKT4_PKiS7_iiS2_PS3_PiS9_: ; @_ZN9rocsparseL37gebsr2csr_block_per_row_33_128_kernelILi1024ELi64ELi32ELi32ELi32EdEEv20rocsparse_direction_ii21rocsparse_index_base_PKT4_PKiS7_iiS2_PS3_PiS9_
; %bb.0:
	s_load_dwordx2 s[0:1], s[4:5], 0x18
	s_load_dwordx4 s[8:11], s[4:5], 0x28
	s_load_dwordx2 s[14:15], s[4:5], 0x40
	s_ashr_i32 s7, s6, 31
	s_lshl_b64 s[2:3], s[6:7], 2
	s_waitcnt lgkmcnt(0)
	s_add_u32 s0, s0, s2
	s_addc_u32 s1, s1, s3
	s_load_dwordx2 s[18:19], s[0:1], 0x0
	v_or_b32_e32 v1, s6, v0
	v_cmp_eq_u32_e32 vcc, 0, v1
	s_and_saveexec_b64 s[0:1], vcc
	s_cbranch_execz .LBB88_2
; %bb.1:
	v_mov_b32_e32 v1, 0
	v_mov_b32_e32 v2, s10
	global_store_dword v1, v2, s[14:15]
.LBB88_2:
	s_or_b64 exec, exec, s[0:1]
	s_load_dword s20, s[4:5], 0xc
	v_lshrrev_b32_e32 v4, 5, v0
	s_mul_i32 s16, s6, s8
	s_waitcnt lgkmcnt(0)
	s_sub_i32 s12, s18, s20
	s_sub_i32 s21, s19, s20
	s_mul_i32 s11, s12, s9
	s_sub_i32 s13, s21, s12
	s_mul_i32 s0, s11, s8
	s_mul_i32 s17, s13, s9
	s_add_i32 s22, s0, s10
	s_add_i32 s22, s22, s17
	v_cmp_gt_i32_e64 s[0:1], s8, v4
	s_and_saveexec_b64 s[2:3], s[0:1]
	s_cbranch_execz .LBB88_4
; %bb.3:
	v_add_u32_e32 v2, s16, v4
	v_ashrrev_i32_e32 v3, 31, v2
	v_lshlrev_b64 v[2:3], 2, v[2:3]
	v_mul_lo_u32 v1, v4, s17
	v_mov_b32_e32 v5, s15
	v_add_co_u32_e32 v2, vcc, s14, v2
	v_add_u32_e32 v1, s22, v1
	v_addc_co_u32_e32 v3, vcc, v5, v3, vcc
	global_store_dword v[2:3], v1, off offset:4
.LBB88_4:
	s_or_b64 exec, exec, s[2:3]
	v_or_b32_e32 v1, 32, v4
	v_cmp_gt_i32_e64 s[2:3], s8, v1
	s_and_saveexec_b64 s[6:7], s[2:3]
	s_cbranch_execz .LBB88_6
; %bb.5:
	s_add_u32 s14, s14, 4
	s_addc_u32 s15, s15, 0
	v_mul_lo_u32 v1, v1, s17
	s_ashr_i32 s17, s16, 31
	v_mov_b32_e32 v3, s17
	v_add_co_u32_e32 v2, vcc, s16, v4
	v_addc_co_u32_e32 v3, vcc, 0, v3, vcc
	v_lshlrev_b64 v[2:3], 2, v[2:3]
	v_mov_b32_e32 v5, s15
	v_add_co_u32_e32 v2, vcc, s14, v2
	v_add_u32_e32 v1, s22, v1
	v_addc_co_u32_e32 v3, vcc, v5, v3, vcc
	global_store_dword v[2:3], v1, off offset:128
.LBB88_6:
	s_or_b64 exec, exec, s[6:7]
	s_cmp_lt_i32 s18, s19
	s_cbranch_scc0 .LBB88_13
; %bb.7:
	s_load_dwordx2 s[24:25], s[4:5], 0x20
	s_load_dwordx2 s[6:7], s[4:5], 0x38
	;; [unrolled: 1-line block ×4, first 2 shown]
	s_load_dword s26, s[4:5], 0x0
	v_and_b32_e32 v0, 31, v0
	s_mul_i32 s28, s8, s12
	v_add_u32_e32 v5, s28, v4
	v_add_u32_e32 v2, s11, v0
	;; [unrolled: 1-line block ×3, first 2 shown]
	v_mad_u64_u32 v[2:3], s[10:11], s8, v2, v[4:5]
	v_cmp_gt_i32_e64 s[4:5], s9, v0
	s_waitcnt lgkmcnt(0)
	s_cmp_eq_u32 s26, 0
	v_mul_lo_u32 v3, v4, s13
	v_add_u32_e32 v4, 32, v5
	v_mad_u64_u32 v[6:7], s[26:27], s9, v5, v[0:1]
	s_cselect_b64 vcc, -1, 0
	s_and_b64 s[10:11], s[4:5], s[0:1]
	v_mad_u64_u32 v[4:5], s[0:1], s9, v4, v[0:1]
	v_add_u32_e32 v5, s28, v3
	v_lshl_add_u32 v3, s19, 5, v5
	s_lshl_b32 s0, s18, 5
	s_ashr_i32 s13, s12, 31
	s_and_b64 s[2:3], s[4:5], s[2:3]
	v_subrev_u32_e32 v3, s0, v3
	s_lshl_b64 s[0:1], s[12:13], 2
	s_add_u32 s4, s24, s0
	s_mul_i32 s22, s9, s8
	s_mov_b32 s23, 0
	v_mul_lo_u32 v3, s9, v3
	v_mul_lo_u32 v5, s9, v5
	s_addc_u32 s5, s25, s1
	v_cndmask_b32_e32 v6, v2, v6, vcc
	s_branch .LBB88_9
.LBB88_8:                               ;   in Loop: Header=BB88_9 Depth=1
	s_or_b64 exec, exec, s[18:19]
	s_add_i32 s12, s12, 1
	s_add_i32 s23, s23, s22
	s_add_u32 s4, s4, 4
	s_addc_u32 s5, s5, 0
	s_cmp_ge_i32 s12, s21
	v_add_u32_e32 v0, s9, v0
	s_cbranch_scc1 .LBB88_13
.LBB88_9:                               ; =>This Inner Loop Header: Depth=1
	s_load_dword s0, s[4:5], 0x0
	s_waitcnt lgkmcnt(0)
	s_sub_i32 s0, s0, s20
	s_mul_i32 s0, s0, s9
	v_add_u32_e32 v7, s0, v1
	s_and_saveexec_b64 s[18:19], s[10:11]
	s_cbranch_execz .LBB88_11
; %bb.10:                               ;   in Loop: Header=BB88_9 Depth=1
	v_add_u32_e32 v8, s23, v6
	v_ashrrev_i32_e32 v9, 31, v8
	v_lshlrev_b64 v[8:9], 3, v[8:9]
	v_mov_b32_e32 v10, s17
	v_add_co_u32_e64 v8, s[0:1], s16, v8
	v_addc_co_u32_e64 v9, s[0:1], v10, v9, s[0:1]
	global_load_dwordx2 v[8:9], v[8:9], off
	v_add_u32_e32 v10, v5, v0
	v_ashrrev_i32_e32 v11, 31, v10
	v_lshlrev_b64 v[12:13], 2, v[10:11]
	v_mov_b32_e32 v14, s15
	v_add_co_u32_e64 v12, s[0:1], s14, v12
	v_addc_co_u32_e64 v13, s[0:1], v14, v13, s[0:1]
	v_lshlrev_b64 v[10:11], 3, v[10:11]
	global_store_dword v[12:13], v7, off
	v_mov_b32_e32 v12, s7
	v_add_co_u32_e64 v10, s[0:1], s6, v10
	v_addc_co_u32_e64 v11, s[0:1], v12, v11, s[0:1]
	s_waitcnt vmcnt(1)
	global_store_dwordx2 v[10:11], v[8:9], off
.LBB88_11:                              ;   in Loop: Header=BB88_9 Depth=1
	s_or_b64 exec, exec, s[18:19]
	s_and_saveexec_b64 s[18:19], s[2:3]
	s_cbranch_execz .LBB88_8
; %bb.12:                               ;   in Loop: Header=BB88_9 Depth=1
	v_add_u32_e32 v8, s23, v4
	v_add3_u32 v9, v2, s23, 32
	v_cndmask_b32_e32 v8, v9, v8, vcc
	v_ashrrev_i32_e32 v9, 31, v8
	v_lshlrev_b64 v[8:9], 3, v[8:9]
	v_mov_b32_e32 v10, s17
	v_add_co_u32_e64 v8, s[0:1], s16, v8
	v_addc_co_u32_e64 v9, s[0:1], v10, v9, s[0:1]
	global_load_dwordx2 v[8:9], v[8:9], off
	v_add_u32_e32 v10, v3, v0
	v_ashrrev_i32_e32 v11, 31, v10
	v_lshlrev_b64 v[12:13], 2, v[10:11]
	v_mov_b32_e32 v14, s15
	v_add_co_u32_e64 v12, s[0:1], s14, v12
	v_addc_co_u32_e64 v13, s[0:1], v14, v13, s[0:1]
	v_lshlrev_b64 v[10:11], 3, v[10:11]
	global_store_dword v[12:13], v7, off
	v_mov_b32_e32 v7, s7
	v_add_co_u32_e64 v10, s[0:1], s6, v10
	v_addc_co_u32_e64 v11, s[0:1], v7, v11, s[0:1]
	s_waitcnt vmcnt(1)
	global_store_dwordx2 v[10:11], v[8:9], off
	s_branch .LBB88_8
.LBB88_13:
	s_endpgm
	.section	.rodata,"a",@progbits
	.p2align	6, 0x0
	.amdhsa_kernel _ZN9rocsparseL37gebsr2csr_block_per_row_33_128_kernelILi1024ELi64ELi32ELi32ELi32EdEEv20rocsparse_direction_ii21rocsparse_index_base_PKT4_PKiS7_iiS2_PS3_PiS9_
		.amdhsa_group_segment_fixed_size 0
		.amdhsa_private_segment_fixed_size 0
		.amdhsa_kernarg_size 80
		.amdhsa_user_sgpr_count 6
		.amdhsa_user_sgpr_private_segment_buffer 1
		.amdhsa_user_sgpr_dispatch_ptr 0
		.amdhsa_user_sgpr_queue_ptr 0
		.amdhsa_user_sgpr_kernarg_segment_ptr 1
		.amdhsa_user_sgpr_dispatch_id 0
		.amdhsa_user_sgpr_flat_scratch_init 0
		.amdhsa_user_sgpr_kernarg_preload_length 0
		.amdhsa_user_sgpr_kernarg_preload_offset 0
		.amdhsa_user_sgpr_private_segment_size 0
		.amdhsa_uses_dynamic_stack 0
		.amdhsa_system_sgpr_private_segment_wavefront_offset 0
		.amdhsa_system_sgpr_workgroup_id_x 1
		.amdhsa_system_sgpr_workgroup_id_y 0
		.amdhsa_system_sgpr_workgroup_id_z 0
		.amdhsa_system_sgpr_workgroup_info 0
		.amdhsa_system_vgpr_workitem_id 0
		.amdhsa_next_free_vgpr 15
		.amdhsa_next_free_sgpr 29
		.amdhsa_accum_offset 16
		.amdhsa_reserve_vcc 1
		.amdhsa_reserve_flat_scratch 0
		.amdhsa_float_round_mode_32 0
		.amdhsa_float_round_mode_16_64 0
		.amdhsa_float_denorm_mode_32 3
		.amdhsa_float_denorm_mode_16_64 3
		.amdhsa_dx10_clamp 1
		.amdhsa_ieee_mode 1
		.amdhsa_fp16_overflow 0
		.amdhsa_tg_split 0
		.amdhsa_exception_fp_ieee_invalid_op 0
		.amdhsa_exception_fp_denorm_src 0
		.amdhsa_exception_fp_ieee_div_zero 0
		.amdhsa_exception_fp_ieee_overflow 0
		.amdhsa_exception_fp_ieee_underflow 0
		.amdhsa_exception_fp_ieee_inexact 0
		.amdhsa_exception_int_div_zero 0
	.end_amdhsa_kernel
	.section	.text._ZN9rocsparseL37gebsr2csr_block_per_row_33_128_kernelILi1024ELi64ELi32ELi32ELi32EdEEv20rocsparse_direction_ii21rocsparse_index_base_PKT4_PKiS7_iiS2_PS3_PiS9_,"axG",@progbits,_ZN9rocsparseL37gebsr2csr_block_per_row_33_128_kernelILi1024ELi64ELi32ELi32ELi32EdEEv20rocsparse_direction_ii21rocsparse_index_base_PKT4_PKiS7_iiS2_PS3_PiS9_,comdat
.Lfunc_end88:
	.size	_ZN9rocsparseL37gebsr2csr_block_per_row_33_128_kernelILi1024ELi64ELi32ELi32ELi32EdEEv20rocsparse_direction_ii21rocsparse_index_base_PKT4_PKiS7_iiS2_PS3_PiS9_, .Lfunc_end88-_ZN9rocsparseL37gebsr2csr_block_per_row_33_128_kernelILi1024ELi64ELi32ELi32ELi32EdEEv20rocsparse_direction_ii21rocsparse_index_base_PKT4_PKiS7_iiS2_PS3_PiS9_
                                        ; -- End function
	.section	.AMDGPU.csdata,"",@progbits
; Kernel info:
; codeLenInByte = 848
; NumSgprs: 33
; NumVgprs: 15
; NumAgprs: 0
; TotalNumVgprs: 15
; ScratchSize: 0
; MemoryBound: 0
; FloatMode: 240
; IeeeMode: 1
; LDSByteSize: 0 bytes/workgroup (compile time only)
; SGPRBlocks: 4
; VGPRBlocks: 1
; NumSGPRsForWavesPerEU: 33
; NumVGPRsForWavesPerEU: 15
; AccumOffset: 16
; Occupancy: 8
; WaveLimiterHint : 1
; COMPUTE_PGM_RSRC2:SCRATCH_EN: 0
; COMPUTE_PGM_RSRC2:USER_SGPR: 6
; COMPUTE_PGM_RSRC2:TRAP_HANDLER: 0
; COMPUTE_PGM_RSRC2:TGID_X_EN: 1
; COMPUTE_PGM_RSRC2:TGID_Y_EN: 0
; COMPUTE_PGM_RSRC2:TGID_Z_EN: 0
; COMPUTE_PGM_RSRC2:TIDIG_COMP_CNT: 0
; COMPUTE_PGM_RSRC3_GFX90A:ACCUM_OFFSET: 3
; COMPUTE_PGM_RSRC3_GFX90A:TG_SPLIT: 0
	.section	.text._ZN9rocsparseL37gebsr2csr_block_per_row_33_128_kernelILi1024ELi64ELi64ELi32ELi32EdEEv20rocsparse_direction_ii21rocsparse_index_base_PKT4_PKiS7_iiS2_PS3_PiS9_,"axG",@progbits,_ZN9rocsparseL37gebsr2csr_block_per_row_33_128_kernelILi1024ELi64ELi64ELi32ELi32EdEEv20rocsparse_direction_ii21rocsparse_index_base_PKT4_PKiS7_iiS2_PS3_PiS9_,comdat
	.globl	_ZN9rocsparseL37gebsr2csr_block_per_row_33_128_kernelILi1024ELi64ELi64ELi32ELi32EdEEv20rocsparse_direction_ii21rocsparse_index_base_PKT4_PKiS7_iiS2_PS3_PiS9_ ; -- Begin function _ZN9rocsparseL37gebsr2csr_block_per_row_33_128_kernelILi1024ELi64ELi64ELi32ELi32EdEEv20rocsparse_direction_ii21rocsparse_index_base_PKT4_PKiS7_iiS2_PS3_PiS9_
	.p2align	8
	.type	_ZN9rocsparseL37gebsr2csr_block_per_row_33_128_kernelILi1024ELi64ELi64ELi32ELi32EdEEv20rocsparse_direction_ii21rocsparse_index_base_PKT4_PKiS7_iiS2_PS3_PiS9_,@function
_ZN9rocsparseL37gebsr2csr_block_per_row_33_128_kernelILi1024ELi64ELi64ELi32ELi32EdEEv20rocsparse_direction_ii21rocsparse_index_base_PKT4_PKiS7_iiS2_PS3_PiS9_: ; @_ZN9rocsparseL37gebsr2csr_block_per_row_33_128_kernelILi1024ELi64ELi64ELi32ELi32EdEEv20rocsparse_direction_ii21rocsparse_index_base_PKT4_PKiS7_iiS2_PS3_PiS9_
; %bb.0:
	s_load_dwordx2 s[0:1], s[4:5], 0x18
	s_load_dwordx4 s[8:11], s[4:5], 0x28
	s_load_dwordx2 s[14:15], s[4:5], 0x40
	s_ashr_i32 s7, s6, 31
	s_lshl_b64 s[2:3], s[6:7], 2
	s_waitcnt lgkmcnt(0)
	s_add_u32 s0, s0, s2
	s_addc_u32 s1, s1, s3
	s_load_dwordx2 s[24:25], s[0:1], 0x0
	v_or_b32_e32 v1, s6, v0
	v_cmp_eq_u32_e32 vcc, 0, v1
	s_and_saveexec_b64 s[0:1], vcc
	s_cbranch_execz .LBB89_2
; %bb.1:
	v_mov_b32_e32 v1, 0
	v_mov_b32_e32 v2, s10
	global_store_dword v1, v2, s[14:15]
.LBB89_2:
	s_or_b64 exec, exec, s[0:1]
	s_load_dword s11, s[4:5], 0xc
	v_lshrrev_b32_e32 v1, 5, v0
	s_mul_i32 s16, s6, s8
	s_waitcnt lgkmcnt(0)
	s_sub_i32 s12, s24, s11
	s_sub_i32 s26, s25, s11
	s_mul_i32 s13, s12, s9
	s_sub_i32 s20, s26, s12
	s_mul_i32 s0, s13, s8
	s_mul_i32 s17, s20, s9
	s_add_i32 s18, s0, s10
	s_add_i32 s18, s18, s17
	v_cmp_gt_i32_e64 s[0:1], s8, v1
	s_and_saveexec_b64 s[2:3], s[0:1]
	s_cbranch_execz .LBB89_4
; %bb.3:
	v_mul_lo_u32 v2, v1, s17
	v_add_u32_e32 v4, s18, v2
	v_add_u32_e32 v2, s16, v1
	v_ashrrev_i32_e32 v3, 31, v2
	v_lshlrev_b64 v[2:3], 2, v[2:3]
	v_mov_b32_e32 v5, s15
	v_add_co_u32_e32 v2, vcc, s14, v2
	v_addc_co_u32_e32 v3, vcc, v5, v3, vcc
	global_store_dword v[2:3], v4, off offset:4
.LBB89_4:
	s_or_b64 exec, exec, s[2:3]
	v_or_b32_e32 v2, 32, v1
	v_cmp_gt_i32_e64 s[2:3], s8, v2
	s_and_saveexec_b64 s[6:7], s[2:3]
	s_cbranch_execz .LBB89_6
; %bb.5:
	s_add_u32 s14, s14, 4
	s_addc_u32 s15, s15, 0
	v_mul_lo_u32 v2, v2, s17
	s_ashr_i32 s17, s16, 31
	v_add_u32_e32 v4, s18, v2
	v_mov_b32_e32 v3, s17
	v_add_co_u32_e32 v2, vcc, s16, v1
	v_addc_co_u32_e32 v3, vcc, 0, v3, vcc
	v_lshlrev_b64 v[2:3], 2, v[2:3]
	v_mov_b32_e32 v5, s15
	v_add_co_u32_e32 v2, vcc, s14, v2
	v_addc_co_u32_e32 v3, vcc, v5, v3, vcc
	global_store_dword v[2:3], v4, off offset:128
.LBB89_6:
	s_or_b64 exec, exec, s[6:7]
	s_cmp_lt_i32 s24, s25
	s_cbranch_scc0 .LBB89_17
; %bb.7:
	s_load_dwordx2 s[28:29], s[4:5], 0x20
	s_load_dwordx2 s[14:15], s[4:5], 0x38
	s_load_dword s6, s[4:5], 0x0
	s_load_dwordx2 s[16:17], s[4:5], 0x10
	s_load_dwordx2 s[18:19], s[4:5], 0x48
	v_and_b32_e32 v0, 31, v0
	v_or_b32_e32 v2, 32, v0
	s_waitcnt lgkmcnt(0)
	s_cmp_eq_u32 s6, 0
	v_cmp_gt_i32_e64 s[4:5], s9, v0
	v_cmp_gt_i32_e64 s[6:7], s9, v2
	s_cselect_b64 vcc, -1, 0
	v_mul_lo_u32 v7, v1, s20
	s_and_b64 s[20:21], s[0:1], s[4:5]
	s_and_b64 s[22:23], s[0:1], s[6:7]
	s_mul_i32 s0, s8, s12
	v_add_u32_e32 v8, s0, v7
	v_add_u32_e32 v4, s0, v1
	;; [unrolled: 1-line block ×3, first 2 shown]
	v_lshl_add_u32 v7, s25, 5, v8
	s_lshl_b32 s0, s24, 5
	s_ashr_i32 s13, s12, 31
	s_and_b64 s[4:5], s[2:3], s[4:5]
	s_and_b64 s[2:3], s[2:3], s[6:7]
	v_subrev_u32_e32 v7, s0, v7
	s_lshl_b64 s[0:1], s[12:13], 2
	v_add_u32_e32 v3, 32, v4
	v_add_u32_e32 v5, 32, v6
	s_add_u32 s6, s28, s0
	s_mul_i32 s27, s9, s8
	v_mul_lo_u32 v3, s9, v3
	v_mul_lo_u32 v4, s9, v4
	;; [unrolled: 1-line block ×6, first 2 shown]
	s_addc_u32 s7, s29, s1
	s_branch .LBB89_9
.LBB89_8:                               ;   in Loop: Header=BB89_9 Depth=1
	s_or_b64 exec, exec, s[24:25]
	s_add_i32 s12, s12, 1
	s_add_u32 s6, s6, 4
	s_addc_u32 s7, s7, 0
	v_add_u32_e32 v3, s27, v3
	v_add_u32_e32 v4, s27, v4
	;; [unrolled: 1-line block ×4, first 2 shown]
	s_cmp_ge_i32 s12, s26
	v_add_u32_e32 v8, s9, v8
	s_cbranch_scc1 .LBB89_17
.LBB89_9:                               ; =>This Inner Loop Header: Depth=1
	s_load_dword s0, s[6:7], 0x0
	s_waitcnt lgkmcnt(0)
	s_sub_i32 s0, s0, s11
	s_mul_i32 s8, s0, s9
	s_add_i32 s8, s8, s10
	v_add_u32_e32 v9, s8, v0
	s_and_saveexec_b64 s[24:25], s[20:21]
	s_cbranch_execz .LBB89_11
; %bb.10:                               ;   in Loop: Header=BB89_9 Depth=1
	v_add_u32_e32 v10, v0, v4
	v_add_u32_e32 v11, v6, v1
	v_cndmask_b32_e32 v10, v11, v10, vcc
	v_ashrrev_i32_e32 v11, 31, v10
	v_lshlrev_b64 v[10:11], 3, v[10:11]
	v_mov_b32_e32 v12, s17
	v_add_co_u32_e64 v10, s[0:1], s16, v10
	v_addc_co_u32_e64 v11, s[0:1], v12, v11, s[0:1]
	global_load_dwordx2 v[10:11], v[10:11], off
	v_add_u32_e32 v12, v0, v8
	v_ashrrev_i32_e32 v13, 31, v12
	v_lshlrev_b64 v[14:15], 2, v[12:13]
	v_mov_b32_e32 v16, s19
	v_add_co_u32_e64 v14, s[0:1], s18, v14
	v_addc_co_u32_e64 v15, s[0:1], v16, v15, s[0:1]
	v_lshlrev_b64 v[12:13], 3, v[12:13]
	global_store_dword v[14:15], v9, off
	v_mov_b32_e32 v14, s15
	v_add_co_u32_e64 v12, s[0:1], s14, v12
	v_addc_co_u32_e64 v13, s[0:1], v14, v13, s[0:1]
	s_waitcnt vmcnt(1)
	global_store_dwordx2 v[12:13], v[10:11], off
.LBB89_11:                              ;   in Loop: Header=BB89_9 Depth=1
	s_or_b64 exec, exec, s[24:25]
	v_add_u32_e32 v10, s8, v2
	v_add_u32_e32 v11, v5, v1
	s_and_saveexec_b64 s[24:25], s[22:23]
	s_cbranch_execnz .LBB89_14
; %bb.12:                               ;   in Loop: Header=BB89_9 Depth=1
	s_or_b64 exec, exec, s[24:25]
	v_add_u32_e32 v12, v0, v3
	s_and_saveexec_b64 s[24:25], s[4:5]
	s_cbranch_execnz .LBB89_15
.LBB89_13:                              ;   in Loop: Header=BB89_9 Depth=1
	s_or_b64 exec, exec, s[24:25]
	s_and_saveexec_b64 s[24:25], s[2:3]
	s_cbranch_execz .LBB89_8
	s_branch .LBB89_16
.LBB89_14:                              ;   in Loop: Header=BB89_9 Depth=1
	v_add3_u32 v12, v0, v4, 32
	v_cndmask_b32_e32 v12, v11, v12, vcc
	v_ashrrev_i32_e32 v13, 31, v12
	v_lshlrev_b64 v[12:13], 3, v[12:13]
	v_mov_b32_e32 v14, s17
	v_add_co_u32_e64 v12, s[0:1], s16, v12
	v_addc_co_u32_e64 v13, s[0:1], v14, v13, s[0:1]
	global_load_dwordx2 v[12:13], v[12:13], off
	v_add3_u32 v14, v0, v8, 32
	v_ashrrev_i32_e32 v15, 31, v14
	v_lshlrev_b64 v[16:17], 2, v[14:15]
	v_mov_b32_e32 v18, s19
	v_add_co_u32_e64 v16, s[0:1], s18, v16
	v_addc_co_u32_e64 v17, s[0:1], v18, v17, s[0:1]
	v_lshlrev_b64 v[14:15], 3, v[14:15]
	global_store_dword v[16:17], v10, off
	v_mov_b32_e32 v16, s15
	v_add_co_u32_e64 v14, s[0:1], s14, v14
	v_addc_co_u32_e64 v15, s[0:1], v16, v15, s[0:1]
	s_waitcnt vmcnt(1)
	global_store_dwordx2 v[14:15], v[12:13], off
	s_or_b64 exec, exec, s[24:25]
	v_add_u32_e32 v12, v0, v3
	s_and_saveexec_b64 s[24:25], s[4:5]
	s_cbranch_execz .LBB89_13
.LBB89_15:                              ;   in Loop: Header=BB89_9 Depth=1
	v_add3_u32 v13, v6, v1, 32
	v_cndmask_b32_e32 v14, v13, v12, vcc
	v_ashrrev_i32_e32 v15, 31, v14
	v_lshlrev_b64 v[14:15], 3, v[14:15]
	v_mov_b32_e32 v13, s17
	v_add_co_u32_e64 v14, s[0:1], s16, v14
	v_addc_co_u32_e64 v15, s[0:1], v13, v15, s[0:1]
	global_load_dwordx2 v[14:15], v[14:15], off
	v_add_u32_e32 v16, v0, v7
	v_ashrrev_i32_e32 v17, 31, v16
	v_lshlrev_b64 v[18:19], 2, v[16:17]
	v_mov_b32_e32 v13, s19
	v_add_co_u32_e64 v18, s[0:1], s18, v18
	v_addc_co_u32_e64 v19, s[0:1], v13, v19, s[0:1]
	v_lshlrev_b64 v[16:17], 3, v[16:17]
	global_store_dword v[18:19], v9, off
	v_mov_b32_e32 v9, s15
	v_add_co_u32_e64 v16, s[0:1], s14, v16
	v_addc_co_u32_e64 v17, s[0:1], v9, v17, s[0:1]
	s_waitcnt vmcnt(1)
	global_store_dwordx2 v[16:17], v[14:15], off
	s_or_b64 exec, exec, s[24:25]
	s_and_saveexec_b64 s[24:25], s[2:3]
	s_cbranch_execz .LBB89_8
.LBB89_16:                              ;   in Loop: Header=BB89_9 Depth=1
	v_cndmask_b32_e32 v9, v11, v12, vcc
	v_add_u32_e32 v12, 32, v9
	v_ashrrev_i32_e32 v13, 31, v12
	v_lshlrev_b64 v[12:13], 3, v[12:13]
	v_mov_b32_e32 v9, s17
	v_add_co_u32_e64 v12, s[0:1], s16, v12
	v_addc_co_u32_e64 v13, s[0:1], v9, v13, s[0:1]
	global_load_dwordx2 v[12:13], v[12:13], off
	v_add3_u32 v14, v0, v7, 32
	v_ashrrev_i32_e32 v15, 31, v14
	v_lshlrev_b64 v[16:17], 2, v[14:15]
	v_mov_b32_e32 v9, s19
	v_add_co_u32_e64 v16, s[0:1], s18, v16
	v_addc_co_u32_e64 v17, s[0:1], v9, v17, s[0:1]
	global_store_dword v[16:17], v10, off
	v_lshlrev_b64 v[10:11], 3, v[14:15]
	v_mov_b32_e32 v9, s15
	v_add_co_u32_e64 v10, s[0:1], s14, v10
	v_addc_co_u32_e64 v11, s[0:1], v9, v11, s[0:1]
	s_waitcnt vmcnt(1)
	global_store_dwordx2 v[10:11], v[12:13], off
	s_branch .LBB89_8
.LBB89_17:
	s_endpgm
	.section	.rodata,"a",@progbits
	.p2align	6, 0x0
	.amdhsa_kernel _ZN9rocsparseL37gebsr2csr_block_per_row_33_128_kernelILi1024ELi64ELi64ELi32ELi32EdEEv20rocsparse_direction_ii21rocsparse_index_base_PKT4_PKiS7_iiS2_PS3_PiS9_
		.amdhsa_group_segment_fixed_size 0
		.amdhsa_private_segment_fixed_size 0
		.amdhsa_kernarg_size 80
		.amdhsa_user_sgpr_count 6
		.amdhsa_user_sgpr_private_segment_buffer 1
		.amdhsa_user_sgpr_dispatch_ptr 0
		.amdhsa_user_sgpr_queue_ptr 0
		.amdhsa_user_sgpr_kernarg_segment_ptr 1
		.amdhsa_user_sgpr_dispatch_id 0
		.amdhsa_user_sgpr_flat_scratch_init 0
		.amdhsa_user_sgpr_kernarg_preload_length 0
		.amdhsa_user_sgpr_kernarg_preload_offset 0
		.amdhsa_user_sgpr_private_segment_size 0
		.amdhsa_uses_dynamic_stack 0
		.amdhsa_system_sgpr_private_segment_wavefront_offset 0
		.amdhsa_system_sgpr_workgroup_id_x 1
		.amdhsa_system_sgpr_workgroup_id_y 0
		.amdhsa_system_sgpr_workgroup_id_z 0
		.amdhsa_system_sgpr_workgroup_info 0
		.amdhsa_system_vgpr_workitem_id 0
		.amdhsa_next_free_vgpr 20
		.amdhsa_next_free_sgpr 30
		.amdhsa_accum_offset 20
		.amdhsa_reserve_vcc 1
		.amdhsa_reserve_flat_scratch 0
		.amdhsa_float_round_mode_32 0
		.amdhsa_float_round_mode_16_64 0
		.amdhsa_float_denorm_mode_32 3
		.amdhsa_float_denorm_mode_16_64 3
		.amdhsa_dx10_clamp 1
		.amdhsa_ieee_mode 1
		.amdhsa_fp16_overflow 0
		.amdhsa_tg_split 0
		.amdhsa_exception_fp_ieee_invalid_op 0
		.amdhsa_exception_fp_denorm_src 0
		.amdhsa_exception_fp_ieee_div_zero 0
		.amdhsa_exception_fp_ieee_overflow 0
		.amdhsa_exception_fp_ieee_underflow 0
		.amdhsa_exception_fp_ieee_inexact 0
		.amdhsa_exception_int_div_zero 0
	.end_amdhsa_kernel
	.section	.text._ZN9rocsparseL37gebsr2csr_block_per_row_33_128_kernelILi1024ELi64ELi64ELi32ELi32EdEEv20rocsparse_direction_ii21rocsparse_index_base_PKT4_PKiS7_iiS2_PS3_PiS9_,"axG",@progbits,_ZN9rocsparseL37gebsr2csr_block_per_row_33_128_kernelILi1024ELi64ELi64ELi32ELi32EdEEv20rocsparse_direction_ii21rocsparse_index_base_PKT4_PKiS7_iiS2_PS3_PiS9_,comdat
.Lfunc_end89:
	.size	_ZN9rocsparseL37gebsr2csr_block_per_row_33_128_kernelILi1024ELi64ELi64ELi32ELi32EdEEv20rocsparse_direction_ii21rocsparse_index_base_PKT4_PKiS7_iiS2_PS3_PiS9_, .Lfunc_end89-_ZN9rocsparseL37gebsr2csr_block_per_row_33_128_kernelILi1024ELi64ELi64ELi32ELi32EdEEv20rocsparse_direction_ii21rocsparse_index_base_PKT4_PKiS7_iiS2_PS3_PiS9_
                                        ; -- End function
	.section	.AMDGPU.csdata,"",@progbits
; Kernel info:
; codeLenInByte = 1232
; NumSgprs: 34
; NumVgprs: 20
; NumAgprs: 0
; TotalNumVgprs: 20
; ScratchSize: 0
; MemoryBound: 0
; FloatMode: 240
; IeeeMode: 1
; LDSByteSize: 0 bytes/workgroup (compile time only)
; SGPRBlocks: 4
; VGPRBlocks: 2
; NumSGPRsForWavesPerEU: 34
; NumVGPRsForWavesPerEU: 20
; AccumOffset: 20
; Occupancy: 8
; WaveLimiterHint : 1
; COMPUTE_PGM_RSRC2:SCRATCH_EN: 0
; COMPUTE_PGM_RSRC2:USER_SGPR: 6
; COMPUTE_PGM_RSRC2:TRAP_HANDLER: 0
; COMPUTE_PGM_RSRC2:TGID_X_EN: 1
; COMPUTE_PGM_RSRC2:TGID_Y_EN: 0
; COMPUTE_PGM_RSRC2:TGID_Z_EN: 0
; COMPUTE_PGM_RSRC2:TIDIG_COMP_CNT: 0
; COMPUTE_PGM_RSRC3_GFX90A:ACCUM_OFFSET: 4
; COMPUTE_PGM_RSRC3_GFX90A:TG_SPLIT: 0
	.section	.text._ZN9rocsparseL37gebsr2csr_block_per_row_33_128_kernelILi1024ELi64ELi128ELi32ELi32EdEEv20rocsparse_direction_ii21rocsparse_index_base_PKT4_PKiS7_iiS2_PS3_PiS9_,"axG",@progbits,_ZN9rocsparseL37gebsr2csr_block_per_row_33_128_kernelILi1024ELi64ELi128ELi32ELi32EdEEv20rocsparse_direction_ii21rocsparse_index_base_PKT4_PKiS7_iiS2_PS3_PiS9_,comdat
	.globl	_ZN9rocsparseL37gebsr2csr_block_per_row_33_128_kernelILi1024ELi64ELi128ELi32ELi32EdEEv20rocsparse_direction_ii21rocsparse_index_base_PKT4_PKiS7_iiS2_PS3_PiS9_ ; -- Begin function _ZN9rocsparseL37gebsr2csr_block_per_row_33_128_kernelILi1024ELi64ELi128ELi32ELi32EdEEv20rocsparse_direction_ii21rocsparse_index_base_PKT4_PKiS7_iiS2_PS3_PiS9_
	.p2align	8
	.type	_ZN9rocsparseL37gebsr2csr_block_per_row_33_128_kernelILi1024ELi64ELi128ELi32ELi32EdEEv20rocsparse_direction_ii21rocsparse_index_base_PKT4_PKiS7_iiS2_PS3_PiS9_,@function
_ZN9rocsparseL37gebsr2csr_block_per_row_33_128_kernelILi1024ELi64ELi128ELi32ELi32EdEEv20rocsparse_direction_ii21rocsparse_index_base_PKT4_PKiS7_iiS2_PS3_PiS9_: ; @_ZN9rocsparseL37gebsr2csr_block_per_row_33_128_kernelILi1024ELi64ELi128ELi32ELi32EdEEv20rocsparse_direction_ii21rocsparse_index_base_PKT4_PKiS7_iiS2_PS3_PiS9_
; %bb.0:
	s_load_dwordx2 s[0:1], s[4:5], 0x18
	s_load_dwordx4 s[12:15], s[4:5], 0x28
	s_load_dwordx2 s[8:9], s[4:5], 0x40
	s_ashr_i32 s7, s6, 31
	s_lshl_b64 s[2:3], s[6:7], 2
	s_waitcnt lgkmcnt(0)
	s_add_u32 s0, s0, s2
	s_addc_u32 s1, s1, s3
	s_load_dwordx2 s[34:35], s[0:1], 0x0
	v_or_b32_e32 v1, s6, v0
	v_cmp_eq_u32_e32 vcc, 0, v1
	s_and_saveexec_b64 s[0:1], vcc
	s_cbranch_execz .LBB90_2
; %bb.1:
	v_mov_b32_e32 v1, 0
	v_mov_b32_e32 v2, s14
	global_store_dword v1, v2, s[8:9]
.LBB90_2:
	s_or_b64 exec, exec, s[0:1]
	s_load_dword s15, s[4:5], 0xc
	v_lshrrev_b32_e32 v6, 5, v0
	s_mul_i32 s11, s6, s12
	s_waitcnt lgkmcnt(0)
	s_sub_i32 s16, s34, s15
	s_sub_i32 s33, s35, s15
	s_mul_i32 s17, s16, s13
	s_sub_i32 s10, s33, s16
	s_mul_i32 s0, s17, s12
	s_mul_i32 s18, s10, s13
	s_add_i32 s19, s0, s14
	s_add_i32 s19, s19, s18
	v_cmp_gt_i32_e64 s[0:1], s12, v6
	s_and_saveexec_b64 s[2:3], s[0:1]
	s_cbranch_execz .LBB90_4
; %bb.3:
	v_add_u32_e32 v2, s11, v6
	v_ashrrev_i32_e32 v3, 31, v2
	v_lshlrev_b64 v[2:3], 2, v[2:3]
	v_mul_lo_u32 v1, v6, s18
	v_mov_b32_e32 v4, s9
	v_add_co_u32_e32 v2, vcc, s8, v2
	v_add_u32_e32 v1, s19, v1
	v_addc_co_u32_e32 v3, vcc, v4, v3, vcc
	global_store_dword v[2:3], v1, off offset:4
.LBB90_4:
	s_or_b64 exec, exec, s[2:3]
	v_or_b32_e32 v1, 32, v6
	v_cmp_gt_i32_e64 s[2:3], s12, v1
	s_and_saveexec_b64 s[6:7], s[2:3]
	s_cbranch_execz .LBB90_6
; %bb.5:
	s_add_u32 s8, s8, 4
	s_addc_u32 s9, s9, 0
	v_mul_lo_u32 v1, v1, s18
	s_ashr_i32 s18, s11, 31
	v_mov_b32_e32 v3, s18
	v_add_co_u32_e32 v2, vcc, s11, v6
	v_addc_co_u32_e32 v3, vcc, 0, v3, vcc
	v_lshlrev_b64 v[2:3], 2, v[2:3]
	v_mov_b32_e32 v4, s9
	v_add_co_u32_e32 v2, vcc, s8, v2
	v_add_u32_e32 v1, s19, v1
	v_addc_co_u32_e32 v3, vcc, v4, v3, vcc
	global_store_dword v[2:3], v1, off offset:128
.LBB90_6:
	s_or_b64 exec, exec, s[6:7]
	s_cmp_lt_i32 s34, s35
	s_cbranch_scc0 .LBB90_25
; %bb.7:
	s_load_dwordx2 s[40:41], s[4:5], 0x20
	s_load_dwordx2 s[18:19], s[4:5], 0x38
	;; [unrolled: 1-line block ×3, first 2 shown]
	s_load_dword s6, s[4:5], 0x0
	s_load_dwordx2 s[22:23], s[4:5], 0x48
	v_and_b32_e32 v8, 31, v0
	v_or_b32_e32 v9, 32, v8
	v_or_b32_e32 v10, 64, v8
	;; [unrolled: 1-line block ×3, first 2 shown]
	s_waitcnt lgkmcnt(0)
	s_cmp_eq_u32 s6, 0
	v_mul_lo_u32 v14, v6, s10
	v_cmp_gt_i32_e64 s[4:5], s13, v8
	v_cmp_gt_i32_e64 s[6:7], s13, v9
	;; [unrolled: 1-line block ×4, first 2 shown]
	s_cselect_b64 vcc, -1, 0
	s_and_b64 s[24:25], s[0:1], s[4:5]
	s_and_b64 s[26:27], s[0:1], s[6:7]
	;; [unrolled: 1-line block ×8, first 2 shown]
	s_mul_i32 s10, s12, s16
	v_add_u32_e32 v0, s10, v6
	v_add_u32_e32 v7, s17, v8
	;; [unrolled: 1-line block ×3, first 2 shown]
	v_mul_lo_u32 v13, s13, v0
	v_add_u32_e32 v0, 0x60, v7
	v_mul_lo_u32 v12, s13, v1
	v_mad_u64_u32 v[0:1], s[0:1], s12, v0, v[6:7]
	v_add_u32_e32 v1, 64, v7
	v_mad_u64_u32 v[2:3], s[0:1], s12, v1, v[6:7]
	v_add_u32_e32 v1, 32, v7
	v_mad_u64_u32 v[4:5], s[0:1], s12, v1, v[6:7]
	v_mad_u64_u32 v[6:7], s[0:1], s12, v7, v[6:7]
	v_add_u32_e32 v3, s10, v14
	v_lshl_add_u32 v1, s35, 5, v3
	s_lshl_b32 s0, s34, 5
	s_ashr_i32 s17, s16, 31
	v_subrev_u32_e32 v1, s0, v1
	s_lshl_b64 s[0:1], s[16:17], 2
	s_add_u32 s10, s40, s0
	s_mul_i32 s36, s13, s12
	s_mov_b32 s37, 0
	s_movk_i32 s38, 0x60
	v_mul_lo_u32 v1, s13, v1
	v_mul_lo_u32 v3, s13, v3
	s_addc_u32 s11, s41, s1
	s_branch .LBB90_9
.LBB90_8:                               ;   in Loop: Header=BB90_9 Depth=1
	s_or_b64 exec, exec, s[34:35]
	s_add_i32 s16, s16, 1
	s_add_i32 s37, s37, s36
	s_add_u32 s10, s10, 4
	s_addc_u32 s11, s11, 0
	v_add_u32_e32 v12, s36, v12
	v_add_u32_e32 v13, s36, v13
	;; [unrolled: 1-line block ×3, first 2 shown]
	s_cmp_ge_i32 s16, s33
	v_add_u32_e32 v3, s13, v3
	s_cbranch_scc1 .LBB90_25
.LBB90_9:                               ; =>This Inner Loop Header: Depth=1
	s_load_dword s0, s[10:11], 0x0
	s_waitcnt lgkmcnt(0)
	s_sub_i32 s0, s0, s15
	s_mul_i32 s12, s0, s13
	s_add_i32 s12, s12, s14
	v_add_u32_e32 v5, s12, v8
	s_and_saveexec_b64 s[34:35], s[24:25]
	s_cbranch_execz .LBB90_11
; %bb.10:                               ;   in Loop: Header=BB90_9 Depth=1
	v_add_u32_e32 v7, v8, v13
	v_add_u32_e32 v14, s37, v6
	v_cndmask_b32_e32 v14, v14, v7, vcc
	v_ashrrev_i32_e32 v15, 31, v14
	v_lshlrev_b64 v[14:15], 3, v[14:15]
	v_mov_b32_e32 v7, s21
	v_add_co_u32_e64 v14, s[0:1], s20, v14
	v_addc_co_u32_e64 v15, s[0:1], v7, v15, s[0:1]
	global_load_dwordx2 v[14:15], v[14:15], off
	v_add_u32_e32 v16, v8, v3
	v_ashrrev_i32_e32 v17, 31, v16
	v_lshlrev_b64 v[18:19], 2, v[16:17]
	v_mov_b32_e32 v7, s23
	v_add_co_u32_e64 v18, s[0:1], s22, v18
	v_addc_co_u32_e64 v19, s[0:1], v7, v19, s[0:1]
	v_lshlrev_b64 v[16:17], 3, v[16:17]
	v_mov_b32_e32 v7, s19
	v_add_co_u32_e64 v16, s[0:1], s18, v16
	v_addc_co_u32_e64 v17, s[0:1], v7, v17, s[0:1]
	global_store_dword v[18:19], v5, off
	s_waitcnt vmcnt(1)
	global_store_dwordx2 v[16:17], v[14:15], off
.LBB90_11:                              ;   in Loop: Header=BB90_9 Depth=1
	s_or_b64 exec, exec, s[34:35]
	v_add_u32_e32 v7, s12, v9
	v_add_u32_e32 v16, s37, v4
	s_and_saveexec_b64 s[34:35], s[26:27]
	s_cbranch_execnz .LBB90_18
; %bb.12:                               ;   in Loop: Header=BB90_9 Depth=1
	s_or_b64 exec, exec, s[34:35]
	v_add_u32_e32 v14, s12, v10
	s_and_saveexec_b64 s[34:35], s[28:29]
	s_cbranch_execnz .LBB90_19
.LBB90_13:                              ;   in Loop: Header=BB90_9 Depth=1
	s_or_b64 exec, exec, s[34:35]
	v_add_u32_e32 v15, s12, v11
	s_and_saveexec_b64 s[34:35], s[30:31]
	s_cbranch_execnz .LBB90_20
.LBB90_14:                              ;   in Loop: Header=BB90_9 Depth=1
	s_or_b64 exec, exec, s[34:35]
	v_add_u32_e32 v17, v8, v12
	s_and_saveexec_b64 s[34:35], s[4:5]
	s_cbranch_execnz .LBB90_21
.LBB90_15:                              ;   in Loop: Header=BB90_9 Depth=1
	s_or_b64 exec, exec, s[34:35]
	s_and_saveexec_b64 s[34:35], s[6:7]
	s_cbranch_execnz .LBB90_22
.LBB90_16:                              ;   in Loop: Header=BB90_9 Depth=1
	s_or_b64 exec, exec, s[34:35]
	s_and_saveexec_b64 s[34:35], s[8:9]
	s_cbranch_execnz .LBB90_23
.LBB90_17:                              ;   in Loop: Header=BB90_9 Depth=1
	s_or_b64 exec, exec, s[34:35]
	s_and_saveexec_b64 s[34:35], s[2:3]
	s_cbranch_execz .LBB90_8
	s_branch .LBB90_24
.LBB90_18:                              ;   in Loop: Header=BB90_9 Depth=1
	v_add3_u32 v14, v8, v13, 32
	v_cndmask_b32_e32 v14, v16, v14, vcc
	v_ashrrev_i32_e32 v15, 31, v14
	v_lshlrev_b64 v[14:15], 3, v[14:15]
	v_mov_b32_e32 v17, s21
	v_add_co_u32_e64 v14, s[0:1], s20, v14
	v_addc_co_u32_e64 v15, s[0:1], v17, v15, s[0:1]
	global_load_dwordx2 v[14:15], v[14:15], off
	v_add3_u32 v18, v8, v3, 32
	v_ashrrev_i32_e32 v19, 31, v18
	v_lshlrev_b64 v[20:21], 2, v[18:19]
	v_mov_b32_e32 v17, s23
	v_add_co_u32_e64 v20, s[0:1], s22, v20
	v_addc_co_u32_e64 v21, s[0:1], v17, v21, s[0:1]
	v_lshlrev_b64 v[18:19], 3, v[18:19]
	v_mov_b32_e32 v17, s19
	v_add_co_u32_e64 v18, s[0:1], s18, v18
	v_addc_co_u32_e64 v19, s[0:1], v17, v19, s[0:1]
	global_store_dword v[20:21], v7, off
	s_waitcnt vmcnt(1)
	global_store_dwordx2 v[18:19], v[14:15], off
	s_or_b64 exec, exec, s[34:35]
	v_add_u32_e32 v14, s12, v10
	s_and_saveexec_b64 s[34:35], s[28:29]
	s_cbranch_execz .LBB90_13
.LBB90_19:                              ;   in Loop: Header=BB90_9 Depth=1
	v_add3_u32 v15, v8, v13, 64
	v_add_u32_e32 v17, s37, v2
	v_cndmask_b32_e32 v18, v17, v15, vcc
	v_ashrrev_i32_e32 v19, 31, v18
	v_lshlrev_b64 v[18:19], 3, v[18:19]
	v_mov_b32_e32 v15, s21
	v_add_co_u32_e64 v18, s[0:1], s20, v18
	v_addc_co_u32_e64 v19, s[0:1], v15, v19, s[0:1]
	global_load_dwordx2 v[18:19], v[18:19], off
	v_add3_u32 v20, v8, v3, 64
	v_ashrrev_i32_e32 v21, 31, v20
	v_lshlrev_b64 v[22:23], 2, v[20:21]
	v_mov_b32_e32 v15, s23
	v_add_co_u32_e64 v22, s[0:1], s22, v22
	v_addc_co_u32_e64 v23, s[0:1], v15, v23, s[0:1]
	v_lshlrev_b64 v[20:21], 3, v[20:21]
	v_mov_b32_e32 v15, s19
	v_add_co_u32_e64 v20, s[0:1], s18, v20
	v_addc_co_u32_e64 v21, s[0:1], v15, v21, s[0:1]
	global_store_dword v[22:23], v14, off
	s_waitcnt vmcnt(1)
	global_store_dwordx2 v[20:21], v[18:19], off
	s_or_b64 exec, exec, s[34:35]
	v_add_u32_e32 v15, s12, v11
	s_and_saveexec_b64 s[34:35], s[30:31]
	s_cbranch_execz .LBB90_14
.LBB90_20:                              ;   in Loop: Header=BB90_9 Depth=1
	v_add3_u32 v17, v8, v13, s38
	v_add_u32_e32 v18, s37, v0
	v_cndmask_b32_e32 v18, v18, v17, vcc
	v_ashrrev_i32_e32 v19, 31, v18
	v_lshlrev_b64 v[18:19], 3, v[18:19]
	v_mov_b32_e32 v17, s21
	v_add_co_u32_e64 v18, s[0:1], s20, v18
	v_addc_co_u32_e64 v19, s[0:1], v17, v19, s[0:1]
	global_load_dwordx2 v[18:19], v[18:19], off
	v_add3_u32 v20, v8, v3, s38
	v_ashrrev_i32_e32 v21, 31, v20
	v_lshlrev_b64 v[22:23], 2, v[20:21]
	v_mov_b32_e32 v17, s23
	v_add_co_u32_e64 v22, s[0:1], s22, v22
	v_addc_co_u32_e64 v23, s[0:1], v17, v23, s[0:1]
	v_lshlrev_b64 v[20:21], 3, v[20:21]
	v_mov_b32_e32 v17, s19
	v_add_co_u32_e64 v20, s[0:1], s18, v20
	v_addc_co_u32_e64 v21, s[0:1], v17, v21, s[0:1]
	global_store_dword v[22:23], v15, off
	s_waitcnt vmcnt(1)
	global_store_dwordx2 v[20:21], v[18:19], off
	s_or_b64 exec, exec, s[34:35]
	v_add_u32_e32 v17, v8, v12
	s_and_saveexec_b64 s[34:35], s[4:5]
	s_cbranch_execz .LBB90_15
.LBB90_21:                              ;   in Loop: Header=BB90_9 Depth=1
	v_add3_u32 v18, v6, s37, 32
	v_cndmask_b32_e32 v18, v18, v17, vcc
	v_ashrrev_i32_e32 v19, 31, v18
	v_lshlrev_b64 v[18:19], 3, v[18:19]
	v_mov_b32_e32 v20, s21
	v_add_co_u32_e64 v18, s[0:1], s20, v18
	v_addc_co_u32_e64 v19, s[0:1], v20, v19, s[0:1]
	global_load_dwordx2 v[18:19], v[18:19], off
	v_add_u32_e32 v20, v8, v1
	v_ashrrev_i32_e32 v21, 31, v20
	v_lshlrev_b64 v[22:23], 2, v[20:21]
	v_mov_b32_e32 v24, s23
	v_add_co_u32_e64 v22, s[0:1], s22, v22
	v_addc_co_u32_e64 v23, s[0:1], v24, v23, s[0:1]
	v_lshlrev_b64 v[20:21], 3, v[20:21]
	global_store_dword v[22:23], v5, off
	v_mov_b32_e32 v5, s19
	v_add_co_u32_e64 v20, s[0:1], s18, v20
	v_addc_co_u32_e64 v21, s[0:1], v5, v21, s[0:1]
	s_waitcnt vmcnt(1)
	global_store_dwordx2 v[20:21], v[18:19], off
	s_or_b64 exec, exec, s[34:35]
	s_and_saveexec_b64 s[34:35], s[6:7]
	s_cbranch_execz .LBB90_16
.LBB90_22:                              ;   in Loop: Header=BB90_9 Depth=1
	v_cndmask_b32_e32 v5, v16, v17, vcc
	v_add_u32_e32 v16, 32, v5
	v_ashrrev_i32_e32 v17, 31, v16
	v_lshlrev_b64 v[16:17], 3, v[16:17]
	v_mov_b32_e32 v5, s21
	v_add_co_u32_e64 v16, s[0:1], s20, v16
	v_addc_co_u32_e64 v17, s[0:1], v5, v17, s[0:1]
	global_load_dwordx2 v[16:17], v[16:17], off
	v_add3_u32 v18, v8, v1, 32
	v_ashrrev_i32_e32 v19, 31, v18
	v_lshlrev_b64 v[20:21], 2, v[18:19]
	v_mov_b32_e32 v5, s23
	v_add_co_u32_e64 v20, s[0:1], s22, v20
	v_addc_co_u32_e64 v21, s[0:1], v5, v21, s[0:1]
	v_lshlrev_b64 v[18:19], 3, v[18:19]
	v_mov_b32_e32 v5, s19
	v_add_co_u32_e64 v18, s[0:1], s18, v18
	v_addc_co_u32_e64 v19, s[0:1], v5, v19, s[0:1]
	global_store_dword v[20:21], v7, off
	s_waitcnt vmcnt(1)
	global_store_dwordx2 v[18:19], v[16:17], off
	s_or_b64 exec, exec, s[34:35]
	s_and_saveexec_b64 s[34:35], s[8:9]
	s_cbranch_execz .LBB90_17
.LBB90_23:                              ;   in Loop: Header=BB90_9 Depth=1
	v_add3_u32 v5, v8, v12, 64
	v_add3_u32 v7, v2, s37, 32
	v_cndmask_b32_e32 v16, v7, v5, vcc
	v_ashrrev_i32_e32 v17, 31, v16
	v_lshlrev_b64 v[16:17], 3, v[16:17]
	v_mov_b32_e32 v5, s21
	v_add_co_u32_e64 v16, s[0:1], s20, v16
	v_addc_co_u32_e64 v17, s[0:1], v5, v17, s[0:1]
	global_load_dwordx2 v[16:17], v[16:17], off
	v_add3_u32 v18, v8, v1, 64
	v_ashrrev_i32_e32 v19, 31, v18
	v_lshlrev_b64 v[20:21], 2, v[18:19]
	v_mov_b32_e32 v5, s23
	v_add_co_u32_e64 v20, s[0:1], s22, v20
	v_addc_co_u32_e64 v21, s[0:1], v5, v21, s[0:1]
	v_lshlrev_b64 v[18:19], 3, v[18:19]
	v_mov_b32_e32 v5, s19
	v_add_co_u32_e64 v18, s[0:1], s18, v18
	v_addc_co_u32_e64 v19, s[0:1], v5, v19, s[0:1]
	global_store_dword v[20:21], v14, off
	s_waitcnt vmcnt(1)
	global_store_dwordx2 v[18:19], v[16:17], off
	s_or_b64 exec, exec, s[34:35]
	s_and_saveexec_b64 s[34:35], s[2:3]
	s_cbranch_execz .LBB90_8
.LBB90_24:                              ;   in Loop: Header=BB90_9 Depth=1
	v_add3_u32 v5, v8, v12, s38
	v_add3_u32 v7, v0, s37, 32
	v_cndmask_b32_e32 v16, v7, v5, vcc
	v_ashrrev_i32_e32 v17, 31, v16
	v_lshlrev_b64 v[16:17], 3, v[16:17]
	v_mov_b32_e32 v5, s21
	v_add_co_u32_e64 v16, s[0:1], s20, v16
	v_addc_co_u32_e64 v17, s[0:1], v5, v17, s[0:1]
	global_load_dwordx2 v[16:17], v[16:17], off
	v_add3_u32 v18, v8, v1, s38
	v_ashrrev_i32_e32 v19, 31, v18
	v_lshlrev_b64 v[20:21], 2, v[18:19]
	v_mov_b32_e32 v5, s23
	v_add_co_u32_e64 v20, s[0:1], s22, v20
	v_addc_co_u32_e64 v21, s[0:1], v5, v21, s[0:1]
	global_store_dword v[20:21], v15, off
	v_lshlrev_b64 v[14:15], 3, v[18:19]
	v_mov_b32_e32 v5, s19
	v_add_co_u32_e64 v14, s[0:1], s18, v14
	v_addc_co_u32_e64 v15, s[0:1], v5, v15, s[0:1]
	s_waitcnt vmcnt(1)
	global_store_dwordx2 v[14:15], v[16:17], off
	s_branch .LBB90_8
.LBB90_25:
	s_endpgm
	.section	.rodata,"a",@progbits
	.p2align	6, 0x0
	.amdhsa_kernel _ZN9rocsparseL37gebsr2csr_block_per_row_33_128_kernelILi1024ELi64ELi128ELi32ELi32EdEEv20rocsparse_direction_ii21rocsparse_index_base_PKT4_PKiS7_iiS2_PS3_PiS9_
		.amdhsa_group_segment_fixed_size 0
		.amdhsa_private_segment_fixed_size 0
		.amdhsa_kernarg_size 80
		.amdhsa_user_sgpr_count 6
		.amdhsa_user_sgpr_private_segment_buffer 1
		.amdhsa_user_sgpr_dispatch_ptr 0
		.amdhsa_user_sgpr_queue_ptr 0
		.amdhsa_user_sgpr_kernarg_segment_ptr 1
		.amdhsa_user_sgpr_dispatch_id 0
		.amdhsa_user_sgpr_flat_scratch_init 0
		.amdhsa_user_sgpr_kernarg_preload_length 0
		.amdhsa_user_sgpr_kernarg_preload_offset 0
		.amdhsa_user_sgpr_private_segment_size 0
		.amdhsa_uses_dynamic_stack 0
		.amdhsa_system_sgpr_private_segment_wavefront_offset 0
		.amdhsa_system_sgpr_workgroup_id_x 1
		.amdhsa_system_sgpr_workgroup_id_y 0
		.amdhsa_system_sgpr_workgroup_id_z 0
		.amdhsa_system_sgpr_workgroup_info 0
		.amdhsa_system_vgpr_workitem_id 0
		.amdhsa_next_free_vgpr 25
		.amdhsa_next_free_sgpr 42
		.amdhsa_accum_offset 28
		.amdhsa_reserve_vcc 1
		.amdhsa_reserve_flat_scratch 0
		.amdhsa_float_round_mode_32 0
		.amdhsa_float_round_mode_16_64 0
		.amdhsa_float_denorm_mode_32 3
		.amdhsa_float_denorm_mode_16_64 3
		.amdhsa_dx10_clamp 1
		.amdhsa_ieee_mode 1
		.amdhsa_fp16_overflow 0
		.amdhsa_tg_split 0
		.amdhsa_exception_fp_ieee_invalid_op 0
		.amdhsa_exception_fp_denorm_src 0
		.amdhsa_exception_fp_ieee_div_zero 0
		.amdhsa_exception_fp_ieee_overflow 0
		.amdhsa_exception_fp_ieee_underflow 0
		.amdhsa_exception_fp_ieee_inexact 0
		.amdhsa_exception_int_div_zero 0
	.end_amdhsa_kernel
	.section	.text._ZN9rocsparseL37gebsr2csr_block_per_row_33_128_kernelILi1024ELi64ELi128ELi32ELi32EdEEv20rocsparse_direction_ii21rocsparse_index_base_PKT4_PKiS7_iiS2_PS3_PiS9_,"axG",@progbits,_ZN9rocsparseL37gebsr2csr_block_per_row_33_128_kernelILi1024ELi64ELi128ELi32ELi32EdEEv20rocsparse_direction_ii21rocsparse_index_base_PKT4_PKiS7_iiS2_PS3_PiS9_,comdat
.Lfunc_end90:
	.size	_ZN9rocsparseL37gebsr2csr_block_per_row_33_128_kernelILi1024ELi64ELi128ELi32ELi32EdEEv20rocsparse_direction_ii21rocsparse_index_base_PKT4_PKiS7_iiS2_PS3_PiS9_, .Lfunc_end90-_ZN9rocsparseL37gebsr2csr_block_per_row_33_128_kernelILi1024ELi64ELi128ELi32ELi32EdEEv20rocsparse_direction_ii21rocsparse_index_base_PKT4_PKiS7_iiS2_PS3_PiS9_
                                        ; -- End function
	.section	.AMDGPU.csdata,"",@progbits
; Kernel info:
; codeLenInByte = 2008
; NumSgprs: 46
; NumVgprs: 25
; NumAgprs: 0
; TotalNumVgprs: 25
; ScratchSize: 0
; MemoryBound: 0
; FloatMode: 240
; IeeeMode: 1
; LDSByteSize: 0 bytes/workgroup (compile time only)
; SGPRBlocks: 5
; VGPRBlocks: 3
; NumSGPRsForWavesPerEU: 46
; NumVGPRsForWavesPerEU: 25
; AccumOffset: 28
; Occupancy: 8
; WaveLimiterHint : 1
; COMPUTE_PGM_RSRC2:SCRATCH_EN: 0
; COMPUTE_PGM_RSRC2:USER_SGPR: 6
; COMPUTE_PGM_RSRC2:TRAP_HANDLER: 0
; COMPUTE_PGM_RSRC2:TGID_X_EN: 1
; COMPUTE_PGM_RSRC2:TGID_Y_EN: 0
; COMPUTE_PGM_RSRC2:TGID_Z_EN: 0
; COMPUTE_PGM_RSRC2:TIDIG_COMP_CNT: 0
; COMPUTE_PGM_RSRC3_GFX90A:ACCUM_OFFSET: 6
; COMPUTE_PGM_RSRC3_GFX90A:TG_SPLIT: 0
	.section	.text._ZN9rocsparseL37gebsr2csr_block_per_row_33_128_kernelILi1024ELi128ELi2ELi32ELi2EdEEv20rocsparse_direction_ii21rocsparse_index_base_PKT4_PKiS7_iiS2_PS3_PiS9_,"axG",@progbits,_ZN9rocsparseL37gebsr2csr_block_per_row_33_128_kernelILi1024ELi128ELi2ELi32ELi2EdEEv20rocsparse_direction_ii21rocsparse_index_base_PKT4_PKiS7_iiS2_PS3_PiS9_,comdat
	.globl	_ZN9rocsparseL37gebsr2csr_block_per_row_33_128_kernelILi1024ELi128ELi2ELi32ELi2EdEEv20rocsparse_direction_ii21rocsparse_index_base_PKT4_PKiS7_iiS2_PS3_PiS9_ ; -- Begin function _ZN9rocsparseL37gebsr2csr_block_per_row_33_128_kernelILi1024ELi128ELi2ELi32ELi2EdEEv20rocsparse_direction_ii21rocsparse_index_base_PKT4_PKiS7_iiS2_PS3_PiS9_
	.p2align	8
	.type	_ZN9rocsparseL37gebsr2csr_block_per_row_33_128_kernelILi1024ELi128ELi2ELi32ELi2EdEEv20rocsparse_direction_ii21rocsparse_index_base_PKT4_PKiS7_iiS2_PS3_PiS9_,@function
_ZN9rocsparseL37gebsr2csr_block_per_row_33_128_kernelILi1024ELi128ELi2ELi32ELi2EdEEv20rocsparse_direction_ii21rocsparse_index_base_PKT4_PKiS7_iiS2_PS3_PiS9_: ; @_ZN9rocsparseL37gebsr2csr_block_per_row_33_128_kernelILi1024ELi128ELi2ELi32ELi2EdEEv20rocsparse_direction_ii21rocsparse_index_base_PKT4_PKiS7_iiS2_PS3_PiS9_
; %bb.0:
	s_load_dwordx2 s[0:1], s[4:5], 0x18
	s_load_dwordx4 s[12:15], s[4:5], 0x28
	s_load_dwordx2 s[2:3], s[4:5], 0x40
	s_ashr_i32 s7, s6, 31
	s_lshl_b64 s[8:9], s[6:7], 2
	s_waitcnt lgkmcnt(0)
	s_add_u32 s0, s0, s8
	s_addc_u32 s1, s1, s9
	s_load_dwordx2 s[22:23], s[0:1], 0x0
	v_or_b32_e32 v1, s6, v0
	v_cmp_eq_u32_e32 vcc, 0, v1
	s_and_saveexec_b64 s[0:1], vcc
	s_cbranch_execz .LBB91_2
; %bb.1:
	v_mov_b32_e32 v1, 0
	v_mov_b32_e32 v2, s14
	global_store_dword v1, v2, s[2:3]
.LBB91_2:
	s_or_b64 exec, exec, s[0:1]
	s_load_dword s24, s[4:5], 0xc
	v_lshrrev_b32_e32 v2, 1, v0
	s_mul_i32 s15, s6, s12
	s_waitcnt lgkmcnt(0)
	s_sub_i32 s10, s22, s24
	s_sub_i32 s25, s23, s24
	s_mul_i32 s11, s10, s13
	s_sub_i32 s27, s25, s10
	s_mul_i32 s0, s11, s12
	s_mul_i32 s18, s27, s13
	s_add_i32 s19, s0, s14
	s_add_i32 s19, s19, s18
	v_cmp_gt_i32_e64 s[0:1], s12, v2
	s_and_saveexec_b64 s[6:7], s[0:1]
	s_cbranch_execz .LBB91_4
; %bb.3:
	v_add_u32_e32 v4, s15, v2
	v_ashrrev_i32_e32 v5, 31, v4
	v_lshlrev_b64 v[4:5], 2, v[4:5]
	v_mul_lo_u32 v1, v2, s18
	v_mov_b32_e32 v3, s3
	v_add_co_u32_e32 v4, vcc, s2, v4
	v_add_u32_e32 v1, s19, v1
	v_addc_co_u32_e32 v5, vcc, v3, v5, vcc
	global_store_dword v[4:5], v1, off offset:4
.LBB91_4:
	s_or_b64 exec, exec, s[6:7]
	s_add_u32 s20, s2, 4
	v_add_u32_e32 v1, 32, v2
	s_addc_u32 s21, s3, 0
	v_cmp_gt_i32_e64 s[2:3], s12, v1
	s_and_saveexec_b64 s[6:7], s[2:3]
	s_cbranch_execz .LBB91_6
; %bb.5:
	s_ashr_i32 s8, s15, 31
	v_mov_b32_e32 v3, s8
	v_add_co_u32_e32 v4, vcc, s15, v2
	v_addc_co_u32_e32 v5, vcc, 0, v3, vcc
	v_lshlrev_b64 v[4:5], 2, v[4:5]
	v_mul_lo_u32 v1, v1, s18
	v_mov_b32_e32 v3, s21
	v_add_co_u32_e32 v4, vcc, s20, v4
	v_add_u32_e32 v1, s19, v1
	v_addc_co_u32_e32 v5, vcc, v3, v5, vcc
	global_store_dword v[4:5], v1, off offset:128
.LBB91_6:
	s_or_b64 exec, exec, s[6:7]
	v_add_u32_e32 v1, 64, v2
	v_cmp_gt_i32_e64 s[6:7], s12, v1
	s_and_saveexec_b64 s[8:9], s[6:7]
	s_cbranch_execz .LBB91_8
; %bb.7:
	s_ashr_i32 s16, s15, 31
	v_mov_b32_e32 v3, s16
	v_add_co_u32_e32 v4, vcc, s15, v2
	v_addc_co_u32_e32 v5, vcc, 0, v3, vcc
	v_lshlrev_b64 v[4:5], 2, v[4:5]
	v_mul_lo_u32 v1, v1, s18
	v_mov_b32_e32 v3, s21
	v_add_co_u32_e32 v4, vcc, s20, v4
	v_add_u32_e32 v1, s19, v1
	v_addc_co_u32_e32 v5, vcc, v3, v5, vcc
	global_store_dword v[4:5], v1, off offset:256
.LBB91_8:
	s_or_b64 exec, exec, s[8:9]
	v_add_u32_e32 v1, 0x60, v2
	v_cmp_gt_i32_e64 s[8:9], s12, v1
	s_and_saveexec_b64 s[16:17], s[8:9]
	s_cbranch_execz .LBB91_10
; %bb.9:
	v_mul_lo_u32 v1, v1, s18
	s_ashr_i32 s18, s15, 31
	v_mov_b32_e32 v3, s18
	v_add_co_u32_e32 v4, vcc, s15, v2
	v_addc_co_u32_e32 v5, vcc, 0, v3, vcc
	v_lshlrev_b64 v[4:5], 2, v[4:5]
	v_mov_b32_e32 v3, s21
	v_add_co_u32_e32 v4, vcc, s20, v4
	v_add_u32_e32 v1, s19, v1
	v_addc_co_u32_e32 v5, vcc, v3, v5, vcc
	global_store_dword v[4:5], v1, off offset:384
.LBB91_10:
	s_or_b64 exec, exec, s[16:17]
	s_cmp_lt_i32 s22, s23
	s_cbranch_scc0 .LBB91_21
; %bb.11:
	s_load_dwordx2 s[28:29], s[4:5], 0x20
	s_load_dwordx2 s[16:17], s[4:5], 0x38
	;; [unrolled: 1-line block ×4, first 2 shown]
	s_load_dword s15, s[4:5], 0x0
	v_and_b32_e32 v3, 1, v0
	v_cmp_gt_i32_e64 s[4:5], s13, v3
	v_add_u32_e32 v4, s14, v3
	v_mul_lo_u32 v9, v2, s27
	s_waitcnt lgkmcnt(0)
	s_cmp_eq_u32 s15, 0
	s_cselect_b64 vcc, -1, 0
	s_and_b64 s[14:15], s[4:5], s[0:1]
	s_and_b64 s[2:3], s[4:5], s[2:3]
	;; [unrolled: 1-line block ×4, first 2 shown]
	s_mul_i32 s8, s12, s10
	v_add_u32_e32 v0, s8, v2
	v_add_u32_e32 v1, 0x60, v0
	v_mul_lo_u32 v5, s13, v1
	v_add_u32_e32 v1, 64, v0
	v_mul_lo_u32 v6, s13, v1
	;; [unrolled: 2-line block ×4, first 2 shown]
	v_mad_u64_u32 v[0:1], s[0:1], s12, v0, v[2:3]
	v_add_u32_e32 v10, s8, v9
	s_mul_i32 s0, s23, 0x60
	v_add_u32_e32 v1, s0, v10
	s_mul_i32 s0, s22, 0x60
	v_subrev_u32_e32 v1, s0, v1
	v_lshl_add_u32 v2, s23, 6, v10
	s_lshl_b32 s0, s22, 6
	v_subrev_u32_e32 v2, s0, v2
	v_lshl_add_u32 v9, s23, 5, v10
	s_lshl_b32 s0, s22, 5
	s_ashr_i32 s11, s10, 31
	v_subrev_u32_e32 v9, s0, v9
	s_lshl_b64 s[0:1], s[10:11], 2
	s_add_u32 s8, s28, s0
	s_mul_i32 s26, s13, s12
	v_mul_lo_u32 v1, s13, v1
	v_mul_lo_u32 v2, s13, v2
	;; [unrolled: 1-line block ×4, first 2 shown]
	s_addc_u32 s9, s29, s1
	s_branch .LBB91_13
.LBB91_12:                              ;   in Loop: Header=BB91_13 Depth=1
	s_or_b64 exec, exec, s[22:23]
	s_add_i32 s10, s10, 1
	s_add_u32 s8, s8, 4
	s_addc_u32 s9, s9, 0
	v_add_u32_e32 v5, s26, v5
	v_add_u32_e32 v6, s26, v6
	;; [unrolled: 1-line block ×8, first 2 shown]
	s_cmp_ge_i32 s10, s25
	v_add_u32_e32 v10, s13, v10
	s_cbranch_scc1 .LBB91_21
.LBB91_13:                              ; =>This Inner Loop Header: Depth=1
	s_load_dword s0, s[8:9], 0x0
	s_waitcnt lgkmcnt(0)
	s_sub_i32 s0, s0, s24
	s_mul_i32 s0, s0, s13
	v_add_u32_e32 v11, s0, v4
	s_and_saveexec_b64 s[22:23], s[14:15]
	s_cbranch_execnz .LBB91_17
; %bb.14:                               ;   in Loop: Header=BB91_13 Depth=1
	s_or_b64 exec, exec, s[22:23]
	s_and_saveexec_b64 s[22:23], s[2:3]
	s_cbranch_execnz .LBB91_18
.LBB91_15:                              ;   in Loop: Header=BB91_13 Depth=1
	s_or_b64 exec, exec, s[22:23]
	s_and_saveexec_b64 s[22:23], s[6:7]
	s_cbranch_execnz .LBB91_19
.LBB91_16:                              ;   in Loop: Header=BB91_13 Depth=1
	s_or_b64 exec, exec, s[22:23]
	s_and_saveexec_b64 s[22:23], s[4:5]
	s_cbranch_execz .LBB91_12
	s_branch .LBB91_20
.LBB91_17:                              ;   in Loop: Header=BB91_13 Depth=1
	v_add_u32_e32 v12, v3, v8
	v_cndmask_b32_e32 v12, v0, v12, vcc
	v_ashrrev_i32_e32 v13, 31, v12
	v_lshlrev_b64 v[12:13], 3, v[12:13]
	v_mov_b32_e32 v14, s21
	v_add_co_u32_e64 v12, s[0:1], s20, v12
	v_addc_co_u32_e64 v13, s[0:1], v14, v13, s[0:1]
	global_load_dwordx2 v[12:13], v[12:13], off
	v_add_u32_e32 v14, v3, v10
	v_ashrrev_i32_e32 v15, 31, v14
	v_lshlrev_b64 v[16:17], 2, v[14:15]
	v_mov_b32_e32 v18, s19
	v_add_co_u32_e64 v16, s[0:1], s18, v16
	v_addc_co_u32_e64 v17, s[0:1], v18, v17, s[0:1]
	v_lshlrev_b64 v[14:15], 3, v[14:15]
	global_store_dword v[16:17], v11, off
	v_mov_b32_e32 v16, s17
	v_add_co_u32_e64 v14, s[0:1], s16, v14
	v_addc_co_u32_e64 v15, s[0:1], v16, v15, s[0:1]
	s_waitcnt vmcnt(1)
	global_store_dwordx2 v[14:15], v[12:13], off
	s_or_b64 exec, exec, s[22:23]
	s_and_saveexec_b64 s[22:23], s[2:3]
	s_cbranch_execz .LBB91_15
.LBB91_18:                              ;   in Loop: Header=BB91_13 Depth=1
	v_add_u32_e32 v12, v3, v7
	v_add_u32_e32 v13, 32, v0
	v_cndmask_b32_e32 v12, v13, v12, vcc
	v_ashrrev_i32_e32 v13, 31, v12
	v_lshlrev_b64 v[12:13], 3, v[12:13]
	v_mov_b32_e32 v14, s21
	v_add_co_u32_e64 v12, s[0:1], s20, v12
	v_addc_co_u32_e64 v13, s[0:1], v14, v13, s[0:1]
	global_load_dwordx2 v[12:13], v[12:13], off
	v_add_u32_e32 v14, v3, v9
	v_ashrrev_i32_e32 v15, 31, v14
	v_lshlrev_b64 v[16:17], 2, v[14:15]
	v_mov_b32_e32 v18, s19
	v_add_co_u32_e64 v16, s[0:1], s18, v16
	v_addc_co_u32_e64 v17, s[0:1], v18, v17, s[0:1]
	v_lshlrev_b64 v[14:15], 3, v[14:15]
	global_store_dword v[16:17], v11, off
	v_mov_b32_e32 v16, s17
	v_add_co_u32_e64 v14, s[0:1], s16, v14
	v_addc_co_u32_e64 v15, s[0:1], v16, v15, s[0:1]
	s_waitcnt vmcnt(1)
	global_store_dwordx2 v[14:15], v[12:13], off
	s_or_b64 exec, exec, s[22:23]
	s_and_saveexec_b64 s[22:23], s[6:7]
	s_cbranch_execz .LBB91_16
.LBB91_19:                              ;   in Loop: Header=BB91_13 Depth=1
	v_add_u32_e32 v12, v3, v6
	v_add_u32_e32 v13, 64, v0
	v_cndmask_b32_e32 v12, v13, v12, vcc
	v_ashrrev_i32_e32 v13, 31, v12
	v_lshlrev_b64 v[12:13], 3, v[12:13]
	v_mov_b32_e32 v14, s21
	v_add_co_u32_e64 v12, s[0:1], s20, v12
	v_addc_co_u32_e64 v13, s[0:1], v14, v13, s[0:1]
	global_load_dwordx2 v[12:13], v[12:13], off
	v_add_u32_e32 v14, v3, v2
	v_ashrrev_i32_e32 v15, 31, v14
	v_lshlrev_b64 v[16:17], 2, v[14:15]
	v_mov_b32_e32 v18, s19
	v_add_co_u32_e64 v16, s[0:1], s18, v16
	v_addc_co_u32_e64 v17, s[0:1], v18, v17, s[0:1]
	v_lshlrev_b64 v[14:15], 3, v[14:15]
	global_store_dword v[16:17], v11, off
	v_mov_b32_e32 v16, s17
	v_add_co_u32_e64 v14, s[0:1], s16, v14
	v_addc_co_u32_e64 v15, s[0:1], v16, v15, s[0:1]
	s_waitcnt vmcnt(1)
	global_store_dwordx2 v[14:15], v[12:13], off
	s_or_b64 exec, exec, s[22:23]
	s_and_saveexec_b64 s[22:23], s[4:5]
	s_cbranch_execz .LBB91_12
.LBB91_20:                              ;   in Loop: Header=BB91_13 Depth=1
	v_add_u32_e32 v12, v3, v5
	v_add_u32_e32 v13, 0x60, v0
	v_cndmask_b32_e32 v12, v13, v12, vcc
	v_ashrrev_i32_e32 v13, 31, v12
	v_lshlrev_b64 v[12:13], 3, v[12:13]
	v_mov_b32_e32 v14, s21
	v_add_co_u32_e64 v12, s[0:1], s20, v12
	v_addc_co_u32_e64 v13, s[0:1], v14, v13, s[0:1]
	global_load_dwordx2 v[12:13], v[12:13], off
	v_add_u32_e32 v14, v3, v1
	v_ashrrev_i32_e32 v15, 31, v14
	v_lshlrev_b64 v[16:17], 2, v[14:15]
	v_mov_b32_e32 v18, s19
	v_add_co_u32_e64 v16, s[0:1], s18, v16
	v_addc_co_u32_e64 v17, s[0:1], v18, v17, s[0:1]
	v_lshlrev_b64 v[14:15], 3, v[14:15]
	global_store_dword v[16:17], v11, off
	v_mov_b32_e32 v11, s17
	v_add_co_u32_e64 v14, s[0:1], s16, v14
	v_addc_co_u32_e64 v15, s[0:1], v11, v15, s[0:1]
	s_waitcnt vmcnt(1)
	global_store_dwordx2 v[14:15], v[12:13], off
	s_branch .LBB91_12
.LBB91_21:
	s_endpgm
	.section	.rodata,"a",@progbits
	.p2align	6, 0x0
	.amdhsa_kernel _ZN9rocsparseL37gebsr2csr_block_per_row_33_128_kernelILi1024ELi128ELi2ELi32ELi2EdEEv20rocsparse_direction_ii21rocsparse_index_base_PKT4_PKiS7_iiS2_PS3_PiS9_
		.amdhsa_group_segment_fixed_size 0
		.amdhsa_private_segment_fixed_size 0
		.amdhsa_kernarg_size 80
		.amdhsa_user_sgpr_count 6
		.amdhsa_user_sgpr_private_segment_buffer 1
		.amdhsa_user_sgpr_dispatch_ptr 0
		.amdhsa_user_sgpr_queue_ptr 0
		.amdhsa_user_sgpr_kernarg_segment_ptr 1
		.amdhsa_user_sgpr_dispatch_id 0
		.amdhsa_user_sgpr_flat_scratch_init 0
		.amdhsa_user_sgpr_kernarg_preload_length 0
		.amdhsa_user_sgpr_kernarg_preload_offset 0
		.amdhsa_user_sgpr_private_segment_size 0
		.amdhsa_uses_dynamic_stack 0
		.amdhsa_system_sgpr_private_segment_wavefront_offset 0
		.amdhsa_system_sgpr_workgroup_id_x 1
		.amdhsa_system_sgpr_workgroup_id_y 0
		.amdhsa_system_sgpr_workgroup_id_z 0
		.amdhsa_system_sgpr_workgroup_info 0
		.amdhsa_system_vgpr_workitem_id 0
		.amdhsa_next_free_vgpr 19
		.amdhsa_next_free_sgpr 30
		.amdhsa_accum_offset 20
		.amdhsa_reserve_vcc 1
		.amdhsa_reserve_flat_scratch 0
		.amdhsa_float_round_mode_32 0
		.amdhsa_float_round_mode_16_64 0
		.amdhsa_float_denorm_mode_32 3
		.amdhsa_float_denorm_mode_16_64 3
		.amdhsa_dx10_clamp 1
		.amdhsa_ieee_mode 1
		.amdhsa_fp16_overflow 0
		.amdhsa_tg_split 0
		.amdhsa_exception_fp_ieee_invalid_op 0
		.amdhsa_exception_fp_denorm_src 0
		.amdhsa_exception_fp_ieee_div_zero 0
		.amdhsa_exception_fp_ieee_overflow 0
		.amdhsa_exception_fp_ieee_underflow 0
		.amdhsa_exception_fp_ieee_inexact 0
		.amdhsa_exception_int_div_zero 0
	.end_amdhsa_kernel
	.section	.text._ZN9rocsparseL37gebsr2csr_block_per_row_33_128_kernelILi1024ELi128ELi2ELi32ELi2EdEEv20rocsparse_direction_ii21rocsparse_index_base_PKT4_PKiS7_iiS2_PS3_PiS9_,"axG",@progbits,_ZN9rocsparseL37gebsr2csr_block_per_row_33_128_kernelILi1024ELi128ELi2ELi32ELi2EdEEv20rocsparse_direction_ii21rocsparse_index_base_PKT4_PKiS7_iiS2_PS3_PiS9_,comdat
.Lfunc_end91:
	.size	_ZN9rocsparseL37gebsr2csr_block_per_row_33_128_kernelILi1024ELi128ELi2ELi32ELi2EdEEv20rocsparse_direction_ii21rocsparse_index_base_PKT4_PKiS7_iiS2_PS3_PiS9_, .Lfunc_end91-_ZN9rocsparseL37gebsr2csr_block_per_row_33_128_kernelILi1024ELi128ELi2ELi32ELi2EdEEv20rocsparse_direction_ii21rocsparse_index_base_PKT4_PKiS7_iiS2_PS3_PiS9_
                                        ; -- End function
	.section	.AMDGPU.csdata,"",@progbits
; Kernel info:
; codeLenInByte = 1464
; NumSgprs: 34
; NumVgprs: 19
; NumAgprs: 0
; TotalNumVgprs: 19
; ScratchSize: 0
; MemoryBound: 0
; FloatMode: 240
; IeeeMode: 1
; LDSByteSize: 0 bytes/workgroup (compile time only)
; SGPRBlocks: 4
; VGPRBlocks: 2
; NumSGPRsForWavesPerEU: 34
; NumVGPRsForWavesPerEU: 19
; AccumOffset: 20
; Occupancy: 8
; WaveLimiterHint : 0
; COMPUTE_PGM_RSRC2:SCRATCH_EN: 0
; COMPUTE_PGM_RSRC2:USER_SGPR: 6
; COMPUTE_PGM_RSRC2:TRAP_HANDLER: 0
; COMPUTE_PGM_RSRC2:TGID_X_EN: 1
; COMPUTE_PGM_RSRC2:TGID_Y_EN: 0
; COMPUTE_PGM_RSRC2:TGID_Z_EN: 0
; COMPUTE_PGM_RSRC2:TIDIG_COMP_CNT: 0
; COMPUTE_PGM_RSRC3_GFX90A:ACCUM_OFFSET: 4
; COMPUTE_PGM_RSRC3_GFX90A:TG_SPLIT: 0
	.section	.text._ZN9rocsparseL37gebsr2csr_block_per_row_33_128_kernelILi1024ELi128ELi4ELi32ELi4EdEEv20rocsparse_direction_ii21rocsparse_index_base_PKT4_PKiS7_iiS2_PS3_PiS9_,"axG",@progbits,_ZN9rocsparseL37gebsr2csr_block_per_row_33_128_kernelILi1024ELi128ELi4ELi32ELi4EdEEv20rocsparse_direction_ii21rocsparse_index_base_PKT4_PKiS7_iiS2_PS3_PiS9_,comdat
	.globl	_ZN9rocsparseL37gebsr2csr_block_per_row_33_128_kernelILi1024ELi128ELi4ELi32ELi4EdEEv20rocsparse_direction_ii21rocsparse_index_base_PKT4_PKiS7_iiS2_PS3_PiS9_ ; -- Begin function _ZN9rocsparseL37gebsr2csr_block_per_row_33_128_kernelILi1024ELi128ELi4ELi32ELi4EdEEv20rocsparse_direction_ii21rocsparse_index_base_PKT4_PKiS7_iiS2_PS3_PiS9_
	.p2align	8
	.type	_ZN9rocsparseL37gebsr2csr_block_per_row_33_128_kernelILi1024ELi128ELi4ELi32ELi4EdEEv20rocsparse_direction_ii21rocsparse_index_base_PKT4_PKiS7_iiS2_PS3_PiS9_,@function
_ZN9rocsparseL37gebsr2csr_block_per_row_33_128_kernelILi1024ELi128ELi4ELi32ELi4EdEEv20rocsparse_direction_ii21rocsparse_index_base_PKT4_PKiS7_iiS2_PS3_PiS9_: ; @_ZN9rocsparseL37gebsr2csr_block_per_row_33_128_kernelILi1024ELi128ELi4ELi32ELi4EdEEv20rocsparse_direction_ii21rocsparse_index_base_PKT4_PKiS7_iiS2_PS3_PiS9_
; %bb.0:
	s_load_dwordx2 s[0:1], s[4:5], 0x18
	s_load_dwordx4 s[12:15], s[4:5], 0x28
	s_load_dwordx2 s[2:3], s[4:5], 0x40
	s_ashr_i32 s7, s6, 31
	s_lshl_b64 s[8:9], s[6:7], 2
	s_waitcnt lgkmcnt(0)
	s_add_u32 s0, s0, s8
	s_addc_u32 s1, s1, s9
	s_load_dwordx2 s[22:23], s[0:1], 0x0
	v_or_b32_e32 v1, s6, v0
	v_cmp_eq_u32_e32 vcc, 0, v1
	s_and_saveexec_b64 s[0:1], vcc
	s_cbranch_execz .LBB92_2
; %bb.1:
	v_mov_b32_e32 v1, 0
	v_mov_b32_e32 v2, s14
	global_store_dword v1, v2, s[2:3]
.LBB92_2:
	s_or_b64 exec, exec, s[0:1]
	s_load_dword s24, s[4:5], 0xc
	v_lshrrev_b32_e32 v2, 2, v0
	s_mul_i32 s15, s6, s12
	s_waitcnt lgkmcnt(0)
	s_sub_i32 s10, s22, s24
	s_sub_i32 s25, s23, s24
	s_mul_i32 s11, s10, s13
	s_sub_i32 s27, s25, s10
	s_mul_i32 s0, s11, s12
	s_mul_i32 s18, s27, s13
	s_add_i32 s19, s0, s14
	s_add_i32 s19, s19, s18
	v_cmp_gt_i32_e64 s[0:1], s12, v2
	s_and_saveexec_b64 s[6:7], s[0:1]
	s_cbranch_execz .LBB92_4
; %bb.3:
	v_add_u32_e32 v4, s15, v2
	v_ashrrev_i32_e32 v5, 31, v4
	v_lshlrev_b64 v[4:5], 2, v[4:5]
	v_mul_lo_u32 v1, v2, s18
	v_mov_b32_e32 v3, s3
	v_add_co_u32_e32 v4, vcc, s2, v4
	v_add_u32_e32 v1, s19, v1
	v_addc_co_u32_e32 v5, vcc, v3, v5, vcc
	global_store_dword v[4:5], v1, off offset:4
.LBB92_4:
	s_or_b64 exec, exec, s[6:7]
	s_add_u32 s20, s2, 4
	v_add_u32_e32 v1, 32, v2
	s_addc_u32 s21, s3, 0
	v_cmp_gt_i32_e64 s[2:3], s12, v1
	s_and_saveexec_b64 s[6:7], s[2:3]
	s_cbranch_execz .LBB92_6
; %bb.5:
	s_ashr_i32 s8, s15, 31
	v_mov_b32_e32 v3, s8
	v_add_co_u32_e32 v4, vcc, s15, v2
	v_addc_co_u32_e32 v5, vcc, 0, v3, vcc
	v_lshlrev_b64 v[4:5], 2, v[4:5]
	v_mul_lo_u32 v1, v1, s18
	v_mov_b32_e32 v3, s21
	v_add_co_u32_e32 v4, vcc, s20, v4
	v_add_u32_e32 v1, s19, v1
	v_addc_co_u32_e32 v5, vcc, v3, v5, vcc
	global_store_dword v[4:5], v1, off offset:128
.LBB92_6:
	s_or_b64 exec, exec, s[6:7]
	v_add_u32_e32 v1, 64, v2
	v_cmp_gt_i32_e64 s[6:7], s12, v1
	s_and_saveexec_b64 s[8:9], s[6:7]
	s_cbranch_execz .LBB92_8
; %bb.7:
	s_ashr_i32 s16, s15, 31
	v_mov_b32_e32 v3, s16
	v_add_co_u32_e32 v4, vcc, s15, v2
	v_addc_co_u32_e32 v5, vcc, 0, v3, vcc
	v_lshlrev_b64 v[4:5], 2, v[4:5]
	v_mul_lo_u32 v1, v1, s18
	v_mov_b32_e32 v3, s21
	v_add_co_u32_e32 v4, vcc, s20, v4
	v_add_u32_e32 v1, s19, v1
	v_addc_co_u32_e32 v5, vcc, v3, v5, vcc
	global_store_dword v[4:5], v1, off offset:256
.LBB92_8:
	s_or_b64 exec, exec, s[8:9]
	v_add_u32_e32 v1, 0x60, v2
	v_cmp_gt_i32_e64 s[8:9], s12, v1
	s_and_saveexec_b64 s[16:17], s[8:9]
	s_cbranch_execz .LBB92_10
; %bb.9:
	v_mul_lo_u32 v1, v1, s18
	s_ashr_i32 s18, s15, 31
	v_mov_b32_e32 v3, s18
	v_add_co_u32_e32 v4, vcc, s15, v2
	v_addc_co_u32_e32 v5, vcc, 0, v3, vcc
	v_lshlrev_b64 v[4:5], 2, v[4:5]
	v_mov_b32_e32 v3, s21
	v_add_co_u32_e32 v4, vcc, s20, v4
	v_add_u32_e32 v1, s19, v1
	v_addc_co_u32_e32 v5, vcc, v3, v5, vcc
	global_store_dword v[4:5], v1, off offset:384
.LBB92_10:
	s_or_b64 exec, exec, s[16:17]
	s_cmp_lt_i32 s22, s23
	s_cbranch_scc0 .LBB92_21
; %bb.11:
	s_load_dwordx2 s[28:29], s[4:5], 0x20
	s_load_dwordx2 s[16:17], s[4:5], 0x38
	;; [unrolled: 1-line block ×4, first 2 shown]
	s_load_dword s15, s[4:5], 0x0
	v_and_b32_e32 v3, 3, v0
	v_cmp_gt_i32_e64 s[4:5], s13, v3
	v_add_u32_e32 v4, s14, v3
	v_mul_lo_u32 v9, v2, s27
	s_waitcnt lgkmcnt(0)
	s_cmp_eq_u32 s15, 0
	s_cselect_b64 vcc, -1, 0
	s_and_b64 s[14:15], s[4:5], s[0:1]
	s_and_b64 s[2:3], s[4:5], s[2:3]
	;; [unrolled: 1-line block ×4, first 2 shown]
	s_mul_i32 s8, s12, s10
	v_add_u32_e32 v0, s8, v2
	v_add_u32_e32 v1, 0x60, v0
	v_mul_lo_u32 v5, s13, v1
	v_add_u32_e32 v1, 64, v0
	v_mul_lo_u32 v6, s13, v1
	v_add_u32_e32 v1, 32, v0
	v_mul_lo_u32 v8, s13, v0
	v_add_u32_e32 v0, s11, v3
	v_mul_lo_u32 v7, s13, v1
	v_mad_u64_u32 v[0:1], s[0:1], s12, v0, v[2:3]
	v_add_u32_e32 v10, s8, v9
	s_mul_i32 s0, s23, 0x60
	v_add_u32_e32 v1, s0, v10
	s_mul_i32 s0, s22, 0x60
	v_subrev_u32_e32 v1, s0, v1
	v_lshl_add_u32 v2, s23, 6, v10
	s_lshl_b32 s0, s22, 6
	v_subrev_u32_e32 v2, s0, v2
	v_lshl_add_u32 v9, s23, 5, v10
	s_lshl_b32 s0, s22, 5
	s_ashr_i32 s11, s10, 31
	v_subrev_u32_e32 v9, s0, v9
	s_lshl_b64 s[0:1], s[10:11], 2
	s_add_u32 s8, s28, s0
	s_mul_i32 s26, s13, s12
	v_mul_lo_u32 v1, s13, v1
	v_mul_lo_u32 v2, s13, v2
	;; [unrolled: 1-line block ×4, first 2 shown]
	s_addc_u32 s9, s29, s1
	s_branch .LBB92_13
.LBB92_12:                              ;   in Loop: Header=BB92_13 Depth=1
	s_or_b64 exec, exec, s[22:23]
	s_add_i32 s10, s10, 1
	s_add_u32 s8, s8, 4
	s_addc_u32 s9, s9, 0
	v_add_u32_e32 v5, s26, v5
	v_add_u32_e32 v6, s26, v6
	;; [unrolled: 1-line block ×8, first 2 shown]
	s_cmp_ge_i32 s10, s25
	v_add_u32_e32 v10, s13, v10
	s_cbranch_scc1 .LBB92_21
.LBB92_13:                              ; =>This Inner Loop Header: Depth=1
	s_load_dword s0, s[8:9], 0x0
	s_waitcnt lgkmcnt(0)
	s_sub_i32 s0, s0, s24
	s_mul_i32 s0, s0, s13
	v_add_u32_e32 v11, s0, v4
	s_and_saveexec_b64 s[22:23], s[14:15]
	s_cbranch_execnz .LBB92_17
; %bb.14:                               ;   in Loop: Header=BB92_13 Depth=1
	s_or_b64 exec, exec, s[22:23]
	s_and_saveexec_b64 s[22:23], s[2:3]
	s_cbranch_execnz .LBB92_18
.LBB92_15:                              ;   in Loop: Header=BB92_13 Depth=1
	s_or_b64 exec, exec, s[22:23]
	s_and_saveexec_b64 s[22:23], s[6:7]
	s_cbranch_execnz .LBB92_19
.LBB92_16:                              ;   in Loop: Header=BB92_13 Depth=1
	s_or_b64 exec, exec, s[22:23]
	s_and_saveexec_b64 s[22:23], s[4:5]
	s_cbranch_execz .LBB92_12
	s_branch .LBB92_20
.LBB92_17:                              ;   in Loop: Header=BB92_13 Depth=1
	v_add_u32_e32 v12, v3, v8
	v_cndmask_b32_e32 v12, v0, v12, vcc
	v_ashrrev_i32_e32 v13, 31, v12
	v_lshlrev_b64 v[12:13], 3, v[12:13]
	v_mov_b32_e32 v14, s21
	v_add_co_u32_e64 v12, s[0:1], s20, v12
	v_addc_co_u32_e64 v13, s[0:1], v14, v13, s[0:1]
	global_load_dwordx2 v[12:13], v[12:13], off
	v_add_u32_e32 v14, v3, v10
	v_ashrrev_i32_e32 v15, 31, v14
	v_lshlrev_b64 v[16:17], 2, v[14:15]
	v_mov_b32_e32 v18, s19
	v_add_co_u32_e64 v16, s[0:1], s18, v16
	v_addc_co_u32_e64 v17, s[0:1], v18, v17, s[0:1]
	v_lshlrev_b64 v[14:15], 3, v[14:15]
	global_store_dword v[16:17], v11, off
	v_mov_b32_e32 v16, s17
	v_add_co_u32_e64 v14, s[0:1], s16, v14
	v_addc_co_u32_e64 v15, s[0:1], v16, v15, s[0:1]
	s_waitcnt vmcnt(1)
	global_store_dwordx2 v[14:15], v[12:13], off
	s_or_b64 exec, exec, s[22:23]
	s_and_saveexec_b64 s[22:23], s[2:3]
	s_cbranch_execz .LBB92_15
.LBB92_18:                              ;   in Loop: Header=BB92_13 Depth=1
	v_add_u32_e32 v12, v3, v7
	v_add_u32_e32 v13, 32, v0
	v_cndmask_b32_e32 v12, v13, v12, vcc
	v_ashrrev_i32_e32 v13, 31, v12
	v_lshlrev_b64 v[12:13], 3, v[12:13]
	v_mov_b32_e32 v14, s21
	v_add_co_u32_e64 v12, s[0:1], s20, v12
	v_addc_co_u32_e64 v13, s[0:1], v14, v13, s[0:1]
	global_load_dwordx2 v[12:13], v[12:13], off
	v_add_u32_e32 v14, v3, v9
	v_ashrrev_i32_e32 v15, 31, v14
	v_lshlrev_b64 v[16:17], 2, v[14:15]
	v_mov_b32_e32 v18, s19
	v_add_co_u32_e64 v16, s[0:1], s18, v16
	v_addc_co_u32_e64 v17, s[0:1], v18, v17, s[0:1]
	v_lshlrev_b64 v[14:15], 3, v[14:15]
	global_store_dword v[16:17], v11, off
	v_mov_b32_e32 v16, s17
	v_add_co_u32_e64 v14, s[0:1], s16, v14
	v_addc_co_u32_e64 v15, s[0:1], v16, v15, s[0:1]
	s_waitcnt vmcnt(1)
	global_store_dwordx2 v[14:15], v[12:13], off
	s_or_b64 exec, exec, s[22:23]
	s_and_saveexec_b64 s[22:23], s[6:7]
	s_cbranch_execz .LBB92_16
.LBB92_19:                              ;   in Loop: Header=BB92_13 Depth=1
	v_add_u32_e32 v12, v3, v6
	v_add_u32_e32 v13, 64, v0
	v_cndmask_b32_e32 v12, v13, v12, vcc
	v_ashrrev_i32_e32 v13, 31, v12
	v_lshlrev_b64 v[12:13], 3, v[12:13]
	v_mov_b32_e32 v14, s21
	v_add_co_u32_e64 v12, s[0:1], s20, v12
	v_addc_co_u32_e64 v13, s[0:1], v14, v13, s[0:1]
	global_load_dwordx2 v[12:13], v[12:13], off
	v_add_u32_e32 v14, v3, v2
	v_ashrrev_i32_e32 v15, 31, v14
	v_lshlrev_b64 v[16:17], 2, v[14:15]
	v_mov_b32_e32 v18, s19
	v_add_co_u32_e64 v16, s[0:1], s18, v16
	v_addc_co_u32_e64 v17, s[0:1], v18, v17, s[0:1]
	v_lshlrev_b64 v[14:15], 3, v[14:15]
	global_store_dword v[16:17], v11, off
	v_mov_b32_e32 v16, s17
	v_add_co_u32_e64 v14, s[0:1], s16, v14
	v_addc_co_u32_e64 v15, s[0:1], v16, v15, s[0:1]
	s_waitcnt vmcnt(1)
	global_store_dwordx2 v[14:15], v[12:13], off
	s_or_b64 exec, exec, s[22:23]
	s_and_saveexec_b64 s[22:23], s[4:5]
	s_cbranch_execz .LBB92_12
.LBB92_20:                              ;   in Loop: Header=BB92_13 Depth=1
	v_add_u32_e32 v12, v3, v5
	v_add_u32_e32 v13, 0x60, v0
	v_cndmask_b32_e32 v12, v13, v12, vcc
	v_ashrrev_i32_e32 v13, 31, v12
	v_lshlrev_b64 v[12:13], 3, v[12:13]
	v_mov_b32_e32 v14, s21
	v_add_co_u32_e64 v12, s[0:1], s20, v12
	v_addc_co_u32_e64 v13, s[0:1], v14, v13, s[0:1]
	global_load_dwordx2 v[12:13], v[12:13], off
	v_add_u32_e32 v14, v3, v1
	v_ashrrev_i32_e32 v15, 31, v14
	v_lshlrev_b64 v[16:17], 2, v[14:15]
	v_mov_b32_e32 v18, s19
	v_add_co_u32_e64 v16, s[0:1], s18, v16
	v_addc_co_u32_e64 v17, s[0:1], v18, v17, s[0:1]
	v_lshlrev_b64 v[14:15], 3, v[14:15]
	global_store_dword v[16:17], v11, off
	v_mov_b32_e32 v11, s17
	v_add_co_u32_e64 v14, s[0:1], s16, v14
	v_addc_co_u32_e64 v15, s[0:1], v11, v15, s[0:1]
	s_waitcnt vmcnt(1)
	global_store_dwordx2 v[14:15], v[12:13], off
	s_branch .LBB92_12
.LBB92_21:
	s_endpgm
	.section	.rodata,"a",@progbits
	.p2align	6, 0x0
	.amdhsa_kernel _ZN9rocsparseL37gebsr2csr_block_per_row_33_128_kernelILi1024ELi128ELi4ELi32ELi4EdEEv20rocsparse_direction_ii21rocsparse_index_base_PKT4_PKiS7_iiS2_PS3_PiS9_
		.amdhsa_group_segment_fixed_size 0
		.amdhsa_private_segment_fixed_size 0
		.amdhsa_kernarg_size 80
		.amdhsa_user_sgpr_count 6
		.amdhsa_user_sgpr_private_segment_buffer 1
		.amdhsa_user_sgpr_dispatch_ptr 0
		.amdhsa_user_sgpr_queue_ptr 0
		.amdhsa_user_sgpr_kernarg_segment_ptr 1
		.amdhsa_user_sgpr_dispatch_id 0
		.amdhsa_user_sgpr_flat_scratch_init 0
		.amdhsa_user_sgpr_kernarg_preload_length 0
		.amdhsa_user_sgpr_kernarg_preload_offset 0
		.amdhsa_user_sgpr_private_segment_size 0
		.amdhsa_uses_dynamic_stack 0
		.amdhsa_system_sgpr_private_segment_wavefront_offset 0
		.amdhsa_system_sgpr_workgroup_id_x 1
		.amdhsa_system_sgpr_workgroup_id_y 0
		.amdhsa_system_sgpr_workgroup_id_z 0
		.amdhsa_system_sgpr_workgroup_info 0
		.amdhsa_system_vgpr_workitem_id 0
		.amdhsa_next_free_vgpr 19
		.amdhsa_next_free_sgpr 30
		.amdhsa_accum_offset 20
		.amdhsa_reserve_vcc 1
		.amdhsa_reserve_flat_scratch 0
		.amdhsa_float_round_mode_32 0
		.amdhsa_float_round_mode_16_64 0
		.amdhsa_float_denorm_mode_32 3
		.amdhsa_float_denorm_mode_16_64 3
		.amdhsa_dx10_clamp 1
		.amdhsa_ieee_mode 1
		.amdhsa_fp16_overflow 0
		.amdhsa_tg_split 0
		.amdhsa_exception_fp_ieee_invalid_op 0
		.amdhsa_exception_fp_denorm_src 0
		.amdhsa_exception_fp_ieee_div_zero 0
		.amdhsa_exception_fp_ieee_overflow 0
		.amdhsa_exception_fp_ieee_underflow 0
		.amdhsa_exception_fp_ieee_inexact 0
		.amdhsa_exception_int_div_zero 0
	.end_amdhsa_kernel
	.section	.text._ZN9rocsparseL37gebsr2csr_block_per_row_33_128_kernelILi1024ELi128ELi4ELi32ELi4EdEEv20rocsparse_direction_ii21rocsparse_index_base_PKT4_PKiS7_iiS2_PS3_PiS9_,"axG",@progbits,_ZN9rocsparseL37gebsr2csr_block_per_row_33_128_kernelILi1024ELi128ELi4ELi32ELi4EdEEv20rocsparse_direction_ii21rocsparse_index_base_PKT4_PKiS7_iiS2_PS3_PiS9_,comdat
.Lfunc_end92:
	.size	_ZN9rocsparseL37gebsr2csr_block_per_row_33_128_kernelILi1024ELi128ELi4ELi32ELi4EdEEv20rocsparse_direction_ii21rocsparse_index_base_PKT4_PKiS7_iiS2_PS3_PiS9_, .Lfunc_end92-_ZN9rocsparseL37gebsr2csr_block_per_row_33_128_kernelILi1024ELi128ELi4ELi32ELi4EdEEv20rocsparse_direction_ii21rocsparse_index_base_PKT4_PKiS7_iiS2_PS3_PiS9_
                                        ; -- End function
	.section	.AMDGPU.csdata,"",@progbits
; Kernel info:
; codeLenInByte = 1464
; NumSgprs: 34
; NumVgprs: 19
; NumAgprs: 0
; TotalNumVgprs: 19
; ScratchSize: 0
; MemoryBound: 0
; FloatMode: 240
; IeeeMode: 1
; LDSByteSize: 0 bytes/workgroup (compile time only)
; SGPRBlocks: 4
; VGPRBlocks: 2
; NumSGPRsForWavesPerEU: 34
; NumVGPRsForWavesPerEU: 19
; AccumOffset: 20
; Occupancy: 8
; WaveLimiterHint : 0
; COMPUTE_PGM_RSRC2:SCRATCH_EN: 0
; COMPUTE_PGM_RSRC2:USER_SGPR: 6
; COMPUTE_PGM_RSRC2:TRAP_HANDLER: 0
; COMPUTE_PGM_RSRC2:TGID_X_EN: 1
; COMPUTE_PGM_RSRC2:TGID_Y_EN: 0
; COMPUTE_PGM_RSRC2:TGID_Z_EN: 0
; COMPUTE_PGM_RSRC2:TIDIG_COMP_CNT: 0
; COMPUTE_PGM_RSRC3_GFX90A:ACCUM_OFFSET: 4
; COMPUTE_PGM_RSRC3_GFX90A:TG_SPLIT: 0
	.section	.text._ZN9rocsparseL37gebsr2csr_block_per_row_33_128_kernelILi1024ELi128ELi8ELi32ELi8EdEEv20rocsparse_direction_ii21rocsparse_index_base_PKT4_PKiS7_iiS2_PS3_PiS9_,"axG",@progbits,_ZN9rocsparseL37gebsr2csr_block_per_row_33_128_kernelILi1024ELi128ELi8ELi32ELi8EdEEv20rocsparse_direction_ii21rocsparse_index_base_PKT4_PKiS7_iiS2_PS3_PiS9_,comdat
	.globl	_ZN9rocsparseL37gebsr2csr_block_per_row_33_128_kernelILi1024ELi128ELi8ELi32ELi8EdEEv20rocsparse_direction_ii21rocsparse_index_base_PKT4_PKiS7_iiS2_PS3_PiS9_ ; -- Begin function _ZN9rocsparseL37gebsr2csr_block_per_row_33_128_kernelILi1024ELi128ELi8ELi32ELi8EdEEv20rocsparse_direction_ii21rocsparse_index_base_PKT4_PKiS7_iiS2_PS3_PiS9_
	.p2align	8
	.type	_ZN9rocsparseL37gebsr2csr_block_per_row_33_128_kernelILi1024ELi128ELi8ELi32ELi8EdEEv20rocsparse_direction_ii21rocsparse_index_base_PKT4_PKiS7_iiS2_PS3_PiS9_,@function
_ZN9rocsparseL37gebsr2csr_block_per_row_33_128_kernelILi1024ELi128ELi8ELi32ELi8EdEEv20rocsparse_direction_ii21rocsparse_index_base_PKT4_PKiS7_iiS2_PS3_PiS9_: ; @_ZN9rocsparseL37gebsr2csr_block_per_row_33_128_kernelILi1024ELi128ELi8ELi32ELi8EdEEv20rocsparse_direction_ii21rocsparse_index_base_PKT4_PKiS7_iiS2_PS3_PiS9_
; %bb.0:
	s_load_dwordx2 s[0:1], s[4:5], 0x18
	s_load_dwordx4 s[12:15], s[4:5], 0x28
	s_load_dwordx2 s[2:3], s[4:5], 0x40
	s_ashr_i32 s7, s6, 31
	s_lshl_b64 s[8:9], s[6:7], 2
	s_waitcnt lgkmcnt(0)
	s_add_u32 s0, s0, s8
	s_addc_u32 s1, s1, s9
	s_load_dwordx2 s[22:23], s[0:1], 0x0
	v_or_b32_e32 v1, s6, v0
	v_cmp_eq_u32_e32 vcc, 0, v1
	s_and_saveexec_b64 s[0:1], vcc
	s_cbranch_execz .LBB93_2
; %bb.1:
	v_mov_b32_e32 v1, 0
	v_mov_b32_e32 v2, s14
	global_store_dword v1, v2, s[2:3]
.LBB93_2:
	s_or_b64 exec, exec, s[0:1]
	s_load_dword s24, s[4:5], 0xc
	v_lshrrev_b32_e32 v2, 3, v0
	s_mul_i32 s15, s6, s12
	s_waitcnt lgkmcnt(0)
	s_sub_i32 s10, s22, s24
	s_sub_i32 s25, s23, s24
	s_mul_i32 s11, s10, s13
	s_sub_i32 s27, s25, s10
	s_mul_i32 s0, s11, s12
	s_mul_i32 s18, s27, s13
	s_add_i32 s19, s0, s14
	s_add_i32 s19, s19, s18
	v_cmp_gt_i32_e64 s[0:1], s12, v2
	s_and_saveexec_b64 s[6:7], s[0:1]
	s_cbranch_execz .LBB93_4
; %bb.3:
	v_add_u32_e32 v4, s15, v2
	v_ashrrev_i32_e32 v5, 31, v4
	v_lshlrev_b64 v[4:5], 2, v[4:5]
	v_mul_lo_u32 v1, v2, s18
	v_mov_b32_e32 v3, s3
	v_add_co_u32_e32 v4, vcc, s2, v4
	v_add_u32_e32 v1, s19, v1
	v_addc_co_u32_e32 v5, vcc, v3, v5, vcc
	global_store_dword v[4:5], v1, off offset:4
.LBB93_4:
	s_or_b64 exec, exec, s[6:7]
	s_add_u32 s20, s2, 4
	v_add_u32_e32 v1, 32, v2
	s_addc_u32 s21, s3, 0
	v_cmp_gt_i32_e64 s[2:3], s12, v1
	s_and_saveexec_b64 s[6:7], s[2:3]
	s_cbranch_execz .LBB93_6
; %bb.5:
	s_ashr_i32 s8, s15, 31
	v_mov_b32_e32 v3, s8
	v_add_co_u32_e32 v4, vcc, s15, v2
	v_addc_co_u32_e32 v5, vcc, 0, v3, vcc
	v_lshlrev_b64 v[4:5], 2, v[4:5]
	v_mul_lo_u32 v1, v1, s18
	v_mov_b32_e32 v3, s21
	v_add_co_u32_e32 v4, vcc, s20, v4
	v_add_u32_e32 v1, s19, v1
	v_addc_co_u32_e32 v5, vcc, v3, v5, vcc
	global_store_dword v[4:5], v1, off offset:128
.LBB93_6:
	s_or_b64 exec, exec, s[6:7]
	v_add_u32_e32 v1, 64, v2
	v_cmp_gt_i32_e64 s[6:7], s12, v1
	s_and_saveexec_b64 s[8:9], s[6:7]
	s_cbranch_execz .LBB93_8
; %bb.7:
	s_ashr_i32 s16, s15, 31
	v_mov_b32_e32 v3, s16
	v_add_co_u32_e32 v4, vcc, s15, v2
	v_addc_co_u32_e32 v5, vcc, 0, v3, vcc
	v_lshlrev_b64 v[4:5], 2, v[4:5]
	v_mul_lo_u32 v1, v1, s18
	v_mov_b32_e32 v3, s21
	v_add_co_u32_e32 v4, vcc, s20, v4
	v_add_u32_e32 v1, s19, v1
	v_addc_co_u32_e32 v5, vcc, v3, v5, vcc
	global_store_dword v[4:5], v1, off offset:256
.LBB93_8:
	s_or_b64 exec, exec, s[8:9]
	v_add_u32_e32 v1, 0x60, v2
	v_cmp_gt_i32_e64 s[8:9], s12, v1
	s_and_saveexec_b64 s[16:17], s[8:9]
	s_cbranch_execz .LBB93_10
; %bb.9:
	v_mul_lo_u32 v1, v1, s18
	s_ashr_i32 s18, s15, 31
	v_mov_b32_e32 v3, s18
	v_add_co_u32_e32 v4, vcc, s15, v2
	v_addc_co_u32_e32 v5, vcc, 0, v3, vcc
	v_lshlrev_b64 v[4:5], 2, v[4:5]
	v_mov_b32_e32 v3, s21
	v_add_co_u32_e32 v4, vcc, s20, v4
	v_add_u32_e32 v1, s19, v1
	v_addc_co_u32_e32 v5, vcc, v3, v5, vcc
	global_store_dword v[4:5], v1, off offset:384
.LBB93_10:
	s_or_b64 exec, exec, s[16:17]
	s_cmp_lt_i32 s22, s23
	s_cbranch_scc0 .LBB93_21
; %bb.11:
	s_load_dwordx2 s[28:29], s[4:5], 0x20
	s_load_dwordx2 s[16:17], s[4:5], 0x38
	;; [unrolled: 1-line block ×4, first 2 shown]
	s_load_dword s15, s[4:5], 0x0
	v_and_b32_e32 v3, 7, v0
	v_cmp_gt_i32_e64 s[4:5], s13, v3
	v_add_u32_e32 v4, s14, v3
	v_mul_lo_u32 v9, v2, s27
	s_waitcnt lgkmcnt(0)
	s_cmp_eq_u32 s15, 0
	s_cselect_b64 vcc, -1, 0
	s_and_b64 s[14:15], s[4:5], s[0:1]
	s_and_b64 s[2:3], s[4:5], s[2:3]
	;; [unrolled: 1-line block ×4, first 2 shown]
	s_mul_i32 s8, s12, s10
	v_add_u32_e32 v0, s8, v2
	v_add_u32_e32 v1, 0x60, v0
	v_mul_lo_u32 v5, s13, v1
	v_add_u32_e32 v1, 64, v0
	v_mul_lo_u32 v6, s13, v1
	;; [unrolled: 2-line block ×4, first 2 shown]
	v_mad_u64_u32 v[0:1], s[0:1], s12, v0, v[2:3]
	v_add_u32_e32 v10, s8, v9
	s_mul_i32 s0, s23, 0x60
	v_add_u32_e32 v1, s0, v10
	s_mul_i32 s0, s22, 0x60
	v_subrev_u32_e32 v1, s0, v1
	v_lshl_add_u32 v2, s23, 6, v10
	s_lshl_b32 s0, s22, 6
	v_subrev_u32_e32 v2, s0, v2
	v_lshl_add_u32 v9, s23, 5, v10
	s_lshl_b32 s0, s22, 5
	s_ashr_i32 s11, s10, 31
	v_subrev_u32_e32 v9, s0, v9
	s_lshl_b64 s[0:1], s[10:11], 2
	s_add_u32 s8, s28, s0
	s_mul_i32 s26, s13, s12
	v_mul_lo_u32 v1, s13, v1
	v_mul_lo_u32 v2, s13, v2
	v_mul_lo_u32 v9, s13, v9
	v_mul_lo_u32 v10, s13, v10
	s_addc_u32 s9, s29, s1
	s_branch .LBB93_13
.LBB93_12:                              ;   in Loop: Header=BB93_13 Depth=1
	s_or_b64 exec, exec, s[22:23]
	s_add_i32 s10, s10, 1
	s_add_u32 s8, s8, 4
	s_addc_u32 s9, s9, 0
	v_add_u32_e32 v5, s26, v5
	v_add_u32_e32 v6, s26, v6
	;; [unrolled: 1-line block ×8, first 2 shown]
	s_cmp_ge_i32 s10, s25
	v_add_u32_e32 v10, s13, v10
	s_cbranch_scc1 .LBB93_21
.LBB93_13:                              ; =>This Inner Loop Header: Depth=1
	s_load_dword s0, s[8:9], 0x0
	s_waitcnt lgkmcnt(0)
	s_sub_i32 s0, s0, s24
	s_mul_i32 s0, s0, s13
	v_add_u32_e32 v11, s0, v4
	s_and_saveexec_b64 s[22:23], s[14:15]
	s_cbranch_execnz .LBB93_17
; %bb.14:                               ;   in Loop: Header=BB93_13 Depth=1
	s_or_b64 exec, exec, s[22:23]
	s_and_saveexec_b64 s[22:23], s[2:3]
	s_cbranch_execnz .LBB93_18
.LBB93_15:                              ;   in Loop: Header=BB93_13 Depth=1
	s_or_b64 exec, exec, s[22:23]
	s_and_saveexec_b64 s[22:23], s[6:7]
	s_cbranch_execnz .LBB93_19
.LBB93_16:                              ;   in Loop: Header=BB93_13 Depth=1
	s_or_b64 exec, exec, s[22:23]
	s_and_saveexec_b64 s[22:23], s[4:5]
	s_cbranch_execz .LBB93_12
	s_branch .LBB93_20
.LBB93_17:                              ;   in Loop: Header=BB93_13 Depth=1
	v_add_u32_e32 v12, v3, v8
	v_cndmask_b32_e32 v12, v0, v12, vcc
	v_ashrrev_i32_e32 v13, 31, v12
	v_lshlrev_b64 v[12:13], 3, v[12:13]
	v_mov_b32_e32 v14, s21
	v_add_co_u32_e64 v12, s[0:1], s20, v12
	v_addc_co_u32_e64 v13, s[0:1], v14, v13, s[0:1]
	global_load_dwordx2 v[12:13], v[12:13], off
	v_add_u32_e32 v14, v3, v10
	v_ashrrev_i32_e32 v15, 31, v14
	v_lshlrev_b64 v[16:17], 2, v[14:15]
	v_mov_b32_e32 v18, s19
	v_add_co_u32_e64 v16, s[0:1], s18, v16
	v_addc_co_u32_e64 v17, s[0:1], v18, v17, s[0:1]
	v_lshlrev_b64 v[14:15], 3, v[14:15]
	global_store_dword v[16:17], v11, off
	v_mov_b32_e32 v16, s17
	v_add_co_u32_e64 v14, s[0:1], s16, v14
	v_addc_co_u32_e64 v15, s[0:1], v16, v15, s[0:1]
	s_waitcnt vmcnt(1)
	global_store_dwordx2 v[14:15], v[12:13], off
	s_or_b64 exec, exec, s[22:23]
	s_and_saveexec_b64 s[22:23], s[2:3]
	s_cbranch_execz .LBB93_15
.LBB93_18:                              ;   in Loop: Header=BB93_13 Depth=1
	v_add_u32_e32 v12, v3, v7
	v_add_u32_e32 v13, 32, v0
	v_cndmask_b32_e32 v12, v13, v12, vcc
	v_ashrrev_i32_e32 v13, 31, v12
	v_lshlrev_b64 v[12:13], 3, v[12:13]
	v_mov_b32_e32 v14, s21
	v_add_co_u32_e64 v12, s[0:1], s20, v12
	v_addc_co_u32_e64 v13, s[0:1], v14, v13, s[0:1]
	global_load_dwordx2 v[12:13], v[12:13], off
	v_add_u32_e32 v14, v3, v9
	v_ashrrev_i32_e32 v15, 31, v14
	v_lshlrev_b64 v[16:17], 2, v[14:15]
	v_mov_b32_e32 v18, s19
	v_add_co_u32_e64 v16, s[0:1], s18, v16
	v_addc_co_u32_e64 v17, s[0:1], v18, v17, s[0:1]
	v_lshlrev_b64 v[14:15], 3, v[14:15]
	global_store_dword v[16:17], v11, off
	v_mov_b32_e32 v16, s17
	v_add_co_u32_e64 v14, s[0:1], s16, v14
	v_addc_co_u32_e64 v15, s[0:1], v16, v15, s[0:1]
	s_waitcnt vmcnt(1)
	global_store_dwordx2 v[14:15], v[12:13], off
	s_or_b64 exec, exec, s[22:23]
	s_and_saveexec_b64 s[22:23], s[6:7]
	s_cbranch_execz .LBB93_16
.LBB93_19:                              ;   in Loop: Header=BB93_13 Depth=1
	v_add_u32_e32 v12, v3, v6
	v_add_u32_e32 v13, 64, v0
	v_cndmask_b32_e32 v12, v13, v12, vcc
	v_ashrrev_i32_e32 v13, 31, v12
	v_lshlrev_b64 v[12:13], 3, v[12:13]
	v_mov_b32_e32 v14, s21
	v_add_co_u32_e64 v12, s[0:1], s20, v12
	v_addc_co_u32_e64 v13, s[0:1], v14, v13, s[0:1]
	global_load_dwordx2 v[12:13], v[12:13], off
	v_add_u32_e32 v14, v3, v2
	v_ashrrev_i32_e32 v15, 31, v14
	v_lshlrev_b64 v[16:17], 2, v[14:15]
	v_mov_b32_e32 v18, s19
	v_add_co_u32_e64 v16, s[0:1], s18, v16
	v_addc_co_u32_e64 v17, s[0:1], v18, v17, s[0:1]
	v_lshlrev_b64 v[14:15], 3, v[14:15]
	global_store_dword v[16:17], v11, off
	v_mov_b32_e32 v16, s17
	v_add_co_u32_e64 v14, s[0:1], s16, v14
	v_addc_co_u32_e64 v15, s[0:1], v16, v15, s[0:1]
	s_waitcnt vmcnt(1)
	global_store_dwordx2 v[14:15], v[12:13], off
	s_or_b64 exec, exec, s[22:23]
	s_and_saveexec_b64 s[22:23], s[4:5]
	s_cbranch_execz .LBB93_12
.LBB93_20:                              ;   in Loop: Header=BB93_13 Depth=1
	v_add_u32_e32 v12, v3, v5
	v_add_u32_e32 v13, 0x60, v0
	v_cndmask_b32_e32 v12, v13, v12, vcc
	v_ashrrev_i32_e32 v13, 31, v12
	v_lshlrev_b64 v[12:13], 3, v[12:13]
	v_mov_b32_e32 v14, s21
	v_add_co_u32_e64 v12, s[0:1], s20, v12
	v_addc_co_u32_e64 v13, s[0:1], v14, v13, s[0:1]
	global_load_dwordx2 v[12:13], v[12:13], off
	v_add_u32_e32 v14, v3, v1
	v_ashrrev_i32_e32 v15, 31, v14
	v_lshlrev_b64 v[16:17], 2, v[14:15]
	v_mov_b32_e32 v18, s19
	v_add_co_u32_e64 v16, s[0:1], s18, v16
	v_addc_co_u32_e64 v17, s[0:1], v18, v17, s[0:1]
	v_lshlrev_b64 v[14:15], 3, v[14:15]
	global_store_dword v[16:17], v11, off
	v_mov_b32_e32 v11, s17
	v_add_co_u32_e64 v14, s[0:1], s16, v14
	v_addc_co_u32_e64 v15, s[0:1], v11, v15, s[0:1]
	s_waitcnt vmcnt(1)
	global_store_dwordx2 v[14:15], v[12:13], off
	s_branch .LBB93_12
.LBB93_21:
	s_endpgm
	.section	.rodata,"a",@progbits
	.p2align	6, 0x0
	.amdhsa_kernel _ZN9rocsparseL37gebsr2csr_block_per_row_33_128_kernelILi1024ELi128ELi8ELi32ELi8EdEEv20rocsparse_direction_ii21rocsparse_index_base_PKT4_PKiS7_iiS2_PS3_PiS9_
		.amdhsa_group_segment_fixed_size 0
		.amdhsa_private_segment_fixed_size 0
		.amdhsa_kernarg_size 80
		.amdhsa_user_sgpr_count 6
		.amdhsa_user_sgpr_private_segment_buffer 1
		.amdhsa_user_sgpr_dispatch_ptr 0
		.amdhsa_user_sgpr_queue_ptr 0
		.amdhsa_user_sgpr_kernarg_segment_ptr 1
		.amdhsa_user_sgpr_dispatch_id 0
		.amdhsa_user_sgpr_flat_scratch_init 0
		.amdhsa_user_sgpr_kernarg_preload_length 0
		.amdhsa_user_sgpr_kernarg_preload_offset 0
		.amdhsa_user_sgpr_private_segment_size 0
		.amdhsa_uses_dynamic_stack 0
		.amdhsa_system_sgpr_private_segment_wavefront_offset 0
		.amdhsa_system_sgpr_workgroup_id_x 1
		.amdhsa_system_sgpr_workgroup_id_y 0
		.amdhsa_system_sgpr_workgroup_id_z 0
		.amdhsa_system_sgpr_workgroup_info 0
		.amdhsa_system_vgpr_workitem_id 0
		.amdhsa_next_free_vgpr 19
		.amdhsa_next_free_sgpr 30
		.amdhsa_accum_offset 20
		.amdhsa_reserve_vcc 1
		.amdhsa_reserve_flat_scratch 0
		.amdhsa_float_round_mode_32 0
		.amdhsa_float_round_mode_16_64 0
		.amdhsa_float_denorm_mode_32 3
		.amdhsa_float_denorm_mode_16_64 3
		.amdhsa_dx10_clamp 1
		.amdhsa_ieee_mode 1
		.amdhsa_fp16_overflow 0
		.amdhsa_tg_split 0
		.amdhsa_exception_fp_ieee_invalid_op 0
		.amdhsa_exception_fp_denorm_src 0
		.amdhsa_exception_fp_ieee_div_zero 0
		.amdhsa_exception_fp_ieee_overflow 0
		.amdhsa_exception_fp_ieee_underflow 0
		.amdhsa_exception_fp_ieee_inexact 0
		.amdhsa_exception_int_div_zero 0
	.end_amdhsa_kernel
	.section	.text._ZN9rocsparseL37gebsr2csr_block_per_row_33_128_kernelILi1024ELi128ELi8ELi32ELi8EdEEv20rocsparse_direction_ii21rocsparse_index_base_PKT4_PKiS7_iiS2_PS3_PiS9_,"axG",@progbits,_ZN9rocsparseL37gebsr2csr_block_per_row_33_128_kernelILi1024ELi128ELi8ELi32ELi8EdEEv20rocsparse_direction_ii21rocsparse_index_base_PKT4_PKiS7_iiS2_PS3_PiS9_,comdat
.Lfunc_end93:
	.size	_ZN9rocsparseL37gebsr2csr_block_per_row_33_128_kernelILi1024ELi128ELi8ELi32ELi8EdEEv20rocsparse_direction_ii21rocsparse_index_base_PKT4_PKiS7_iiS2_PS3_PiS9_, .Lfunc_end93-_ZN9rocsparseL37gebsr2csr_block_per_row_33_128_kernelILi1024ELi128ELi8ELi32ELi8EdEEv20rocsparse_direction_ii21rocsparse_index_base_PKT4_PKiS7_iiS2_PS3_PiS9_
                                        ; -- End function
	.section	.AMDGPU.csdata,"",@progbits
; Kernel info:
; codeLenInByte = 1464
; NumSgprs: 34
; NumVgprs: 19
; NumAgprs: 0
; TotalNumVgprs: 19
; ScratchSize: 0
; MemoryBound: 0
; FloatMode: 240
; IeeeMode: 1
; LDSByteSize: 0 bytes/workgroup (compile time only)
; SGPRBlocks: 4
; VGPRBlocks: 2
; NumSGPRsForWavesPerEU: 34
; NumVGPRsForWavesPerEU: 19
; AccumOffset: 20
; Occupancy: 8
; WaveLimiterHint : 0
; COMPUTE_PGM_RSRC2:SCRATCH_EN: 0
; COMPUTE_PGM_RSRC2:USER_SGPR: 6
; COMPUTE_PGM_RSRC2:TRAP_HANDLER: 0
; COMPUTE_PGM_RSRC2:TGID_X_EN: 1
; COMPUTE_PGM_RSRC2:TGID_Y_EN: 0
; COMPUTE_PGM_RSRC2:TGID_Z_EN: 0
; COMPUTE_PGM_RSRC2:TIDIG_COMP_CNT: 0
; COMPUTE_PGM_RSRC3_GFX90A:ACCUM_OFFSET: 4
; COMPUTE_PGM_RSRC3_GFX90A:TG_SPLIT: 0
	.section	.text._ZN9rocsparseL37gebsr2csr_block_per_row_33_128_kernelILi1024ELi128ELi16ELi32ELi16EdEEv20rocsparse_direction_ii21rocsparse_index_base_PKT4_PKiS7_iiS2_PS3_PiS9_,"axG",@progbits,_ZN9rocsparseL37gebsr2csr_block_per_row_33_128_kernelILi1024ELi128ELi16ELi32ELi16EdEEv20rocsparse_direction_ii21rocsparse_index_base_PKT4_PKiS7_iiS2_PS3_PiS9_,comdat
	.globl	_ZN9rocsparseL37gebsr2csr_block_per_row_33_128_kernelILi1024ELi128ELi16ELi32ELi16EdEEv20rocsparse_direction_ii21rocsparse_index_base_PKT4_PKiS7_iiS2_PS3_PiS9_ ; -- Begin function _ZN9rocsparseL37gebsr2csr_block_per_row_33_128_kernelILi1024ELi128ELi16ELi32ELi16EdEEv20rocsparse_direction_ii21rocsparse_index_base_PKT4_PKiS7_iiS2_PS3_PiS9_
	.p2align	8
	.type	_ZN9rocsparseL37gebsr2csr_block_per_row_33_128_kernelILi1024ELi128ELi16ELi32ELi16EdEEv20rocsparse_direction_ii21rocsparse_index_base_PKT4_PKiS7_iiS2_PS3_PiS9_,@function
_ZN9rocsparseL37gebsr2csr_block_per_row_33_128_kernelILi1024ELi128ELi16ELi32ELi16EdEEv20rocsparse_direction_ii21rocsparse_index_base_PKT4_PKiS7_iiS2_PS3_PiS9_: ; @_ZN9rocsparseL37gebsr2csr_block_per_row_33_128_kernelILi1024ELi128ELi16ELi32ELi16EdEEv20rocsparse_direction_ii21rocsparse_index_base_PKT4_PKiS7_iiS2_PS3_PiS9_
; %bb.0:
	s_load_dwordx2 s[0:1], s[4:5], 0x18
	s_load_dwordx4 s[12:15], s[4:5], 0x28
	s_load_dwordx2 s[2:3], s[4:5], 0x40
	s_ashr_i32 s7, s6, 31
	s_lshl_b64 s[8:9], s[6:7], 2
	s_waitcnt lgkmcnt(0)
	s_add_u32 s0, s0, s8
	s_addc_u32 s1, s1, s9
	s_load_dwordx2 s[22:23], s[0:1], 0x0
	v_or_b32_e32 v1, s6, v0
	v_cmp_eq_u32_e32 vcc, 0, v1
	s_and_saveexec_b64 s[0:1], vcc
	s_cbranch_execz .LBB94_2
; %bb.1:
	v_mov_b32_e32 v1, 0
	v_mov_b32_e32 v2, s14
	global_store_dword v1, v2, s[2:3]
.LBB94_2:
	s_or_b64 exec, exec, s[0:1]
	s_load_dword s24, s[4:5], 0xc
	v_lshrrev_b32_e32 v2, 4, v0
	s_mul_i32 s15, s6, s12
	s_waitcnt lgkmcnt(0)
	s_sub_i32 s10, s22, s24
	s_sub_i32 s25, s23, s24
	s_mul_i32 s11, s10, s13
	s_sub_i32 s27, s25, s10
	s_mul_i32 s0, s11, s12
	s_mul_i32 s18, s27, s13
	s_add_i32 s19, s0, s14
	s_add_i32 s19, s19, s18
	v_cmp_gt_i32_e64 s[0:1], s12, v2
	s_and_saveexec_b64 s[6:7], s[0:1]
	s_cbranch_execz .LBB94_4
; %bb.3:
	v_add_u32_e32 v4, s15, v2
	v_ashrrev_i32_e32 v5, 31, v4
	v_lshlrev_b64 v[4:5], 2, v[4:5]
	v_mul_lo_u32 v1, v2, s18
	v_mov_b32_e32 v3, s3
	v_add_co_u32_e32 v4, vcc, s2, v4
	v_add_u32_e32 v1, s19, v1
	v_addc_co_u32_e32 v5, vcc, v3, v5, vcc
	global_store_dword v[4:5], v1, off offset:4
.LBB94_4:
	s_or_b64 exec, exec, s[6:7]
	s_add_u32 s20, s2, 4
	v_add_u32_e32 v1, 32, v2
	s_addc_u32 s21, s3, 0
	v_cmp_gt_i32_e64 s[2:3], s12, v1
	s_and_saveexec_b64 s[6:7], s[2:3]
	s_cbranch_execz .LBB94_6
; %bb.5:
	s_ashr_i32 s8, s15, 31
	v_mov_b32_e32 v3, s8
	v_add_co_u32_e32 v4, vcc, s15, v2
	v_addc_co_u32_e32 v5, vcc, 0, v3, vcc
	v_lshlrev_b64 v[4:5], 2, v[4:5]
	v_mul_lo_u32 v1, v1, s18
	v_mov_b32_e32 v3, s21
	v_add_co_u32_e32 v4, vcc, s20, v4
	v_add_u32_e32 v1, s19, v1
	v_addc_co_u32_e32 v5, vcc, v3, v5, vcc
	global_store_dword v[4:5], v1, off offset:128
.LBB94_6:
	s_or_b64 exec, exec, s[6:7]
	v_or_b32_e32 v1, 64, v2
	v_cmp_gt_i32_e64 s[6:7], s12, v1
	s_and_saveexec_b64 s[8:9], s[6:7]
	s_cbranch_execz .LBB94_8
; %bb.7:
	s_ashr_i32 s16, s15, 31
	v_mov_b32_e32 v3, s16
	v_add_co_u32_e32 v4, vcc, s15, v2
	v_addc_co_u32_e32 v5, vcc, 0, v3, vcc
	v_lshlrev_b64 v[4:5], 2, v[4:5]
	v_mul_lo_u32 v1, v1, s18
	v_mov_b32_e32 v3, s21
	v_add_co_u32_e32 v4, vcc, s20, v4
	v_add_u32_e32 v1, s19, v1
	v_addc_co_u32_e32 v5, vcc, v3, v5, vcc
	global_store_dword v[4:5], v1, off offset:256
.LBB94_8:
	s_or_b64 exec, exec, s[8:9]
	v_add_u32_e32 v1, 0x60, v2
	v_cmp_gt_i32_e64 s[8:9], s12, v1
	s_and_saveexec_b64 s[16:17], s[8:9]
	s_cbranch_execz .LBB94_10
; %bb.9:
	v_mul_lo_u32 v1, v1, s18
	s_ashr_i32 s18, s15, 31
	v_mov_b32_e32 v3, s18
	v_add_co_u32_e32 v4, vcc, s15, v2
	v_addc_co_u32_e32 v5, vcc, 0, v3, vcc
	v_lshlrev_b64 v[4:5], 2, v[4:5]
	v_mov_b32_e32 v3, s21
	v_add_co_u32_e32 v4, vcc, s20, v4
	v_add_u32_e32 v1, s19, v1
	v_addc_co_u32_e32 v5, vcc, v3, v5, vcc
	global_store_dword v[4:5], v1, off offset:384
.LBB94_10:
	s_or_b64 exec, exec, s[16:17]
	s_cmp_lt_i32 s22, s23
	s_cbranch_scc0 .LBB94_21
; %bb.11:
	s_load_dwordx2 s[28:29], s[4:5], 0x20
	s_load_dwordx2 s[16:17], s[4:5], 0x38
	s_load_dwordx2 s[18:19], s[4:5], 0x48
	s_load_dwordx2 s[20:21], s[4:5], 0x10
	s_load_dword s15, s[4:5], 0x0
	v_and_b32_e32 v3, 15, v0
	v_cmp_gt_i32_e64 s[4:5], s13, v3
	v_add_u32_e32 v4, s14, v3
	v_mul_lo_u32 v9, v2, s27
	s_waitcnt lgkmcnt(0)
	s_cmp_eq_u32 s15, 0
	s_cselect_b64 vcc, -1, 0
	s_and_b64 s[14:15], s[4:5], s[0:1]
	s_and_b64 s[2:3], s[4:5], s[2:3]
	;; [unrolled: 1-line block ×4, first 2 shown]
	s_mul_i32 s8, s12, s10
	v_add_u32_e32 v0, s8, v2
	v_add_u32_e32 v1, 0x60, v0
	v_mul_lo_u32 v5, s13, v1
	v_add_u32_e32 v1, 64, v0
	v_mul_lo_u32 v6, s13, v1
	;; [unrolled: 2-line block ×4, first 2 shown]
	v_mad_u64_u32 v[0:1], s[0:1], s12, v0, v[2:3]
	v_add_u32_e32 v10, s8, v9
	s_mul_i32 s0, s23, 0x60
	v_add_u32_e32 v1, s0, v10
	s_mul_i32 s0, s22, 0x60
	v_subrev_u32_e32 v1, s0, v1
	v_lshl_add_u32 v2, s23, 6, v10
	s_lshl_b32 s0, s22, 6
	v_subrev_u32_e32 v2, s0, v2
	v_lshl_add_u32 v9, s23, 5, v10
	s_lshl_b32 s0, s22, 5
	s_ashr_i32 s11, s10, 31
	v_subrev_u32_e32 v9, s0, v9
	s_lshl_b64 s[0:1], s[10:11], 2
	s_add_u32 s8, s28, s0
	s_mul_i32 s26, s13, s12
	v_mul_lo_u32 v1, s13, v1
	v_mul_lo_u32 v2, s13, v2
	;; [unrolled: 1-line block ×4, first 2 shown]
	s_addc_u32 s9, s29, s1
	s_branch .LBB94_13
.LBB94_12:                              ;   in Loop: Header=BB94_13 Depth=1
	s_or_b64 exec, exec, s[22:23]
	s_add_i32 s10, s10, 1
	s_add_u32 s8, s8, 4
	s_addc_u32 s9, s9, 0
	v_add_u32_e32 v5, s26, v5
	v_add_u32_e32 v6, s26, v6
	;; [unrolled: 1-line block ×8, first 2 shown]
	s_cmp_ge_i32 s10, s25
	v_add_u32_e32 v10, s13, v10
	s_cbranch_scc1 .LBB94_21
.LBB94_13:                              ; =>This Inner Loop Header: Depth=1
	s_load_dword s0, s[8:9], 0x0
	s_waitcnt lgkmcnt(0)
	s_sub_i32 s0, s0, s24
	s_mul_i32 s0, s0, s13
	v_add_u32_e32 v11, s0, v4
	s_and_saveexec_b64 s[22:23], s[14:15]
	s_cbranch_execnz .LBB94_17
; %bb.14:                               ;   in Loop: Header=BB94_13 Depth=1
	s_or_b64 exec, exec, s[22:23]
	s_and_saveexec_b64 s[22:23], s[2:3]
	s_cbranch_execnz .LBB94_18
.LBB94_15:                              ;   in Loop: Header=BB94_13 Depth=1
	s_or_b64 exec, exec, s[22:23]
	s_and_saveexec_b64 s[22:23], s[6:7]
	s_cbranch_execnz .LBB94_19
.LBB94_16:                              ;   in Loop: Header=BB94_13 Depth=1
	s_or_b64 exec, exec, s[22:23]
	s_and_saveexec_b64 s[22:23], s[4:5]
	s_cbranch_execz .LBB94_12
	s_branch .LBB94_20
.LBB94_17:                              ;   in Loop: Header=BB94_13 Depth=1
	v_add_u32_e32 v12, v3, v8
	v_cndmask_b32_e32 v12, v0, v12, vcc
	v_ashrrev_i32_e32 v13, 31, v12
	v_lshlrev_b64 v[12:13], 3, v[12:13]
	v_mov_b32_e32 v14, s21
	v_add_co_u32_e64 v12, s[0:1], s20, v12
	v_addc_co_u32_e64 v13, s[0:1], v14, v13, s[0:1]
	global_load_dwordx2 v[12:13], v[12:13], off
	v_add_u32_e32 v14, v3, v10
	v_ashrrev_i32_e32 v15, 31, v14
	v_lshlrev_b64 v[16:17], 2, v[14:15]
	v_mov_b32_e32 v18, s19
	v_add_co_u32_e64 v16, s[0:1], s18, v16
	v_addc_co_u32_e64 v17, s[0:1], v18, v17, s[0:1]
	v_lshlrev_b64 v[14:15], 3, v[14:15]
	global_store_dword v[16:17], v11, off
	v_mov_b32_e32 v16, s17
	v_add_co_u32_e64 v14, s[0:1], s16, v14
	v_addc_co_u32_e64 v15, s[0:1], v16, v15, s[0:1]
	s_waitcnt vmcnt(1)
	global_store_dwordx2 v[14:15], v[12:13], off
	s_or_b64 exec, exec, s[22:23]
	s_and_saveexec_b64 s[22:23], s[2:3]
	s_cbranch_execz .LBB94_15
.LBB94_18:                              ;   in Loop: Header=BB94_13 Depth=1
	v_add_u32_e32 v12, v3, v7
	v_add_u32_e32 v13, 32, v0
	v_cndmask_b32_e32 v12, v13, v12, vcc
	v_ashrrev_i32_e32 v13, 31, v12
	v_lshlrev_b64 v[12:13], 3, v[12:13]
	v_mov_b32_e32 v14, s21
	v_add_co_u32_e64 v12, s[0:1], s20, v12
	v_addc_co_u32_e64 v13, s[0:1], v14, v13, s[0:1]
	global_load_dwordx2 v[12:13], v[12:13], off
	v_add_u32_e32 v14, v3, v9
	v_ashrrev_i32_e32 v15, 31, v14
	v_lshlrev_b64 v[16:17], 2, v[14:15]
	v_mov_b32_e32 v18, s19
	v_add_co_u32_e64 v16, s[0:1], s18, v16
	v_addc_co_u32_e64 v17, s[0:1], v18, v17, s[0:1]
	v_lshlrev_b64 v[14:15], 3, v[14:15]
	global_store_dword v[16:17], v11, off
	v_mov_b32_e32 v16, s17
	v_add_co_u32_e64 v14, s[0:1], s16, v14
	v_addc_co_u32_e64 v15, s[0:1], v16, v15, s[0:1]
	s_waitcnt vmcnt(1)
	global_store_dwordx2 v[14:15], v[12:13], off
	s_or_b64 exec, exec, s[22:23]
	s_and_saveexec_b64 s[22:23], s[6:7]
	s_cbranch_execz .LBB94_16
.LBB94_19:                              ;   in Loop: Header=BB94_13 Depth=1
	v_add_u32_e32 v12, v3, v6
	v_add_u32_e32 v13, 64, v0
	v_cndmask_b32_e32 v12, v13, v12, vcc
	v_ashrrev_i32_e32 v13, 31, v12
	v_lshlrev_b64 v[12:13], 3, v[12:13]
	v_mov_b32_e32 v14, s21
	v_add_co_u32_e64 v12, s[0:1], s20, v12
	v_addc_co_u32_e64 v13, s[0:1], v14, v13, s[0:1]
	global_load_dwordx2 v[12:13], v[12:13], off
	v_add_u32_e32 v14, v3, v2
	v_ashrrev_i32_e32 v15, 31, v14
	v_lshlrev_b64 v[16:17], 2, v[14:15]
	v_mov_b32_e32 v18, s19
	v_add_co_u32_e64 v16, s[0:1], s18, v16
	v_addc_co_u32_e64 v17, s[0:1], v18, v17, s[0:1]
	v_lshlrev_b64 v[14:15], 3, v[14:15]
	global_store_dword v[16:17], v11, off
	v_mov_b32_e32 v16, s17
	v_add_co_u32_e64 v14, s[0:1], s16, v14
	v_addc_co_u32_e64 v15, s[0:1], v16, v15, s[0:1]
	s_waitcnt vmcnt(1)
	global_store_dwordx2 v[14:15], v[12:13], off
	s_or_b64 exec, exec, s[22:23]
	s_and_saveexec_b64 s[22:23], s[4:5]
	s_cbranch_execz .LBB94_12
.LBB94_20:                              ;   in Loop: Header=BB94_13 Depth=1
	v_add_u32_e32 v12, v3, v5
	v_add_u32_e32 v13, 0x60, v0
	v_cndmask_b32_e32 v12, v13, v12, vcc
	v_ashrrev_i32_e32 v13, 31, v12
	v_lshlrev_b64 v[12:13], 3, v[12:13]
	v_mov_b32_e32 v14, s21
	v_add_co_u32_e64 v12, s[0:1], s20, v12
	v_addc_co_u32_e64 v13, s[0:1], v14, v13, s[0:1]
	global_load_dwordx2 v[12:13], v[12:13], off
	v_add_u32_e32 v14, v3, v1
	v_ashrrev_i32_e32 v15, 31, v14
	v_lshlrev_b64 v[16:17], 2, v[14:15]
	v_mov_b32_e32 v18, s19
	v_add_co_u32_e64 v16, s[0:1], s18, v16
	v_addc_co_u32_e64 v17, s[0:1], v18, v17, s[0:1]
	v_lshlrev_b64 v[14:15], 3, v[14:15]
	global_store_dword v[16:17], v11, off
	v_mov_b32_e32 v11, s17
	v_add_co_u32_e64 v14, s[0:1], s16, v14
	v_addc_co_u32_e64 v15, s[0:1], v11, v15, s[0:1]
	s_waitcnt vmcnt(1)
	global_store_dwordx2 v[14:15], v[12:13], off
	s_branch .LBB94_12
.LBB94_21:
	s_endpgm
	.section	.rodata,"a",@progbits
	.p2align	6, 0x0
	.amdhsa_kernel _ZN9rocsparseL37gebsr2csr_block_per_row_33_128_kernelILi1024ELi128ELi16ELi32ELi16EdEEv20rocsparse_direction_ii21rocsparse_index_base_PKT4_PKiS7_iiS2_PS3_PiS9_
		.amdhsa_group_segment_fixed_size 0
		.amdhsa_private_segment_fixed_size 0
		.amdhsa_kernarg_size 80
		.amdhsa_user_sgpr_count 6
		.amdhsa_user_sgpr_private_segment_buffer 1
		.amdhsa_user_sgpr_dispatch_ptr 0
		.amdhsa_user_sgpr_queue_ptr 0
		.amdhsa_user_sgpr_kernarg_segment_ptr 1
		.amdhsa_user_sgpr_dispatch_id 0
		.amdhsa_user_sgpr_flat_scratch_init 0
		.amdhsa_user_sgpr_kernarg_preload_length 0
		.amdhsa_user_sgpr_kernarg_preload_offset 0
		.amdhsa_user_sgpr_private_segment_size 0
		.amdhsa_uses_dynamic_stack 0
		.amdhsa_system_sgpr_private_segment_wavefront_offset 0
		.amdhsa_system_sgpr_workgroup_id_x 1
		.amdhsa_system_sgpr_workgroup_id_y 0
		.amdhsa_system_sgpr_workgroup_id_z 0
		.amdhsa_system_sgpr_workgroup_info 0
		.amdhsa_system_vgpr_workitem_id 0
		.amdhsa_next_free_vgpr 19
		.amdhsa_next_free_sgpr 30
		.amdhsa_accum_offset 20
		.amdhsa_reserve_vcc 1
		.amdhsa_reserve_flat_scratch 0
		.amdhsa_float_round_mode_32 0
		.amdhsa_float_round_mode_16_64 0
		.amdhsa_float_denorm_mode_32 3
		.amdhsa_float_denorm_mode_16_64 3
		.amdhsa_dx10_clamp 1
		.amdhsa_ieee_mode 1
		.amdhsa_fp16_overflow 0
		.amdhsa_tg_split 0
		.amdhsa_exception_fp_ieee_invalid_op 0
		.amdhsa_exception_fp_denorm_src 0
		.amdhsa_exception_fp_ieee_div_zero 0
		.amdhsa_exception_fp_ieee_overflow 0
		.amdhsa_exception_fp_ieee_underflow 0
		.amdhsa_exception_fp_ieee_inexact 0
		.amdhsa_exception_int_div_zero 0
	.end_amdhsa_kernel
	.section	.text._ZN9rocsparseL37gebsr2csr_block_per_row_33_128_kernelILi1024ELi128ELi16ELi32ELi16EdEEv20rocsparse_direction_ii21rocsparse_index_base_PKT4_PKiS7_iiS2_PS3_PiS9_,"axG",@progbits,_ZN9rocsparseL37gebsr2csr_block_per_row_33_128_kernelILi1024ELi128ELi16ELi32ELi16EdEEv20rocsparse_direction_ii21rocsparse_index_base_PKT4_PKiS7_iiS2_PS3_PiS9_,comdat
.Lfunc_end94:
	.size	_ZN9rocsparseL37gebsr2csr_block_per_row_33_128_kernelILi1024ELi128ELi16ELi32ELi16EdEEv20rocsparse_direction_ii21rocsparse_index_base_PKT4_PKiS7_iiS2_PS3_PiS9_, .Lfunc_end94-_ZN9rocsparseL37gebsr2csr_block_per_row_33_128_kernelILi1024ELi128ELi16ELi32ELi16EdEEv20rocsparse_direction_ii21rocsparse_index_base_PKT4_PKiS7_iiS2_PS3_PiS9_
                                        ; -- End function
	.section	.AMDGPU.csdata,"",@progbits
; Kernel info:
; codeLenInByte = 1464
; NumSgprs: 34
; NumVgprs: 19
; NumAgprs: 0
; TotalNumVgprs: 19
; ScratchSize: 0
; MemoryBound: 0
; FloatMode: 240
; IeeeMode: 1
; LDSByteSize: 0 bytes/workgroup (compile time only)
; SGPRBlocks: 4
; VGPRBlocks: 2
; NumSGPRsForWavesPerEU: 34
; NumVGPRsForWavesPerEU: 19
; AccumOffset: 20
; Occupancy: 8
; WaveLimiterHint : 0
; COMPUTE_PGM_RSRC2:SCRATCH_EN: 0
; COMPUTE_PGM_RSRC2:USER_SGPR: 6
; COMPUTE_PGM_RSRC2:TRAP_HANDLER: 0
; COMPUTE_PGM_RSRC2:TGID_X_EN: 1
; COMPUTE_PGM_RSRC2:TGID_Y_EN: 0
; COMPUTE_PGM_RSRC2:TGID_Z_EN: 0
; COMPUTE_PGM_RSRC2:TIDIG_COMP_CNT: 0
; COMPUTE_PGM_RSRC3_GFX90A:ACCUM_OFFSET: 4
; COMPUTE_PGM_RSRC3_GFX90A:TG_SPLIT: 0
	.section	.text._ZN9rocsparseL37gebsr2csr_block_per_row_33_128_kernelILi1024ELi128ELi32ELi32ELi32EdEEv20rocsparse_direction_ii21rocsparse_index_base_PKT4_PKiS7_iiS2_PS3_PiS9_,"axG",@progbits,_ZN9rocsparseL37gebsr2csr_block_per_row_33_128_kernelILi1024ELi128ELi32ELi32ELi32EdEEv20rocsparse_direction_ii21rocsparse_index_base_PKT4_PKiS7_iiS2_PS3_PiS9_,comdat
	.globl	_ZN9rocsparseL37gebsr2csr_block_per_row_33_128_kernelILi1024ELi128ELi32ELi32ELi32EdEEv20rocsparse_direction_ii21rocsparse_index_base_PKT4_PKiS7_iiS2_PS3_PiS9_ ; -- Begin function _ZN9rocsparseL37gebsr2csr_block_per_row_33_128_kernelILi1024ELi128ELi32ELi32ELi32EdEEv20rocsparse_direction_ii21rocsparse_index_base_PKT4_PKiS7_iiS2_PS3_PiS9_
	.p2align	8
	.type	_ZN9rocsparseL37gebsr2csr_block_per_row_33_128_kernelILi1024ELi128ELi32ELi32ELi32EdEEv20rocsparse_direction_ii21rocsparse_index_base_PKT4_PKiS7_iiS2_PS3_PiS9_,@function
_ZN9rocsparseL37gebsr2csr_block_per_row_33_128_kernelILi1024ELi128ELi32ELi32ELi32EdEEv20rocsparse_direction_ii21rocsparse_index_base_PKT4_PKiS7_iiS2_PS3_PiS9_: ; @_ZN9rocsparseL37gebsr2csr_block_per_row_33_128_kernelILi1024ELi128ELi32ELi32ELi32EdEEv20rocsparse_direction_ii21rocsparse_index_base_PKT4_PKiS7_iiS2_PS3_PiS9_
; %bb.0:
	s_load_dwordx2 s[0:1], s[4:5], 0x18
	s_load_dwordx4 s[12:15], s[4:5], 0x28
	s_load_dwordx2 s[2:3], s[4:5], 0x40
	s_ashr_i32 s7, s6, 31
	s_lshl_b64 s[8:9], s[6:7], 2
	s_waitcnt lgkmcnt(0)
	s_add_u32 s0, s0, s8
	s_addc_u32 s1, s1, s9
	s_load_dwordx2 s[22:23], s[0:1], 0x0
	v_or_b32_e32 v1, s6, v0
	v_cmp_eq_u32_e32 vcc, 0, v1
	s_and_saveexec_b64 s[0:1], vcc
	s_cbranch_execz .LBB95_2
; %bb.1:
	v_mov_b32_e32 v1, 0
	v_mov_b32_e32 v2, s14
	global_store_dword v1, v2, s[2:3]
.LBB95_2:
	s_or_b64 exec, exec, s[0:1]
	s_load_dword s24, s[4:5], 0xc
	v_lshrrev_b32_e32 v2, 5, v0
	s_mul_i32 s15, s6, s12
	s_waitcnt lgkmcnt(0)
	s_sub_i32 s10, s22, s24
	s_sub_i32 s25, s23, s24
	s_mul_i32 s11, s10, s13
	s_sub_i32 s27, s25, s10
	s_mul_i32 s0, s11, s12
	s_mul_i32 s18, s27, s13
	s_add_i32 s19, s0, s14
	s_add_i32 s19, s19, s18
	v_cmp_gt_i32_e64 s[0:1], s12, v2
	s_and_saveexec_b64 s[6:7], s[0:1]
	s_cbranch_execz .LBB95_4
; %bb.3:
	v_add_u32_e32 v4, s15, v2
	v_ashrrev_i32_e32 v5, 31, v4
	v_lshlrev_b64 v[4:5], 2, v[4:5]
	v_mul_lo_u32 v1, v2, s18
	v_mov_b32_e32 v3, s3
	v_add_co_u32_e32 v4, vcc, s2, v4
	v_add_u32_e32 v1, s19, v1
	v_addc_co_u32_e32 v5, vcc, v3, v5, vcc
	global_store_dword v[4:5], v1, off offset:4
.LBB95_4:
	s_or_b64 exec, exec, s[6:7]
	s_add_u32 s20, s2, 4
	v_or_b32_e32 v1, 32, v2
	s_addc_u32 s21, s3, 0
	v_cmp_gt_i32_e64 s[2:3], s12, v1
	s_and_saveexec_b64 s[6:7], s[2:3]
	s_cbranch_execz .LBB95_6
; %bb.5:
	s_ashr_i32 s8, s15, 31
	v_mov_b32_e32 v3, s8
	v_add_co_u32_e32 v4, vcc, s15, v2
	v_addc_co_u32_e32 v5, vcc, 0, v3, vcc
	v_lshlrev_b64 v[4:5], 2, v[4:5]
	v_mul_lo_u32 v1, v1, s18
	v_mov_b32_e32 v3, s21
	v_add_co_u32_e32 v4, vcc, s20, v4
	v_add_u32_e32 v1, s19, v1
	v_addc_co_u32_e32 v5, vcc, v3, v5, vcc
	global_store_dword v[4:5], v1, off offset:128
.LBB95_6:
	s_or_b64 exec, exec, s[6:7]
	v_or_b32_e32 v1, 64, v2
	v_cmp_gt_i32_e64 s[6:7], s12, v1
	s_and_saveexec_b64 s[8:9], s[6:7]
	s_cbranch_execz .LBB95_8
; %bb.7:
	s_ashr_i32 s16, s15, 31
	v_mov_b32_e32 v3, s16
	v_add_co_u32_e32 v4, vcc, s15, v2
	v_addc_co_u32_e32 v5, vcc, 0, v3, vcc
	v_lshlrev_b64 v[4:5], 2, v[4:5]
	v_mul_lo_u32 v1, v1, s18
	v_mov_b32_e32 v3, s21
	v_add_co_u32_e32 v4, vcc, s20, v4
	v_add_u32_e32 v1, s19, v1
	v_addc_co_u32_e32 v5, vcc, v3, v5, vcc
	global_store_dword v[4:5], v1, off offset:256
.LBB95_8:
	s_or_b64 exec, exec, s[8:9]
	v_or_b32_e32 v1, 0x60, v2
	v_cmp_gt_i32_e64 s[8:9], s12, v1
	s_and_saveexec_b64 s[16:17], s[8:9]
	s_cbranch_execz .LBB95_10
; %bb.9:
	v_mul_lo_u32 v1, v1, s18
	s_ashr_i32 s18, s15, 31
	v_mov_b32_e32 v3, s18
	v_add_co_u32_e32 v4, vcc, s15, v2
	v_addc_co_u32_e32 v5, vcc, 0, v3, vcc
	v_lshlrev_b64 v[4:5], 2, v[4:5]
	v_mov_b32_e32 v3, s21
	v_add_co_u32_e32 v4, vcc, s20, v4
	v_add_u32_e32 v1, s19, v1
	v_addc_co_u32_e32 v5, vcc, v3, v5, vcc
	global_store_dword v[4:5], v1, off offset:384
.LBB95_10:
	s_or_b64 exec, exec, s[16:17]
	s_cmp_lt_i32 s22, s23
	s_cbranch_scc0 .LBB95_21
; %bb.11:
	s_load_dwordx2 s[28:29], s[4:5], 0x20
	s_load_dwordx2 s[16:17], s[4:5], 0x38
	;; [unrolled: 1-line block ×4, first 2 shown]
	s_load_dword s15, s[4:5], 0x0
	v_and_b32_e32 v3, 31, v0
	v_cmp_gt_i32_e64 s[4:5], s13, v3
	v_add_u32_e32 v4, s14, v3
	v_mul_lo_u32 v9, v2, s27
	s_waitcnt lgkmcnt(0)
	s_cmp_eq_u32 s15, 0
	s_cselect_b64 vcc, -1, 0
	s_and_b64 s[14:15], s[4:5], s[0:1]
	s_and_b64 s[2:3], s[4:5], s[2:3]
	;; [unrolled: 1-line block ×4, first 2 shown]
	s_mul_i32 s8, s12, s10
	v_add_u32_e32 v0, s8, v2
	v_add_u32_e32 v1, 0x60, v0
	v_mul_lo_u32 v5, s13, v1
	v_add_u32_e32 v1, 64, v0
	v_mul_lo_u32 v6, s13, v1
	;; [unrolled: 2-line block ×4, first 2 shown]
	v_mad_u64_u32 v[0:1], s[0:1], s12, v0, v[2:3]
	v_add_u32_e32 v10, s8, v9
	s_mul_i32 s0, s23, 0x60
	v_add_u32_e32 v1, s0, v10
	s_mul_i32 s0, s22, 0x60
	v_subrev_u32_e32 v1, s0, v1
	v_lshl_add_u32 v2, s23, 6, v10
	s_lshl_b32 s0, s22, 6
	v_subrev_u32_e32 v2, s0, v2
	v_lshl_add_u32 v9, s23, 5, v10
	s_lshl_b32 s0, s22, 5
	s_ashr_i32 s11, s10, 31
	v_subrev_u32_e32 v9, s0, v9
	s_lshl_b64 s[0:1], s[10:11], 2
	s_add_u32 s8, s28, s0
	s_mul_i32 s26, s13, s12
	v_mul_lo_u32 v1, s13, v1
	v_mul_lo_u32 v2, s13, v2
	v_mul_lo_u32 v9, s13, v9
	v_mul_lo_u32 v10, s13, v10
	s_addc_u32 s9, s29, s1
	s_branch .LBB95_13
.LBB95_12:                              ;   in Loop: Header=BB95_13 Depth=1
	s_or_b64 exec, exec, s[22:23]
	s_add_i32 s10, s10, 1
	s_add_u32 s8, s8, 4
	s_addc_u32 s9, s9, 0
	v_add_u32_e32 v5, s26, v5
	v_add_u32_e32 v6, s26, v6
	;; [unrolled: 1-line block ×8, first 2 shown]
	s_cmp_ge_i32 s10, s25
	v_add_u32_e32 v10, s13, v10
	s_cbranch_scc1 .LBB95_21
.LBB95_13:                              ; =>This Inner Loop Header: Depth=1
	s_load_dword s0, s[8:9], 0x0
	s_waitcnt lgkmcnt(0)
	s_sub_i32 s0, s0, s24
	s_mul_i32 s0, s0, s13
	v_add_u32_e32 v11, s0, v4
	s_and_saveexec_b64 s[22:23], s[14:15]
	s_cbranch_execnz .LBB95_17
; %bb.14:                               ;   in Loop: Header=BB95_13 Depth=1
	s_or_b64 exec, exec, s[22:23]
	s_and_saveexec_b64 s[22:23], s[2:3]
	s_cbranch_execnz .LBB95_18
.LBB95_15:                              ;   in Loop: Header=BB95_13 Depth=1
	s_or_b64 exec, exec, s[22:23]
	s_and_saveexec_b64 s[22:23], s[6:7]
	s_cbranch_execnz .LBB95_19
.LBB95_16:                              ;   in Loop: Header=BB95_13 Depth=1
	s_or_b64 exec, exec, s[22:23]
	s_and_saveexec_b64 s[22:23], s[4:5]
	s_cbranch_execz .LBB95_12
	s_branch .LBB95_20
.LBB95_17:                              ;   in Loop: Header=BB95_13 Depth=1
	v_add_u32_e32 v12, v3, v8
	v_cndmask_b32_e32 v12, v0, v12, vcc
	v_ashrrev_i32_e32 v13, 31, v12
	v_lshlrev_b64 v[12:13], 3, v[12:13]
	v_mov_b32_e32 v14, s21
	v_add_co_u32_e64 v12, s[0:1], s20, v12
	v_addc_co_u32_e64 v13, s[0:1], v14, v13, s[0:1]
	global_load_dwordx2 v[12:13], v[12:13], off
	v_add_u32_e32 v14, v3, v10
	v_ashrrev_i32_e32 v15, 31, v14
	v_lshlrev_b64 v[16:17], 2, v[14:15]
	v_mov_b32_e32 v18, s19
	v_add_co_u32_e64 v16, s[0:1], s18, v16
	v_addc_co_u32_e64 v17, s[0:1], v18, v17, s[0:1]
	v_lshlrev_b64 v[14:15], 3, v[14:15]
	global_store_dword v[16:17], v11, off
	v_mov_b32_e32 v16, s17
	v_add_co_u32_e64 v14, s[0:1], s16, v14
	v_addc_co_u32_e64 v15, s[0:1], v16, v15, s[0:1]
	s_waitcnt vmcnt(1)
	global_store_dwordx2 v[14:15], v[12:13], off
	s_or_b64 exec, exec, s[22:23]
	s_and_saveexec_b64 s[22:23], s[2:3]
	s_cbranch_execz .LBB95_15
.LBB95_18:                              ;   in Loop: Header=BB95_13 Depth=1
	v_add_u32_e32 v12, v3, v7
	v_add_u32_e32 v13, 32, v0
	v_cndmask_b32_e32 v12, v13, v12, vcc
	v_ashrrev_i32_e32 v13, 31, v12
	v_lshlrev_b64 v[12:13], 3, v[12:13]
	v_mov_b32_e32 v14, s21
	v_add_co_u32_e64 v12, s[0:1], s20, v12
	v_addc_co_u32_e64 v13, s[0:1], v14, v13, s[0:1]
	global_load_dwordx2 v[12:13], v[12:13], off
	v_add_u32_e32 v14, v3, v9
	v_ashrrev_i32_e32 v15, 31, v14
	v_lshlrev_b64 v[16:17], 2, v[14:15]
	v_mov_b32_e32 v18, s19
	v_add_co_u32_e64 v16, s[0:1], s18, v16
	v_addc_co_u32_e64 v17, s[0:1], v18, v17, s[0:1]
	v_lshlrev_b64 v[14:15], 3, v[14:15]
	global_store_dword v[16:17], v11, off
	v_mov_b32_e32 v16, s17
	v_add_co_u32_e64 v14, s[0:1], s16, v14
	v_addc_co_u32_e64 v15, s[0:1], v16, v15, s[0:1]
	s_waitcnt vmcnt(1)
	global_store_dwordx2 v[14:15], v[12:13], off
	s_or_b64 exec, exec, s[22:23]
	s_and_saveexec_b64 s[22:23], s[6:7]
	s_cbranch_execz .LBB95_16
.LBB95_19:                              ;   in Loop: Header=BB95_13 Depth=1
	v_add_u32_e32 v12, v3, v6
	v_add_u32_e32 v13, 64, v0
	v_cndmask_b32_e32 v12, v13, v12, vcc
	v_ashrrev_i32_e32 v13, 31, v12
	v_lshlrev_b64 v[12:13], 3, v[12:13]
	v_mov_b32_e32 v14, s21
	v_add_co_u32_e64 v12, s[0:1], s20, v12
	v_addc_co_u32_e64 v13, s[0:1], v14, v13, s[0:1]
	global_load_dwordx2 v[12:13], v[12:13], off
	v_add_u32_e32 v14, v3, v2
	v_ashrrev_i32_e32 v15, 31, v14
	v_lshlrev_b64 v[16:17], 2, v[14:15]
	v_mov_b32_e32 v18, s19
	v_add_co_u32_e64 v16, s[0:1], s18, v16
	v_addc_co_u32_e64 v17, s[0:1], v18, v17, s[0:1]
	v_lshlrev_b64 v[14:15], 3, v[14:15]
	global_store_dword v[16:17], v11, off
	v_mov_b32_e32 v16, s17
	v_add_co_u32_e64 v14, s[0:1], s16, v14
	v_addc_co_u32_e64 v15, s[0:1], v16, v15, s[0:1]
	s_waitcnt vmcnt(1)
	global_store_dwordx2 v[14:15], v[12:13], off
	s_or_b64 exec, exec, s[22:23]
	s_and_saveexec_b64 s[22:23], s[4:5]
	s_cbranch_execz .LBB95_12
.LBB95_20:                              ;   in Loop: Header=BB95_13 Depth=1
	v_add_u32_e32 v12, v3, v5
	v_add_u32_e32 v13, 0x60, v0
	v_cndmask_b32_e32 v12, v13, v12, vcc
	v_ashrrev_i32_e32 v13, 31, v12
	v_lshlrev_b64 v[12:13], 3, v[12:13]
	v_mov_b32_e32 v14, s21
	v_add_co_u32_e64 v12, s[0:1], s20, v12
	v_addc_co_u32_e64 v13, s[0:1], v14, v13, s[0:1]
	global_load_dwordx2 v[12:13], v[12:13], off
	v_add_u32_e32 v14, v3, v1
	v_ashrrev_i32_e32 v15, 31, v14
	v_lshlrev_b64 v[16:17], 2, v[14:15]
	v_mov_b32_e32 v18, s19
	v_add_co_u32_e64 v16, s[0:1], s18, v16
	v_addc_co_u32_e64 v17, s[0:1], v18, v17, s[0:1]
	v_lshlrev_b64 v[14:15], 3, v[14:15]
	global_store_dword v[16:17], v11, off
	v_mov_b32_e32 v11, s17
	v_add_co_u32_e64 v14, s[0:1], s16, v14
	v_addc_co_u32_e64 v15, s[0:1], v11, v15, s[0:1]
	s_waitcnt vmcnt(1)
	global_store_dwordx2 v[14:15], v[12:13], off
	s_branch .LBB95_12
.LBB95_21:
	s_endpgm
	.section	.rodata,"a",@progbits
	.p2align	6, 0x0
	.amdhsa_kernel _ZN9rocsparseL37gebsr2csr_block_per_row_33_128_kernelILi1024ELi128ELi32ELi32ELi32EdEEv20rocsparse_direction_ii21rocsparse_index_base_PKT4_PKiS7_iiS2_PS3_PiS9_
		.amdhsa_group_segment_fixed_size 0
		.amdhsa_private_segment_fixed_size 0
		.amdhsa_kernarg_size 80
		.amdhsa_user_sgpr_count 6
		.amdhsa_user_sgpr_private_segment_buffer 1
		.amdhsa_user_sgpr_dispatch_ptr 0
		.amdhsa_user_sgpr_queue_ptr 0
		.amdhsa_user_sgpr_kernarg_segment_ptr 1
		.amdhsa_user_sgpr_dispatch_id 0
		.amdhsa_user_sgpr_flat_scratch_init 0
		.amdhsa_user_sgpr_kernarg_preload_length 0
		.amdhsa_user_sgpr_kernarg_preload_offset 0
		.amdhsa_user_sgpr_private_segment_size 0
		.amdhsa_uses_dynamic_stack 0
		.amdhsa_system_sgpr_private_segment_wavefront_offset 0
		.amdhsa_system_sgpr_workgroup_id_x 1
		.amdhsa_system_sgpr_workgroup_id_y 0
		.amdhsa_system_sgpr_workgroup_id_z 0
		.amdhsa_system_sgpr_workgroup_info 0
		.amdhsa_system_vgpr_workitem_id 0
		.amdhsa_next_free_vgpr 19
		.amdhsa_next_free_sgpr 30
		.amdhsa_accum_offset 20
		.amdhsa_reserve_vcc 1
		.amdhsa_reserve_flat_scratch 0
		.amdhsa_float_round_mode_32 0
		.amdhsa_float_round_mode_16_64 0
		.amdhsa_float_denorm_mode_32 3
		.amdhsa_float_denorm_mode_16_64 3
		.amdhsa_dx10_clamp 1
		.amdhsa_ieee_mode 1
		.amdhsa_fp16_overflow 0
		.amdhsa_tg_split 0
		.amdhsa_exception_fp_ieee_invalid_op 0
		.amdhsa_exception_fp_denorm_src 0
		.amdhsa_exception_fp_ieee_div_zero 0
		.amdhsa_exception_fp_ieee_overflow 0
		.amdhsa_exception_fp_ieee_underflow 0
		.amdhsa_exception_fp_ieee_inexact 0
		.amdhsa_exception_int_div_zero 0
	.end_amdhsa_kernel
	.section	.text._ZN9rocsparseL37gebsr2csr_block_per_row_33_128_kernelILi1024ELi128ELi32ELi32ELi32EdEEv20rocsparse_direction_ii21rocsparse_index_base_PKT4_PKiS7_iiS2_PS3_PiS9_,"axG",@progbits,_ZN9rocsparseL37gebsr2csr_block_per_row_33_128_kernelILi1024ELi128ELi32ELi32ELi32EdEEv20rocsparse_direction_ii21rocsparse_index_base_PKT4_PKiS7_iiS2_PS3_PiS9_,comdat
.Lfunc_end95:
	.size	_ZN9rocsparseL37gebsr2csr_block_per_row_33_128_kernelILi1024ELi128ELi32ELi32ELi32EdEEv20rocsparse_direction_ii21rocsparse_index_base_PKT4_PKiS7_iiS2_PS3_PiS9_, .Lfunc_end95-_ZN9rocsparseL37gebsr2csr_block_per_row_33_128_kernelILi1024ELi128ELi32ELi32ELi32EdEEv20rocsparse_direction_ii21rocsparse_index_base_PKT4_PKiS7_iiS2_PS3_PiS9_
                                        ; -- End function
	.section	.AMDGPU.csdata,"",@progbits
; Kernel info:
; codeLenInByte = 1464
; NumSgprs: 34
; NumVgprs: 19
; NumAgprs: 0
; TotalNumVgprs: 19
; ScratchSize: 0
; MemoryBound: 0
; FloatMode: 240
; IeeeMode: 1
; LDSByteSize: 0 bytes/workgroup (compile time only)
; SGPRBlocks: 4
; VGPRBlocks: 2
; NumSGPRsForWavesPerEU: 34
; NumVGPRsForWavesPerEU: 19
; AccumOffset: 20
; Occupancy: 8
; WaveLimiterHint : 0
; COMPUTE_PGM_RSRC2:SCRATCH_EN: 0
; COMPUTE_PGM_RSRC2:USER_SGPR: 6
; COMPUTE_PGM_RSRC2:TRAP_HANDLER: 0
; COMPUTE_PGM_RSRC2:TGID_X_EN: 1
; COMPUTE_PGM_RSRC2:TGID_Y_EN: 0
; COMPUTE_PGM_RSRC2:TGID_Z_EN: 0
; COMPUTE_PGM_RSRC2:TIDIG_COMP_CNT: 0
; COMPUTE_PGM_RSRC3_GFX90A:ACCUM_OFFSET: 4
; COMPUTE_PGM_RSRC3_GFX90A:TG_SPLIT: 0
	.section	.text._ZN9rocsparseL37gebsr2csr_block_per_row_33_128_kernelILi1024ELi128ELi64ELi32ELi32EdEEv20rocsparse_direction_ii21rocsparse_index_base_PKT4_PKiS7_iiS2_PS3_PiS9_,"axG",@progbits,_ZN9rocsparseL37gebsr2csr_block_per_row_33_128_kernelILi1024ELi128ELi64ELi32ELi32EdEEv20rocsparse_direction_ii21rocsparse_index_base_PKT4_PKiS7_iiS2_PS3_PiS9_,comdat
	.globl	_ZN9rocsparseL37gebsr2csr_block_per_row_33_128_kernelILi1024ELi128ELi64ELi32ELi32EdEEv20rocsparse_direction_ii21rocsparse_index_base_PKT4_PKiS7_iiS2_PS3_PiS9_ ; -- Begin function _ZN9rocsparseL37gebsr2csr_block_per_row_33_128_kernelILi1024ELi128ELi64ELi32ELi32EdEEv20rocsparse_direction_ii21rocsparse_index_base_PKT4_PKiS7_iiS2_PS3_PiS9_
	.p2align	8
	.type	_ZN9rocsparseL37gebsr2csr_block_per_row_33_128_kernelILi1024ELi128ELi64ELi32ELi32EdEEv20rocsparse_direction_ii21rocsparse_index_base_PKT4_PKiS7_iiS2_PS3_PiS9_,@function
_ZN9rocsparseL37gebsr2csr_block_per_row_33_128_kernelILi1024ELi128ELi64ELi32ELi32EdEEv20rocsparse_direction_ii21rocsparse_index_base_PKT4_PKiS7_iiS2_PS3_PiS9_: ; @_ZN9rocsparseL37gebsr2csr_block_per_row_33_128_kernelILi1024ELi128ELi64ELi32ELi32EdEEv20rocsparse_direction_ii21rocsparse_index_base_PKT4_PKiS7_iiS2_PS3_PiS9_
; %bb.0:
	s_load_dwordx2 s[0:1], s[4:5], 0x18
	s_load_dwordx4 s[12:15], s[4:5], 0x28
	s_load_dwordx2 s[2:3], s[4:5], 0x40
	s_ashr_i32 s7, s6, 31
	s_lshl_b64 s[8:9], s[6:7], 2
	s_waitcnt lgkmcnt(0)
	s_add_u32 s0, s0, s8
	s_addc_u32 s1, s1, s9
	s_load_dwordx2 s[34:35], s[0:1], 0x0
	v_or_b32_e32 v1, s6, v0
	v_cmp_eq_u32_e32 vcc, 0, v1
	s_and_saveexec_b64 s[0:1], vcc
	s_cbranch_execz .LBB96_2
; %bb.1:
	v_mov_b32_e32 v1, 0
	v_mov_b32_e32 v2, s14
	global_store_dword v1, v2, s[2:3]
.LBB96_2:
	s_or_b64 exec, exec, s[0:1]
	s_load_dword s15, s[4:5], 0xc
	v_lshrrev_b32_e32 v2, 5, v0
	s_mul_i32 s18, s6, s12
	s_waitcnt lgkmcnt(0)
	s_sub_i32 s16, s34, s15
	s_sub_i32 s33, s35, s15
	s_mul_i32 s17, s16, s13
	s_sub_i32 s24, s33, s16
	s_mul_i32 s0, s17, s12
	s_mul_i32 s19, s24, s13
	s_add_i32 s20, s0, s14
	s_add_i32 s20, s20, s19
	v_cmp_gt_i32_e64 s[0:1], s12, v2
	s_and_saveexec_b64 s[6:7], s[0:1]
	s_cbranch_execz .LBB96_4
; %bb.3:
	v_add_u32_e32 v4, s18, v2
	v_ashrrev_i32_e32 v5, 31, v4
	v_lshlrev_b64 v[4:5], 2, v[4:5]
	v_mul_lo_u32 v1, v2, s19
	v_mov_b32_e32 v3, s3
	v_add_co_u32_e32 v4, vcc, s2, v4
	v_add_u32_e32 v1, s20, v1
	v_addc_co_u32_e32 v5, vcc, v3, v5, vcc
	global_store_dword v[4:5], v1, off offset:4
.LBB96_4:
	s_or_b64 exec, exec, s[6:7]
	s_add_u32 s21, s2, 4
	v_or_b32_e32 v1, 32, v2
	s_addc_u32 s22, s3, 0
	v_cmp_gt_i32_e64 s[2:3], s12, v1
	s_and_saveexec_b64 s[6:7], s[2:3]
	s_cbranch_execz .LBB96_6
; %bb.5:
	s_ashr_i32 s8, s18, 31
	v_mov_b32_e32 v3, s8
	v_add_co_u32_e32 v4, vcc, s18, v2
	v_addc_co_u32_e32 v5, vcc, 0, v3, vcc
	v_lshlrev_b64 v[4:5], 2, v[4:5]
	v_mul_lo_u32 v1, v1, s19
	v_mov_b32_e32 v3, s22
	v_add_co_u32_e32 v4, vcc, s21, v4
	v_add_u32_e32 v1, s20, v1
	v_addc_co_u32_e32 v5, vcc, v3, v5, vcc
	global_store_dword v[4:5], v1, off offset:128
.LBB96_6:
	s_or_b64 exec, exec, s[6:7]
	v_or_b32_e32 v1, 64, v2
	v_cmp_gt_i32_e64 s[6:7], s12, v1
	s_and_saveexec_b64 s[8:9], s[6:7]
	s_cbranch_execz .LBB96_8
; %bb.7:
	s_ashr_i32 s10, s18, 31
	v_mov_b32_e32 v3, s10
	v_add_co_u32_e32 v4, vcc, s18, v2
	v_addc_co_u32_e32 v5, vcc, 0, v3, vcc
	v_lshlrev_b64 v[4:5], 2, v[4:5]
	v_mul_lo_u32 v1, v1, s19
	v_mov_b32_e32 v3, s22
	v_add_co_u32_e32 v4, vcc, s21, v4
	v_add_u32_e32 v1, s20, v1
	v_addc_co_u32_e32 v5, vcc, v3, v5, vcc
	global_store_dword v[4:5], v1, off offset:256
.LBB96_8:
	s_or_b64 exec, exec, s[8:9]
	v_or_b32_e32 v1, 0x60, v2
	v_cmp_gt_i32_e64 s[8:9], s12, v1
	s_and_saveexec_b64 s[10:11], s[8:9]
	s_cbranch_execz .LBB96_10
; %bb.9:
	v_mul_lo_u32 v1, v1, s19
	s_ashr_i32 s19, s18, 31
	v_mov_b32_e32 v3, s19
	v_add_co_u32_e32 v4, vcc, s18, v2
	v_addc_co_u32_e32 v5, vcc, 0, v3, vcc
	v_lshlrev_b64 v[4:5], 2, v[4:5]
	v_mov_b32_e32 v3, s22
	v_add_co_u32_e32 v4, vcc, s21, v4
	v_add_u32_e32 v1, s20, v1
	v_addc_co_u32_e32 v5, vcc, v3, v5, vcc
	global_store_dword v[4:5], v1, off offset:384
.LBB96_10:
	s_or_b64 exec, exec, s[10:11]
	s_cmp_lt_i32 s34, s35
	s_cbranch_scc0 .LBB96_29
; %bb.11:
	s_load_dwordx2 s[38:39], s[4:5], 0x20
	s_load_dwordx2 s[18:19], s[4:5], 0x38
	;; [unrolled: 1-line block ×3, first 2 shown]
	s_load_dword s10, s[4:5], 0x0
	s_load_dwordx2 s[22:23], s[4:5], 0x48
	v_and_b32_e32 v4, 31, v0
	v_or_b32_e32 v5, 32, v4
	v_cmp_gt_i32_e64 s[4:5], s13, v4
	s_waitcnt lgkmcnt(0)
	s_cmp_eq_u32 s10, 0
	v_cmp_gt_i32_e64 s[10:11], s13, v5
	s_cselect_b64 vcc, -1, 0
	v_mul_lo_u32 v10, v2, s24
	s_and_b64 s[24:25], s[0:1], s[4:5]
	s_and_b64 s[26:27], s[0:1], s[10:11]
	;; [unrolled: 1-line block ×8, first 2 shown]
	s_mul_i32 s10, s12, s16
	v_add_u32_e32 v0, s10, v2
	v_add_u32_e32 v1, 32, v0
	v_mul_lo_u32 v6, s13, v1
	v_add_u32_e32 v1, 64, v0
	v_add_u32_e32 v3, s17, v4
	v_mul_lo_u32 v7, s13, v1
	v_add_u32_e32 v1, 0x60, v0
	v_mul_lo_u32 v9, s13, v0
	;; [unrolled: 2-line block ×3, first 2 shown]
	v_mad_u64_u32 v[0:1], s[0:1], s12, v0, v[2:3]
	v_mad_u64_u32 v[2:3], s[0:1], s12, v3, v[2:3]
	v_add_u32_e32 v11, s10, v10
	v_lshl_add_u32 v1, s35, 5, v11
	s_lshl_b32 s0, s34, 5
	v_subrev_u32_e32 v1, s0, v1
	v_lshl_add_u32 v3, s35, 6, v11
	s_lshl_b32 s0, s34, 6
	v_subrev_u32_e32 v3, s0, v3
	s_mul_i32 s0, s35, 0x60
	v_add_u32_e32 v10, s0, v11
	s_mul_i32 s0, s34, 0x60
	s_ashr_i32 s17, s16, 31
	v_subrev_u32_e32 v10, s0, v10
	s_lshl_b64 s[0:1], s[16:17], 2
	s_add_u32 s10, s38, s0
	s_mul_i32 s36, s13, s12
	s_mov_b32 s37, 0
	v_mul_lo_u32 v1, s13, v1
	v_mul_lo_u32 v3, s13, v3
	;; [unrolled: 1-line block ×4, first 2 shown]
	s_addc_u32 s11, s39, s1
	s_branch .LBB96_13
.LBB96_12:                              ;   in Loop: Header=BB96_13 Depth=1
	s_or_b64 exec, exec, s[34:35]
	s_add_i32 s16, s16, 1
	s_add_i32 s37, s37, s36
	s_add_u32 s10, s10, 4
	s_addc_u32 s11, s11, 0
	v_add_u32_e32 v6, s36, v6
	v_add_u32_e32 v7, s36, v7
	;; [unrolled: 1-line block ×7, first 2 shown]
	s_cmp_ge_i32 s16, s33
	v_add_u32_e32 v11, s13, v11
	s_cbranch_scc1 .LBB96_29
.LBB96_13:                              ; =>This Inner Loop Header: Depth=1
	s_load_dword s0, s[10:11], 0x0
	v_add_u32_e32 v14, s37, v2
	s_waitcnt lgkmcnt(0)
	s_sub_i32 s0, s0, s15
	s_mul_i32 s12, s0, s13
	s_add_i32 s12, s12, s14
	v_add_u32_e32 v12, s12, v4
	s_and_saveexec_b64 s[34:35], s[24:25]
	s_cbranch_execz .LBB96_15
; %bb.14:                               ;   in Loop: Header=BB96_13 Depth=1
	v_add_u32_e32 v13, v4, v9
	v_cndmask_b32_e32 v16, v14, v13, vcc
	v_ashrrev_i32_e32 v17, 31, v16
	v_lshlrev_b64 v[16:17], 3, v[16:17]
	v_mov_b32_e32 v13, s21
	v_add_co_u32_e64 v16, s[0:1], s20, v16
	v_addc_co_u32_e64 v17, s[0:1], v13, v17, s[0:1]
	global_load_dwordx2 v[16:17], v[16:17], off
	v_add_u32_e32 v18, v4, v11
	v_ashrrev_i32_e32 v19, 31, v18
	v_lshlrev_b64 v[20:21], 2, v[18:19]
	v_mov_b32_e32 v13, s23
	v_add_co_u32_e64 v20, s[0:1], s22, v20
	v_addc_co_u32_e64 v21, s[0:1], v13, v21, s[0:1]
	v_lshlrev_b64 v[18:19], 3, v[18:19]
	v_mov_b32_e32 v13, s19
	v_add_co_u32_e64 v18, s[0:1], s18, v18
	v_addc_co_u32_e64 v19, s[0:1], v13, v19, s[0:1]
	global_store_dword v[20:21], v12, off
	s_waitcnt vmcnt(1)
	global_store_dwordx2 v[18:19], v[16:17], off
.LBB96_15:                              ;   in Loop: Header=BB96_13 Depth=1
	s_or_b64 exec, exec, s[34:35]
	v_add_u32_e32 v13, s12, v5
	v_add_u32_e32 v15, s37, v0
	s_and_saveexec_b64 s[34:35], s[26:27]
	s_cbranch_execnz .LBB96_22
; %bb.16:                               ;   in Loop: Header=BB96_13 Depth=1
	s_or_b64 exec, exec, s[34:35]
	v_add_u32_e32 v16, v4, v6
	s_and_saveexec_b64 s[34:35], s[28:29]
	s_cbranch_execnz .LBB96_23
.LBB96_17:                              ;   in Loop: Header=BB96_13 Depth=1
	s_or_b64 exec, exec, s[34:35]
	s_and_saveexec_b64 s[34:35], s[2:3]
	s_cbranch_execnz .LBB96_24
.LBB96_18:                              ;   in Loop: Header=BB96_13 Depth=1
	s_or_b64 exec, exec, s[34:35]
	s_and_saveexec_b64 s[34:35], s[30:31]
	s_cbranch_execnz .LBB96_25
.LBB96_19:                              ;   in Loop: Header=BB96_13 Depth=1
	s_or_b64 exec, exec, s[34:35]
	s_and_saveexec_b64 s[34:35], s[6:7]
	s_cbranch_execnz .LBB96_26
.LBB96_20:                              ;   in Loop: Header=BB96_13 Depth=1
	s_or_b64 exec, exec, s[34:35]
	s_and_saveexec_b64 s[34:35], s[4:5]
	s_cbranch_execnz .LBB96_27
.LBB96_21:                              ;   in Loop: Header=BB96_13 Depth=1
	s_or_b64 exec, exec, s[34:35]
	s_and_saveexec_b64 s[34:35], s[8:9]
	s_cbranch_execz .LBB96_12
	s_branch .LBB96_28
.LBB96_22:                              ;   in Loop: Header=BB96_13 Depth=1
	v_add3_u32 v16, v4, v9, 32
	v_cndmask_b32_e32 v16, v15, v16, vcc
	v_ashrrev_i32_e32 v17, 31, v16
	v_lshlrev_b64 v[16:17], 3, v[16:17]
	v_mov_b32_e32 v18, s21
	v_add_co_u32_e64 v16, s[0:1], s20, v16
	v_addc_co_u32_e64 v17, s[0:1], v18, v17, s[0:1]
	global_load_dwordx2 v[16:17], v[16:17], off
	v_add3_u32 v18, v4, v11, 32
	v_ashrrev_i32_e32 v19, 31, v18
	v_lshlrev_b64 v[20:21], 2, v[18:19]
	v_mov_b32_e32 v22, s23
	v_add_co_u32_e64 v20, s[0:1], s22, v20
	v_addc_co_u32_e64 v21, s[0:1], v22, v21, s[0:1]
	v_lshlrev_b64 v[18:19], 3, v[18:19]
	global_store_dword v[20:21], v13, off
	v_mov_b32_e32 v20, s19
	v_add_co_u32_e64 v18, s[0:1], s18, v18
	v_addc_co_u32_e64 v19, s[0:1], v20, v19, s[0:1]
	s_waitcnt vmcnt(1)
	global_store_dwordx2 v[18:19], v[16:17], off
	s_or_b64 exec, exec, s[34:35]
	v_add_u32_e32 v16, v4, v6
	s_and_saveexec_b64 s[34:35], s[28:29]
	s_cbranch_execz .LBB96_17
.LBB96_23:                              ;   in Loop: Header=BB96_13 Depth=1
	v_add3_u32 v17, v2, s37, 32
	v_cndmask_b32_e32 v18, v17, v16, vcc
	v_ashrrev_i32_e32 v19, 31, v18
	v_lshlrev_b64 v[18:19], 3, v[18:19]
	v_mov_b32_e32 v17, s21
	v_add_co_u32_e64 v18, s[0:1], s20, v18
	v_addc_co_u32_e64 v19, s[0:1], v17, v19, s[0:1]
	global_load_dwordx2 v[18:19], v[18:19], off
	v_add_u32_e32 v20, v4, v1
	v_ashrrev_i32_e32 v21, 31, v20
	v_lshlrev_b64 v[22:23], 2, v[20:21]
	v_mov_b32_e32 v17, s23
	v_add_co_u32_e64 v22, s[0:1], s22, v22
	v_addc_co_u32_e64 v23, s[0:1], v17, v23, s[0:1]
	v_lshlrev_b64 v[20:21], 3, v[20:21]
	v_mov_b32_e32 v17, s19
	v_add_co_u32_e64 v20, s[0:1], s18, v20
	v_addc_co_u32_e64 v21, s[0:1], v17, v21, s[0:1]
	global_store_dword v[22:23], v12, off
	s_waitcnt vmcnt(1)
	global_store_dwordx2 v[20:21], v[18:19], off
	s_or_b64 exec, exec, s[34:35]
	s_and_saveexec_b64 s[34:35], s[2:3]
	s_cbranch_execz .LBB96_18
.LBB96_24:                              ;   in Loop: Header=BB96_13 Depth=1
	v_cndmask_b32_e32 v16, v15, v16, vcc
	v_add_u32_e32 v16, 32, v16
	v_ashrrev_i32_e32 v17, 31, v16
	v_lshlrev_b64 v[16:17], 3, v[16:17]
	v_mov_b32_e32 v18, s21
	v_add_co_u32_e64 v16, s[0:1], s20, v16
	v_addc_co_u32_e64 v17, s[0:1], v18, v17, s[0:1]
	global_load_dwordx2 v[16:17], v[16:17], off
	v_add3_u32 v18, v4, v1, 32
	v_ashrrev_i32_e32 v19, 31, v18
	v_lshlrev_b64 v[20:21], 2, v[18:19]
	v_mov_b32_e32 v22, s23
	v_add_co_u32_e64 v20, s[0:1], s22, v20
	v_addc_co_u32_e64 v21, s[0:1], v22, v21, s[0:1]
	v_lshlrev_b64 v[18:19], 3, v[18:19]
	global_store_dword v[20:21], v13, off
	v_mov_b32_e32 v20, s19
	v_add_co_u32_e64 v18, s[0:1], s18, v18
	v_addc_co_u32_e64 v19, s[0:1], v20, v19, s[0:1]
	s_waitcnt vmcnt(1)
	global_store_dwordx2 v[18:19], v[16:17], off
	s_or_b64 exec, exec, s[34:35]
	s_and_saveexec_b64 s[34:35], s[30:31]
	s_cbranch_execz .LBB96_19
.LBB96_25:                              ;   in Loop: Header=BB96_13 Depth=1
	v_add_u32_e32 v16, v4, v7
	v_add3_u32 v17, v2, s37, 64
	v_cndmask_b32_e32 v16, v17, v16, vcc
	v_ashrrev_i32_e32 v17, 31, v16
	v_lshlrev_b64 v[16:17], 3, v[16:17]
	v_mov_b32_e32 v18, s21
	v_add_co_u32_e64 v16, s[0:1], s20, v16
	v_addc_co_u32_e64 v17, s[0:1], v18, v17, s[0:1]
	global_load_dwordx2 v[16:17], v[16:17], off
	v_add_u32_e32 v18, v4, v3
	v_ashrrev_i32_e32 v19, 31, v18
	v_lshlrev_b64 v[20:21], 2, v[18:19]
	v_mov_b32_e32 v22, s23
	v_add_co_u32_e64 v20, s[0:1], s22, v20
	v_addc_co_u32_e64 v21, s[0:1], v22, v21, s[0:1]
	v_lshlrev_b64 v[18:19], 3, v[18:19]
	global_store_dword v[20:21], v12, off
	v_mov_b32_e32 v20, s19
	v_add_co_u32_e64 v18, s[0:1], s18, v18
	v_addc_co_u32_e64 v19, s[0:1], v20, v19, s[0:1]
	s_waitcnt vmcnt(1)
	global_store_dwordx2 v[18:19], v[16:17], off
	s_or_b64 exec, exec, s[34:35]
	s_and_saveexec_b64 s[34:35], s[6:7]
	s_cbranch_execz .LBB96_20
.LBB96_26:                              ;   in Loop: Header=BB96_13 Depth=1
	v_add3_u32 v16, v4, v7, 32
	v_add3_u32 v17, v0, s37, 64
	v_cndmask_b32_e32 v16, v17, v16, vcc
	v_ashrrev_i32_e32 v17, 31, v16
	v_lshlrev_b64 v[16:17], 3, v[16:17]
	v_mov_b32_e32 v18, s21
	v_add_co_u32_e64 v16, s[0:1], s20, v16
	v_addc_co_u32_e64 v17, s[0:1], v18, v17, s[0:1]
	global_load_dwordx2 v[16:17], v[16:17], off
	v_add3_u32 v18, v4, v3, 32
	v_ashrrev_i32_e32 v19, 31, v18
	v_lshlrev_b64 v[20:21], 2, v[18:19]
	v_mov_b32_e32 v22, s23
	v_add_co_u32_e64 v20, s[0:1], s22, v20
	v_addc_co_u32_e64 v21, s[0:1], v22, v21, s[0:1]
	v_lshlrev_b64 v[18:19], 3, v[18:19]
	global_store_dword v[20:21], v13, off
	v_mov_b32_e32 v20, s19
	v_add_co_u32_e64 v18, s[0:1], s18, v18
	v_addc_co_u32_e64 v19, s[0:1], v20, v19, s[0:1]
	s_waitcnt vmcnt(1)
	global_store_dwordx2 v[18:19], v[16:17], off
	s_or_b64 exec, exec, s[34:35]
	s_and_saveexec_b64 s[34:35], s[4:5]
	s_cbranch_execz .LBB96_21
.LBB96_27:                              ;   in Loop: Header=BB96_13 Depth=1
	v_add_u32_e32 v16, v4, v8
	v_add_u32_e32 v14, 0x60, v14
	v_cndmask_b32_e32 v16, v14, v16, vcc
	v_ashrrev_i32_e32 v17, 31, v16
	v_lshlrev_b64 v[16:17], 3, v[16:17]
	v_mov_b32_e32 v14, s21
	v_add_co_u32_e64 v16, s[0:1], s20, v16
	v_addc_co_u32_e64 v17, s[0:1], v14, v17, s[0:1]
	global_load_dwordx2 v[16:17], v[16:17], off
	v_add_u32_e32 v18, v4, v10
	v_ashrrev_i32_e32 v19, 31, v18
	v_lshlrev_b64 v[20:21], 2, v[18:19]
	v_mov_b32_e32 v14, s23
	v_add_co_u32_e64 v20, s[0:1], s22, v20
	v_addc_co_u32_e64 v21, s[0:1], v14, v21, s[0:1]
	v_lshlrev_b64 v[18:19], 3, v[18:19]
	global_store_dword v[20:21], v12, off
	v_mov_b32_e32 v12, s19
	v_add_co_u32_e64 v18, s[0:1], s18, v18
	v_addc_co_u32_e64 v19, s[0:1], v12, v19, s[0:1]
	s_waitcnt vmcnt(1)
	global_store_dwordx2 v[18:19], v[16:17], off
	s_or_b64 exec, exec, s[34:35]
	s_and_saveexec_b64 s[34:35], s[8:9]
	s_cbranch_execz .LBB96_12
.LBB96_28:                              ;   in Loop: Header=BB96_13 Depth=1
	v_add3_u32 v12, v4, v8, 32
	v_add_u32_e32 v14, 0x60, v15
	v_cndmask_b32_e32 v14, v14, v12, vcc
	v_ashrrev_i32_e32 v15, 31, v14
	v_lshlrev_b64 v[14:15], 3, v[14:15]
	v_mov_b32_e32 v12, s21
	v_add_co_u32_e64 v14, s[0:1], s20, v14
	v_addc_co_u32_e64 v15, s[0:1], v12, v15, s[0:1]
	global_load_dwordx2 v[14:15], v[14:15], off
	v_add3_u32 v16, v4, v10, 32
	v_ashrrev_i32_e32 v17, 31, v16
	v_lshlrev_b64 v[18:19], 2, v[16:17]
	v_mov_b32_e32 v12, s23
	v_add_co_u32_e64 v18, s[0:1], s22, v18
	v_addc_co_u32_e64 v19, s[0:1], v12, v19, s[0:1]
	global_store_dword v[18:19], v13, off
	v_lshlrev_b64 v[12:13], 3, v[16:17]
	v_mov_b32_e32 v16, s19
	v_add_co_u32_e64 v12, s[0:1], s18, v12
	v_addc_co_u32_e64 v13, s[0:1], v16, v13, s[0:1]
	s_waitcnt vmcnt(1)
	global_store_dwordx2 v[12:13], v[14:15], off
	s_branch .LBB96_12
.LBB96_29:
	s_endpgm
	.section	.rodata,"a",@progbits
	.p2align	6, 0x0
	.amdhsa_kernel _ZN9rocsparseL37gebsr2csr_block_per_row_33_128_kernelILi1024ELi128ELi64ELi32ELi32EdEEv20rocsparse_direction_ii21rocsparse_index_base_PKT4_PKiS7_iiS2_PS3_PiS9_
		.amdhsa_group_segment_fixed_size 0
		.amdhsa_private_segment_fixed_size 0
		.amdhsa_kernarg_size 80
		.amdhsa_user_sgpr_count 6
		.amdhsa_user_sgpr_private_segment_buffer 1
		.amdhsa_user_sgpr_dispatch_ptr 0
		.amdhsa_user_sgpr_queue_ptr 0
		.amdhsa_user_sgpr_kernarg_segment_ptr 1
		.amdhsa_user_sgpr_dispatch_id 0
		.amdhsa_user_sgpr_flat_scratch_init 0
		.amdhsa_user_sgpr_kernarg_preload_length 0
		.amdhsa_user_sgpr_kernarg_preload_offset 0
		.amdhsa_user_sgpr_private_segment_size 0
		.amdhsa_uses_dynamic_stack 0
		.amdhsa_system_sgpr_private_segment_wavefront_offset 0
		.amdhsa_system_sgpr_workgroup_id_x 1
		.amdhsa_system_sgpr_workgroup_id_y 0
		.amdhsa_system_sgpr_workgroup_id_z 0
		.amdhsa_system_sgpr_workgroup_info 0
		.amdhsa_system_vgpr_workitem_id 0
		.amdhsa_next_free_vgpr 24
		.amdhsa_next_free_sgpr 40
		.amdhsa_accum_offset 24
		.amdhsa_reserve_vcc 1
		.amdhsa_reserve_flat_scratch 0
		.amdhsa_float_round_mode_32 0
		.amdhsa_float_round_mode_16_64 0
		.amdhsa_float_denorm_mode_32 3
		.amdhsa_float_denorm_mode_16_64 3
		.amdhsa_dx10_clamp 1
		.amdhsa_ieee_mode 1
		.amdhsa_fp16_overflow 0
		.amdhsa_tg_split 0
		.amdhsa_exception_fp_ieee_invalid_op 0
		.amdhsa_exception_fp_denorm_src 0
		.amdhsa_exception_fp_ieee_div_zero 0
		.amdhsa_exception_fp_ieee_overflow 0
		.amdhsa_exception_fp_ieee_underflow 0
		.amdhsa_exception_fp_ieee_inexact 0
		.amdhsa_exception_int_div_zero 0
	.end_amdhsa_kernel
	.section	.text._ZN9rocsparseL37gebsr2csr_block_per_row_33_128_kernelILi1024ELi128ELi64ELi32ELi32EdEEv20rocsparse_direction_ii21rocsparse_index_base_PKT4_PKiS7_iiS2_PS3_PiS9_,"axG",@progbits,_ZN9rocsparseL37gebsr2csr_block_per_row_33_128_kernelILi1024ELi128ELi64ELi32ELi32EdEEv20rocsparse_direction_ii21rocsparse_index_base_PKT4_PKiS7_iiS2_PS3_PiS9_,comdat
.Lfunc_end96:
	.size	_ZN9rocsparseL37gebsr2csr_block_per_row_33_128_kernelILi1024ELi128ELi64ELi32ELi32EdEEv20rocsparse_direction_ii21rocsparse_index_base_PKT4_PKiS7_iiS2_PS3_PiS9_, .Lfunc_end96-_ZN9rocsparseL37gebsr2csr_block_per_row_33_128_kernelILi1024ELi128ELi64ELi32ELi32EdEEv20rocsparse_direction_ii21rocsparse_index_base_PKT4_PKiS7_iiS2_PS3_PiS9_
                                        ; -- End function
	.section	.AMDGPU.csdata,"",@progbits
; Kernel info:
; codeLenInByte = 2188
; NumSgprs: 44
; NumVgprs: 24
; NumAgprs: 0
; TotalNumVgprs: 24
; ScratchSize: 0
; MemoryBound: 0
; FloatMode: 240
; IeeeMode: 1
; LDSByteSize: 0 bytes/workgroup (compile time only)
; SGPRBlocks: 5
; VGPRBlocks: 2
; NumSGPRsForWavesPerEU: 44
; NumVGPRsForWavesPerEU: 24
; AccumOffset: 24
; Occupancy: 8
; WaveLimiterHint : 1
; COMPUTE_PGM_RSRC2:SCRATCH_EN: 0
; COMPUTE_PGM_RSRC2:USER_SGPR: 6
; COMPUTE_PGM_RSRC2:TRAP_HANDLER: 0
; COMPUTE_PGM_RSRC2:TGID_X_EN: 1
; COMPUTE_PGM_RSRC2:TGID_Y_EN: 0
; COMPUTE_PGM_RSRC2:TGID_Z_EN: 0
; COMPUTE_PGM_RSRC2:TIDIG_COMP_CNT: 0
; COMPUTE_PGM_RSRC3_GFX90A:ACCUM_OFFSET: 5
; COMPUTE_PGM_RSRC3_GFX90A:TG_SPLIT: 0
	.section	.text._ZN9rocsparseL37gebsr2csr_block_per_row_33_128_kernelILi1024ELi128ELi128ELi32ELi32EdEEv20rocsparse_direction_ii21rocsparse_index_base_PKT4_PKiS7_iiS2_PS3_PiS9_,"axG",@progbits,_ZN9rocsparseL37gebsr2csr_block_per_row_33_128_kernelILi1024ELi128ELi128ELi32ELi32EdEEv20rocsparse_direction_ii21rocsparse_index_base_PKT4_PKiS7_iiS2_PS3_PiS9_,comdat
	.globl	_ZN9rocsparseL37gebsr2csr_block_per_row_33_128_kernelILi1024ELi128ELi128ELi32ELi32EdEEv20rocsparse_direction_ii21rocsparse_index_base_PKT4_PKiS7_iiS2_PS3_PiS9_ ; -- Begin function _ZN9rocsparseL37gebsr2csr_block_per_row_33_128_kernelILi1024ELi128ELi128ELi32ELi32EdEEv20rocsparse_direction_ii21rocsparse_index_base_PKT4_PKiS7_iiS2_PS3_PiS9_
	.p2align	8
	.type	_ZN9rocsparseL37gebsr2csr_block_per_row_33_128_kernelILi1024ELi128ELi128ELi32ELi32EdEEv20rocsparse_direction_ii21rocsparse_index_base_PKT4_PKiS7_iiS2_PS3_PiS9_,@function
_ZN9rocsparseL37gebsr2csr_block_per_row_33_128_kernelILi1024ELi128ELi128ELi32ELi32EdEEv20rocsparse_direction_ii21rocsparse_index_base_PKT4_PKiS7_iiS2_PS3_PiS9_: ; @_ZN9rocsparseL37gebsr2csr_block_per_row_33_128_kernelILi1024ELi128ELi128ELi32ELi32EdEEv20rocsparse_direction_ii21rocsparse_index_base_PKT4_PKiS7_iiS2_PS3_PiS9_
; %bb.0:
	s_load_dwordx2 s[0:1], s[4:5], 0x18
	s_load_dwordx4 s[16:19], s[4:5], 0x28
	s_load_dwordx2 s[2:3], s[4:5], 0x40
	s_ashr_i32 s7, s6, 31
	s_lshl_b64 s[8:9], s[6:7], 2
	s_waitcnt lgkmcnt(0)
	s_add_u32 s0, s0, s8
	s_addc_u32 s1, s1, s9
	s_load_dwordx2 s[50:51], s[0:1], 0x0
	v_or_b32_e32 v1, s6, v0
	v_cmp_eq_u32_e32 vcc, 0, v1
	s_and_saveexec_b64 s[0:1], vcc
	s_cbranch_execz .LBB97_2
; %bb.1:
	v_mov_b32_e32 v1, 0
	v_mov_b32_e32 v2, s18
	global_store_dword v1, v2, s[2:3]
.LBB97_2:
	s_or_b64 exec, exec, s[0:1]
	s_load_dword s19, s[4:5], 0xc
	v_lshrrev_b32_e32 v6, 5, v0
	s_mul_i32 s13, s6, s16
	s_waitcnt lgkmcnt(0)
	s_sub_i32 s20, s50, s19
	s_sub_i32 s33, s51, s19
	s_mul_i32 s21, s20, s17
	s_sub_i32 s12, s33, s20
	s_mul_i32 s0, s21, s16
	s_mul_i32 s14, s12, s17
	s_add_i32 s15, s0, s18
	s_add_i32 s15, s15, s14
	v_cmp_gt_i32_e64 s[0:1], s16, v6
	s_and_saveexec_b64 s[6:7], s[0:1]
	s_cbranch_execz .LBB97_4
; %bb.3:
	v_add_u32_e32 v2, s13, v6
	v_ashrrev_i32_e32 v3, 31, v2
	v_lshlrev_b64 v[2:3], 2, v[2:3]
	v_mul_lo_u32 v1, v6, s14
	v_mov_b32_e32 v4, s3
	v_add_co_u32_e32 v2, vcc, s2, v2
	v_add_u32_e32 v1, s15, v1
	v_addc_co_u32_e32 v3, vcc, v4, v3, vcc
	global_store_dword v[2:3], v1, off offset:4
.LBB97_4:
	s_or_b64 exec, exec, s[6:7]
	s_add_u32 s22, s2, 4
	v_or_b32_e32 v1, 32, v6
	s_addc_u32 s23, s3, 0
	v_cmp_gt_i32_e64 s[2:3], s16, v1
	s_and_saveexec_b64 s[6:7], s[2:3]
	s_cbranch_execz .LBB97_6
; %bb.5:
	s_ashr_i32 s8, s13, 31
	v_mov_b32_e32 v3, s8
	v_add_co_u32_e32 v2, vcc, s13, v6
	v_addc_co_u32_e32 v3, vcc, 0, v3, vcc
	v_lshlrev_b64 v[2:3], 2, v[2:3]
	v_mul_lo_u32 v1, v1, s14
	v_mov_b32_e32 v4, s23
	v_add_co_u32_e32 v2, vcc, s22, v2
	v_add_u32_e32 v1, s15, v1
	v_addc_co_u32_e32 v3, vcc, v4, v3, vcc
	global_store_dword v[2:3], v1, off offset:128
.LBB97_6:
	s_or_b64 exec, exec, s[6:7]
	v_or_b32_e32 v1, 64, v6
	v_cmp_gt_i32_e64 s[6:7], s16, v1
	s_and_saveexec_b64 s[8:9], s[6:7]
	s_cbranch_execz .LBB97_8
; %bb.7:
	s_ashr_i32 s10, s13, 31
	v_mov_b32_e32 v3, s10
	v_add_co_u32_e32 v2, vcc, s13, v6
	v_addc_co_u32_e32 v3, vcc, 0, v3, vcc
	v_lshlrev_b64 v[2:3], 2, v[2:3]
	v_mul_lo_u32 v1, v1, s14
	v_mov_b32_e32 v4, s23
	v_add_co_u32_e32 v2, vcc, s22, v2
	v_add_u32_e32 v1, s15, v1
	v_addc_co_u32_e32 v3, vcc, v4, v3, vcc
	global_store_dword v[2:3], v1, off offset:256
.LBB97_8:
	s_or_b64 exec, exec, s[8:9]
	v_or_b32_e32 v1, 0x60, v6
	v_cmp_gt_i32_e64 s[8:9], s16, v1
	s_and_saveexec_b64 s[10:11], s[8:9]
	s_cbranch_execz .LBB97_10
; %bb.9:
	v_mul_lo_u32 v1, v1, s14
	s_ashr_i32 s14, s13, 31
	v_mov_b32_e32 v3, s14
	v_add_co_u32_e32 v2, vcc, s13, v6
	v_addc_co_u32_e32 v3, vcc, 0, v3, vcc
	v_lshlrev_b64 v[2:3], 2, v[2:3]
	v_mov_b32_e32 v4, s23
	v_add_co_u32_e32 v2, vcc, s22, v2
	v_add_u32_e32 v1, s15, v1
	v_addc_co_u32_e32 v3, vcc, v4, v3, vcc
	global_store_dword v[2:3], v1, off offset:384
.LBB97_10:
	s_or_b64 exec, exec, s[10:11]
	s_cmp_lt_i32 s50, s51
	s_cbranch_scc0 .LBB97_45
; %bb.11:
	s_load_dwordx2 s[56:57], s[4:5], 0x20
	s_load_dwordx2 s[22:23], s[4:5], 0x38
	;; [unrolled: 1-line block ×3, first 2 shown]
	s_load_dword s10, s[4:5], 0x0
	s_load_dwordx2 s[26:27], s[4:5], 0x48
	v_and_b32_e32 v8, 31, v0
	v_or_b32_e32 v9, 32, v8
	v_or_b32_e32 v10, 64, v8
	;; [unrolled: 1-line block ×3, first 2 shown]
	s_waitcnt lgkmcnt(0)
	s_cmp_eq_u32 s10, 0
	v_mul_lo_u32 v16, v6, s12
	v_cmp_gt_i32_e64 s[4:5], s17, v8
	v_cmp_gt_i32_e64 s[10:11], s17, v9
	;; [unrolled: 1-line block ×4, first 2 shown]
	s_cselect_b64 vcc, -1, 0
	s_and_b64 s[28:29], s[0:1], s[4:5]
	s_and_b64 s[30:31], s[0:1], s[10:11]
	;; [unrolled: 1-line block ×16, first 2 shown]
	s_mul_i32 s14, s16, s20
	v_add_u32_e32 v0, s14, v6
	v_add_u32_e32 v1, 32, v0
	v_mul_lo_u32 v12, s17, v1
	v_add_u32_e32 v1, 64, v0
	v_add_u32_e32 v7, s21, v8
	v_mul_lo_u32 v13, s17, v1
	v_add_u32_e32 v1, 0x60, v0
	v_mul_lo_u32 v15, s17, v0
	;; [unrolled: 2-line block ×3, first 2 shown]
	v_mad_u64_u32 v[0:1], s[0:1], s16, v0, v[6:7]
	v_add_u32_e32 v1, 64, v7
	v_mad_u64_u32 v[2:3], s[0:1], s16, v1, v[6:7]
	v_add_u32_e32 v1, 32, v7
	v_mad_u64_u32 v[4:5], s[0:1], s16, v1, v[6:7]
	v_mad_u64_u32 v[6:7], s[0:1], s16, v7, v[6:7]
	v_add_u32_e32 v7, s14, v16
	v_lshl_add_u32 v1, s51, 5, v7
	s_lshl_b32 s0, s50, 5
	v_subrev_u32_e32 v1, s0, v1
	v_lshl_add_u32 v3, s51, 6, v7
	s_lshl_b32 s0, s50, 6
	v_subrev_u32_e32 v3, s0, v3
	s_mul_i32 s0, s51, 0x60
	v_add_u32_e32 v5, s0, v7
	s_mul_i32 s0, s50, 0x60
	s_ashr_i32 s21, s20, 31
	v_subrev_u32_e32 v5, s0, v5
	s_lshl_b64 s[0:1], s[20:21], 2
	s_add_u32 s14, s56, s0
	s_mul_i32 s52, s17, s16
	s_mov_b32 s53, 0
	s_movk_i32 s54, 0x60
	v_mul_lo_u32 v1, s17, v1
	v_mul_lo_u32 v3, s17, v3
	;; [unrolled: 1-line block ×4, first 2 shown]
	s_addc_u32 s15, s57, s1
	s_branch .LBB97_13
.LBB97_12:                              ;   in Loop: Header=BB97_13 Depth=1
	s_or_b64 exec, exec, s[50:51]
	s_add_i32 s20, s20, 1
	s_add_i32 s53, s53, s52
	s_add_u32 s14, s14, 4
	s_addc_u32 s15, s15, 0
	v_add_u32_e32 v12, s52, v12
	v_add_u32_e32 v13, s52, v13
	;; [unrolled: 1-line block ×7, first 2 shown]
	s_cmp_ge_i32 s20, s33
	v_add_u32_e32 v7, s17, v7
	s_cbranch_scc1 .LBB97_45
.LBB97_13:                              ; =>This Inner Loop Header: Depth=1
	s_load_dword s0, s[14:15], 0x0
	v_add_u32_e32 v20, s53, v6
	s_waitcnt lgkmcnt(0)
	s_sub_i32 s0, s0, s19
	s_mul_i32 s16, s0, s17
	s_add_i32 s16, s16, s18
	v_add_u32_e32 v16, s16, v8
	s_and_saveexec_b64 s[50:51], s[28:29]
	s_cbranch_execz .LBB97_15
; %bb.14:                               ;   in Loop: Header=BB97_13 Depth=1
	v_add_u32_e32 v17, v8, v15
	v_cndmask_b32_e32 v18, v20, v17, vcc
	v_ashrrev_i32_e32 v19, 31, v18
	v_lshlrev_b64 v[18:19], 3, v[18:19]
	v_mov_b32_e32 v17, s25
	v_add_co_u32_e64 v18, s[0:1], s24, v18
	v_addc_co_u32_e64 v19, s[0:1], v17, v19, s[0:1]
	global_load_dwordx2 v[18:19], v[18:19], off
	v_add_u32_e32 v22, v8, v7
	v_ashrrev_i32_e32 v23, 31, v22
	v_lshlrev_b64 v[24:25], 2, v[22:23]
	v_mov_b32_e32 v17, s27
	v_add_co_u32_e64 v24, s[0:1], s26, v24
	v_addc_co_u32_e64 v25, s[0:1], v17, v25, s[0:1]
	v_lshlrev_b64 v[22:23], 3, v[22:23]
	v_mov_b32_e32 v17, s23
	v_add_co_u32_e64 v22, s[0:1], s22, v22
	v_addc_co_u32_e64 v23, s[0:1], v17, v23, s[0:1]
	global_store_dword v[24:25], v16, off
	s_waitcnt vmcnt(1)
	global_store_dwordx2 v[22:23], v[18:19], off
.LBB97_15:                              ;   in Loop: Header=BB97_13 Depth=1
	s_or_b64 exec, exec, s[50:51]
	v_add_u32_e32 v17, s16, v9
	v_add_u32_e32 v21, s53, v4
	s_and_saveexec_b64 s[50:51], s[30:31]
	s_cbranch_execz .LBB97_17
; %bb.16:                               ;   in Loop: Header=BB97_13 Depth=1
	v_add3_u32 v18, v8, v15, 32
	v_cndmask_b32_e32 v18, v21, v18, vcc
	v_ashrrev_i32_e32 v19, 31, v18
	v_lshlrev_b64 v[18:19], 3, v[18:19]
	v_mov_b32_e32 v22, s25
	v_add_co_u32_e64 v18, s[0:1], s24, v18
	v_addc_co_u32_e64 v19, s[0:1], v22, v19, s[0:1]
	global_load_dwordx2 v[18:19], v[18:19], off
	v_add3_u32 v22, v8, v7, 32
	v_ashrrev_i32_e32 v23, 31, v22
	v_lshlrev_b64 v[24:25], 2, v[22:23]
	v_mov_b32_e32 v26, s27
	v_add_co_u32_e64 v24, s[0:1], s26, v24
	v_addc_co_u32_e64 v25, s[0:1], v26, v25, s[0:1]
	v_lshlrev_b64 v[22:23], 3, v[22:23]
	global_store_dword v[24:25], v17, off
	v_mov_b32_e32 v24, s23
	v_add_co_u32_e64 v22, s[0:1], s22, v22
	v_addc_co_u32_e64 v23, s[0:1], v24, v23, s[0:1]
	s_waitcnt vmcnt(1)
	global_store_dwordx2 v[22:23], v[18:19], off
.LBB97_17:                              ;   in Loop: Header=BB97_13 Depth=1
	s_or_b64 exec, exec, s[50:51]
	v_add_u32_e32 v18, s16, v10
	v_add_u32_e32 v22, s53, v2
	s_and_saveexec_b64 s[50:51], s[34:35]
	s_cbranch_execz .LBB97_19
; %bb.18:                               ;   in Loop: Header=BB97_13 Depth=1
	v_add3_u32 v19, v8, v15, 64
	v_cndmask_b32_e32 v24, v22, v19, vcc
	v_ashrrev_i32_e32 v25, 31, v24
	v_lshlrev_b64 v[24:25], 3, v[24:25]
	v_mov_b32_e32 v19, s25
	v_add_co_u32_e64 v24, s[0:1], s24, v24
	v_addc_co_u32_e64 v25, s[0:1], v19, v25, s[0:1]
	global_load_dwordx2 v[24:25], v[24:25], off
	v_add3_u32 v26, v8, v7, 64
	v_ashrrev_i32_e32 v27, 31, v26
	v_lshlrev_b64 v[28:29], 2, v[26:27]
	v_mov_b32_e32 v19, s27
	v_add_co_u32_e64 v28, s[0:1], s26, v28
	v_addc_co_u32_e64 v29, s[0:1], v19, v29, s[0:1]
	v_lshlrev_b64 v[26:27], 3, v[26:27]
	v_mov_b32_e32 v19, s23
	v_add_co_u32_e64 v26, s[0:1], s22, v26
	v_addc_co_u32_e64 v27, s[0:1], v19, v27, s[0:1]
	global_store_dword v[28:29], v18, off
	s_waitcnt vmcnt(1)
	global_store_dwordx2 v[26:27], v[24:25], off
.LBB97_19:                              ;   in Loop: Header=BB97_13 Depth=1
	s_or_b64 exec, exec, s[50:51]
	v_add_u32_e32 v19, s16, v11
	v_add_u32_e32 v23, s53, v0
	s_and_saveexec_b64 s[50:51], s[36:37]
	s_cbranch_execnz .LBB97_32
; %bb.20:                               ;   in Loop: Header=BB97_13 Depth=1
	s_or_b64 exec, exec, s[50:51]
	v_add_u32_e32 v24, v8, v12
	s_and_saveexec_b64 s[50:51], s[38:39]
	s_cbranch_execnz .LBB97_33
.LBB97_21:                              ;   in Loop: Header=BB97_13 Depth=1
	s_or_b64 exec, exec, s[50:51]
	s_and_saveexec_b64 s[50:51], s[40:41]
	s_cbranch_execnz .LBB97_34
.LBB97_22:                              ;   in Loop: Header=BB97_13 Depth=1
	s_or_b64 exec, exec, s[50:51]
	s_and_saveexec_b64 s[50:51], s[42:43]
	s_cbranch_execnz .LBB97_35
.LBB97_23:                              ;   in Loop: Header=BB97_13 Depth=1
	s_or_b64 exec, exec, s[50:51]
	s_and_saveexec_b64 s[50:51], s[2:3]
	s_cbranch_execnz .LBB97_36
.LBB97_24:                              ;   in Loop: Header=BB97_13 Depth=1
	s_or_b64 exec, exec, s[50:51]
	v_add_u32_e32 v24, v8, v13
	s_and_saveexec_b64 s[50:51], s[44:45]
	s_cbranch_execnz .LBB97_37
.LBB97_25:                              ;   in Loop: Header=BB97_13 Depth=1
	s_or_b64 exec, exec, s[50:51]
	s_and_saveexec_b64 s[50:51], s[46:47]
	s_cbranch_execnz .LBB97_38
.LBB97_26:                              ;   in Loop: Header=BB97_13 Depth=1
	s_or_b64 exec, exec, s[50:51]
	s_and_saveexec_b64 s[50:51], s[48:49]
	s_cbranch_execnz .LBB97_39
.LBB97_27:                              ;   in Loop: Header=BB97_13 Depth=1
	s_or_b64 exec, exec, s[50:51]
	s_and_saveexec_b64 s[50:51], s[6:7]
	s_cbranch_execnz .LBB97_40
.LBB97_28:                              ;   in Loop: Header=BB97_13 Depth=1
	s_or_b64 exec, exec, s[50:51]
	v_add_u32_e32 v24, v8, v14
	s_and_saveexec_b64 s[50:51], s[4:5]
	s_cbranch_execnz .LBB97_41
.LBB97_29:                              ;   in Loop: Header=BB97_13 Depth=1
	s_or_b64 exec, exec, s[50:51]
	s_and_saveexec_b64 s[50:51], s[10:11]
	s_cbranch_execnz .LBB97_42
.LBB97_30:                              ;   in Loop: Header=BB97_13 Depth=1
	s_or_b64 exec, exec, s[50:51]
	s_and_saveexec_b64 s[50:51], s[12:13]
	s_cbranch_execnz .LBB97_43
.LBB97_31:                              ;   in Loop: Header=BB97_13 Depth=1
	s_or_b64 exec, exec, s[50:51]
	s_and_saveexec_b64 s[50:51], s[8:9]
	s_cbranch_execz .LBB97_12
	s_branch .LBB97_44
.LBB97_32:                              ;   in Loop: Header=BB97_13 Depth=1
	v_add3_u32 v24, v8, v15, s54
	v_cndmask_b32_e32 v24, v23, v24, vcc
	v_ashrrev_i32_e32 v25, 31, v24
	v_lshlrev_b64 v[24:25], 3, v[24:25]
	v_mov_b32_e32 v26, s25
	v_add_co_u32_e64 v24, s[0:1], s24, v24
	v_addc_co_u32_e64 v25, s[0:1], v26, v25, s[0:1]
	global_load_dwordx2 v[24:25], v[24:25], off
	v_add3_u32 v26, v8, v7, s54
	v_ashrrev_i32_e32 v27, 31, v26
	v_lshlrev_b64 v[28:29], 2, v[26:27]
	v_mov_b32_e32 v30, s27
	v_add_co_u32_e64 v28, s[0:1], s26, v28
	v_addc_co_u32_e64 v29, s[0:1], v30, v29, s[0:1]
	v_lshlrev_b64 v[26:27], 3, v[26:27]
	global_store_dword v[28:29], v19, off
	v_mov_b32_e32 v28, s23
	v_add_co_u32_e64 v26, s[0:1], s22, v26
	v_addc_co_u32_e64 v27, s[0:1], v28, v27, s[0:1]
	s_waitcnt vmcnt(1)
	global_store_dwordx2 v[26:27], v[24:25], off
	s_or_b64 exec, exec, s[50:51]
	v_add_u32_e32 v24, v8, v12
	s_and_saveexec_b64 s[50:51], s[38:39]
	s_cbranch_execz .LBB97_21
.LBB97_33:                              ;   in Loop: Header=BB97_13 Depth=1
	v_add3_u32 v25, v6, s53, 32
	v_cndmask_b32_e32 v26, v25, v24, vcc
	v_ashrrev_i32_e32 v27, 31, v26
	v_lshlrev_b64 v[26:27], 3, v[26:27]
	v_mov_b32_e32 v25, s25
	v_add_co_u32_e64 v26, s[0:1], s24, v26
	v_addc_co_u32_e64 v27, s[0:1], v25, v27, s[0:1]
	global_load_dwordx2 v[26:27], v[26:27], off
	v_add_u32_e32 v28, v8, v1
	v_ashrrev_i32_e32 v29, 31, v28
	v_lshlrev_b64 v[30:31], 2, v[28:29]
	v_mov_b32_e32 v25, s27
	v_add_co_u32_e64 v30, s[0:1], s26, v30
	v_addc_co_u32_e64 v31, s[0:1], v25, v31, s[0:1]
	v_lshlrev_b64 v[28:29], 3, v[28:29]
	v_mov_b32_e32 v25, s23
	v_add_co_u32_e64 v28, s[0:1], s22, v28
	v_addc_co_u32_e64 v29, s[0:1], v25, v29, s[0:1]
	global_store_dword v[30:31], v16, off
	s_waitcnt vmcnt(1)
	global_store_dwordx2 v[28:29], v[26:27], off
	s_or_b64 exec, exec, s[50:51]
	s_and_saveexec_b64 s[50:51], s[40:41]
	s_cbranch_execz .LBB97_22
.LBB97_34:                              ;   in Loop: Header=BB97_13 Depth=1
	v_cndmask_b32_e32 v24, v21, v24, vcc
	v_add_u32_e32 v24, 32, v24
	v_ashrrev_i32_e32 v25, 31, v24
	v_lshlrev_b64 v[24:25], 3, v[24:25]
	v_mov_b32_e32 v26, s25
	v_add_co_u32_e64 v24, s[0:1], s24, v24
	v_addc_co_u32_e64 v25, s[0:1], v26, v25, s[0:1]
	global_load_dwordx2 v[24:25], v[24:25], off
	v_add3_u32 v26, v8, v1, 32
	v_ashrrev_i32_e32 v27, 31, v26
	v_lshlrev_b64 v[28:29], 2, v[26:27]
	v_mov_b32_e32 v30, s27
	v_add_co_u32_e64 v28, s[0:1], s26, v28
	v_addc_co_u32_e64 v29, s[0:1], v30, v29, s[0:1]
	v_lshlrev_b64 v[26:27], 3, v[26:27]
	global_store_dword v[28:29], v17, off
	v_mov_b32_e32 v28, s23
	v_add_co_u32_e64 v26, s[0:1], s22, v26
	v_addc_co_u32_e64 v27, s[0:1], v28, v27, s[0:1]
	s_waitcnt vmcnt(1)
	global_store_dwordx2 v[26:27], v[24:25], off
	s_or_b64 exec, exec, s[50:51]
	s_and_saveexec_b64 s[50:51], s[42:43]
	s_cbranch_execz .LBB97_23
.LBB97_35:                              ;   in Loop: Header=BB97_13 Depth=1
	v_add3_u32 v24, v8, v12, 64
	v_add3_u32 v25, v2, s53, 32
	v_cndmask_b32_e32 v24, v25, v24, vcc
	v_ashrrev_i32_e32 v25, 31, v24
	v_lshlrev_b64 v[24:25], 3, v[24:25]
	v_mov_b32_e32 v26, s25
	v_add_co_u32_e64 v24, s[0:1], s24, v24
	v_addc_co_u32_e64 v25, s[0:1], v26, v25, s[0:1]
	global_load_dwordx2 v[24:25], v[24:25], off
	v_add3_u32 v26, v8, v1, 64
	v_ashrrev_i32_e32 v27, 31, v26
	v_lshlrev_b64 v[28:29], 2, v[26:27]
	v_mov_b32_e32 v30, s27
	v_add_co_u32_e64 v28, s[0:1], s26, v28
	v_addc_co_u32_e64 v29, s[0:1], v30, v29, s[0:1]
	v_lshlrev_b64 v[26:27], 3, v[26:27]
	global_store_dword v[28:29], v18, off
	v_mov_b32_e32 v28, s23
	v_add_co_u32_e64 v26, s[0:1], s22, v26
	v_addc_co_u32_e64 v27, s[0:1], v28, v27, s[0:1]
	s_waitcnt vmcnt(1)
	global_store_dwordx2 v[26:27], v[24:25], off
	s_or_b64 exec, exec, s[50:51]
	s_and_saveexec_b64 s[50:51], s[2:3]
	s_cbranch_execz .LBB97_24
.LBB97_36:                              ;   in Loop: Header=BB97_13 Depth=1
	v_add3_u32 v24, v8, v12, s54
	v_add3_u32 v25, v0, s53, 32
	v_cndmask_b32_e32 v24, v25, v24, vcc
	v_ashrrev_i32_e32 v25, 31, v24
	v_lshlrev_b64 v[24:25], 3, v[24:25]
	v_mov_b32_e32 v26, s25
	v_add_co_u32_e64 v24, s[0:1], s24, v24
	v_addc_co_u32_e64 v25, s[0:1], v26, v25, s[0:1]
	global_load_dwordx2 v[24:25], v[24:25], off
	v_add3_u32 v26, v8, v1, s54
	v_ashrrev_i32_e32 v27, 31, v26
	v_lshlrev_b64 v[28:29], 2, v[26:27]
	v_mov_b32_e32 v30, s27
	v_add_co_u32_e64 v28, s[0:1], s26, v28
	v_addc_co_u32_e64 v29, s[0:1], v30, v29, s[0:1]
	v_lshlrev_b64 v[26:27], 3, v[26:27]
	global_store_dword v[28:29], v19, off
	v_mov_b32_e32 v28, s23
	v_add_co_u32_e64 v26, s[0:1], s22, v26
	v_addc_co_u32_e64 v27, s[0:1], v28, v27, s[0:1]
	s_waitcnt vmcnt(1)
	global_store_dwordx2 v[26:27], v[24:25], off
	s_or_b64 exec, exec, s[50:51]
	v_add_u32_e32 v24, v8, v13
	s_and_saveexec_b64 s[50:51], s[44:45]
	s_cbranch_execz .LBB97_25
.LBB97_37:                              ;   in Loop: Header=BB97_13 Depth=1
	v_add3_u32 v25, v6, s53, 64
	v_cndmask_b32_e32 v26, v25, v24, vcc
	v_ashrrev_i32_e32 v27, 31, v26
	v_lshlrev_b64 v[26:27], 3, v[26:27]
	v_mov_b32_e32 v25, s25
	v_add_co_u32_e64 v26, s[0:1], s24, v26
	v_addc_co_u32_e64 v27, s[0:1], v25, v27, s[0:1]
	global_load_dwordx2 v[26:27], v[26:27], off
	v_add_u32_e32 v28, v8, v3
	v_ashrrev_i32_e32 v29, 31, v28
	v_lshlrev_b64 v[30:31], 2, v[28:29]
	v_mov_b32_e32 v25, s27
	v_add_co_u32_e64 v30, s[0:1], s26, v30
	v_addc_co_u32_e64 v31, s[0:1], v25, v31, s[0:1]
	v_lshlrev_b64 v[28:29], 3, v[28:29]
	v_mov_b32_e32 v25, s23
	v_add_co_u32_e64 v28, s[0:1], s22, v28
	v_addc_co_u32_e64 v29, s[0:1], v25, v29, s[0:1]
	global_store_dword v[30:31], v16, off
	s_waitcnt vmcnt(1)
	global_store_dwordx2 v[28:29], v[26:27], off
	s_or_b64 exec, exec, s[50:51]
	s_and_saveexec_b64 s[50:51], s[46:47]
	s_cbranch_execz .LBB97_26
.LBB97_38:                              ;   in Loop: Header=BB97_13 Depth=1
	v_add3_u32 v25, v8, v13, 32
	v_add3_u32 v26, v4, s53, 64
	v_cndmask_b32_e32 v26, v26, v25, vcc
	v_ashrrev_i32_e32 v27, 31, v26
	v_lshlrev_b64 v[26:27], 3, v[26:27]
	v_mov_b32_e32 v25, s25
	v_add_co_u32_e64 v26, s[0:1], s24, v26
	v_addc_co_u32_e64 v27, s[0:1], v25, v27, s[0:1]
	global_load_dwordx2 v[26:27], v[26:27], off
	v_add3_u32 v28, v8, v3, 32
	v_ashrrev_i32_e32 v29, 31, v28
	v_lshlrev_b64 v[30:31], 2, v[28:29]
	v_mov_b32_e32 v25, s27
	v_add_co_u32_e64 v30, s[0:1], s26, v30
	v_addc_co_u32_e64 v31, s[0:1], v25, v31, s[0:1]
	v_lshlrev_b64 v[28:29], 3, v[28:29]
	v_mov_b32_e32 v25, s23
	v_add_co_u32_e64 v28, s[0:1], s22, v28
	v_addc_co_u32_e64 v29, s[0:1], v25, v29, s[0:1]
	global_store_dword v[30:31], v17, off
	s_waitcnt vmcnt(1)
	global_store_dwordx2 v[28:29], v[26:27], off
	s_or_b64 exec, exec, s[50:51]
	s_and_saveexec_b64 s[50:51], s[48:49]
	s_cbranch_execz .LBB97_27
.LBB97_39:                              ;   in Loop: Header=BB97_13 Depth=1
	v_cndmask_b32_e32 v24, v22, v24, vcc
	v_add_u32_e32 v24, 64, v24
	v_ashrrev_i32_e32 v25, 31, v24
	v_lshlrev_b64 v[24:25], 3, v[24:25]
	v_mov_b32_e32 v26, s25
	v_add_co_u32_e64 v24, s[0:1], s24, v24
	v_addc_co_u32_e64 v25, s[0:1], v26, v25, s[0:1]
	global_load_dwordx2 v[24:25], v[24:25], off
	v_add3_u32 v26, v8, v3, 64
	v_ashrrev_i32_e32 v27, 31, v26
	v_lshlrev_b64 v[28:29], 2, v[26:27]
	v_mov_b32_e32 v30, s27
	v_add_co_u32_e64 v28, s[0:1], s26, v28
	v_addc_co_u32_e64 v29, s[0:1], v30, v29, s[0:1]
	v_lshlrev_b64 v[26:27], 3, v[26:27]
	global_store_dword v[28:29], v18, off
	v_mov_b32_e32 v28, s23
	v_add_co_u32_e64 v26, s[0:1], s22, v26
	v_addc_co_u32_e64 v27, s[0:1], v28, v27, s[0:1]
	s_waitcnt vmcnt(1)
	global_store_dwordx2 v[26:27], v[24:25], off
	s_or_b64 exec, exec, s[50:51]
	s_and_saveexec_b64 s[50:51], s[6:7]
	s_cbranch_execz .LBB97_28
.LBB97_40:                              ;   in Loop: Header=BB97_13 Depth=1
	v_add3_u32 v24, v8, v13, s54
	v_add3_u32 v25, v0, s53, 64
	v_cndmask_b32_e32 v24, v25, v24, vcc
	v_ashrrev_i32_e32 v25, 31, v24
	v_lshlrev_b64 v[24:25], 3, v[24:25]
	v_mov_b32_e32 v26, s25
	v_add_co_u32_e64 v24, s[0:1], s24, v24
	v_addc_co_u32_e64 v25, s[0:1], v26, v25, s[0:1]
	global_load_dwordx2 v[24:25], v[24:25], off
	v_add3_u32 v26, v8, v3, s54
	v_ashrrev_i32_e32 v27, 31, v26
	v_lshlrev_b64 v[28:29], 2, v[26:27]
	v_mov_b32_e32 v30, s27
	v_add_co_u32_e64 v28, s[0:1], s26, v28
	v_addc_co_u32_e64 v29, s[0:1], v30, v29, s[0:1]
	v_lshlrev_b64 v[26:27], 3, v[26:27]
	global_store_dword v[28:29], v19, off
	v_mov_b32_e32 v28, s23
	v_add_co_u32_e64 v26, s[0:1], s22, v26
	v_addc_co_u32_e64 v27, s[0:1], v28, v27, s[0:1]
	s_waitcnt vmcnt(1)
	global_store_dwordx2 v[26:27], v[24:25], off
	s_or_b64 exec, exec, s[50:51]
	v_add_u32_e32 v24, v8, v14
	s_and_saveexec_b64 s[50:51], s[4:5]
	s_cbranch_execz .LBB97_29
.LBB97_41:                              ;   in Loop: Header=BB97_13 Depth=1
	v_add_u32_e32 v20, 0x60, v20
	v_cndmask_b32_e32 v26, v20, v24, vcc
	v_ashrrev_i32_e32 v27, 31, v26
	v_lshlrev_b64 v[26:27], 3, v[26:27]
	v_mov_b32_e32 v20, s25
	v_add_co_u32_e64 v26, s[0:1], s24, v26
	v_addc_co_u32_e64 v27, s[0:1], v20, v27, s[0:1]
	global_load_dwordx2 v[26:27], v[26:27], off
	v_add_u32_e32 v28, v8, v5
	v_ashrrev_i32_e32 v29, 31, v28
	v_lshlrev_b64 v[30:31], 2, v[28:29]
	v_mov_b32_e32 v20, s27
	v_add_co_u32_e64 v30, s[0:1], s26, v30
	v_addc_co_u32_e64 v31, s[0:1], v20, v31, s[0:1]
	v_lshlrev_b64 v[28:29], 3, v[28:29]
	global_store_dword v[30:31], v16, off
	v_mov_b32_e32 v16, s23
	v_add_co_u32_e64 v28, s[0:1], s22, v28
	v_addc_co_u32_e64 v29, s[0:1], v16, v29, s[0:1]
	s_waitcnt vmcnt(1)
	global_store_dwordx2 v[28:29], v[26:27], off
	s_or_b64 exec, exec, s[50:51]
	s_and_saveexec_b64 s[50:51], s[10:11]
	s_cbranch_execz .LBB97_30
.LBB97_42:                              ;   in Loop: Header=BB97_13 Depth=1
	v_add3_u32 v16, v8, v14, 32
	v_add_u32_e32 v20, 0x60, v21
	v_cndmask_b32_e32 v20, v20, v16, vcc
	v_ashrrev_i32_e32 v21, 31, v20
	v_lshlrev_b64 v[20:21], 3, v[20:21]
	v_mov_b32_e32 v16, s25
	v_add_co_u32_e64 v20, s[0:1], s24, v20
	v_addc_co_u32_e64 v21, s[0:1], v16, v21, s[0:1]
	global_load_dwordx2 v[20:21], v[20:21], off
	v_add3_u32 v26, v8, v5, 32
	v_ashrrev_i32_e32 v27, 31, v26
	v_lshlrev_b64 v[28:29], 2, v[26:27]
	v_mov_b32_e32 v16, s27
	v_add_co_u32_e64 v28, s[0:1], s26, v28
	v_addc_co_u32_e64 v29, s[0:1], v16, v29, s[0:1]
	global_store_dword v[28:29], v17, off
	v_lshlrev_b64 v[16:17], 3, v[26:27]
	v_mov_b32_e32 v25, s23
	v_add_co_u32_e64 v16, s[0:1], s22, v16
	v_addc_co_u32_e64 v17, s[0:1], v25, v17, s[0:1]
	s_waitcnt vmcnt(1)
	global_store_dwordx2 v[16:17], v[20:21], off
	s_or_b64 exec, exec, s[50:51]
	s_and_saveexec_b64 s[50:51], s[12:13]
	s_cbranch_execz .LBB97_31
.LBB97_43:                              ;   in Loop: Header=BB97_13 Depth=1
	v_add3_u32 v16, v8, v14, 64
	v_add_u32_e32 v17, 0x60, v22
	v_cndmask_b32_e32 v16, v17, v16, vcc
	v_ashrrev_i32_e32 v17, 31, v16
	v_lshlrev_b64 v[16:17], 3, v[16:17]
	v_mov_b32_e32 v20, s25
	v_add_co_u32_e64 v16, s[0:1], s24, v16
	v_addc_co_u32_e64 v17, s[0:1], v20, v17, s[0:1]
	global_load_dwordx2 v[16:17], v[16:17], off
	v_add3_u32 v20, v8, v5, 64
	v_ashrrev_i32_e32 v21, 31, v20
	v_lshlrev_b64 v[26:27], 2, v[20:21]
	v_mov_b32_e32 v22, s27
	v_add_co_u32_e64 v26, s[0:1], s26, v26
	v_addc_co_u32_e64 v27, s[0:1], v22, v27, s[0:1]
	v_lshlrev_b64 v[20:21], 3, v[20:21]
	global_store_dword v[26:27], v18, off
	v_mov_b32_e32 v18, s23
	v_add_co_u32_e64 v20, s[0:1], s22, v20
	v_addc_co_u32_e64 v21, s[0:1], v18, v21, s[0:1]
	s_waitcnt vmcnt(1)
	global_store_dwordx2 v[20:21], v[16:17], off
	s_or_b64 exec, exec, s[50:51]
	s_and_saveexec_b64 s[50:51], s[8:9]
	s_cbranch_execz .LBB97_12
.LBB97_44:                              ;   in Loop: Header=BB97_13 Depth=1
	v_cndmask_b32_e32 v16, v23, v24, vcc
	v_add_u32_e32 v16, 0x60, v16
	v_ashrrev_i32_e32 v17, 31, v16
	v_lshlrev_b64 v[16:17], 3, v[16:17]
	v_mov_b32_e32 v18, s25
	v_add_co_u32_e64 v16, s[0:1], s24, v16
	v_addc_co_u32_e64 v17, s[0:1], v18, v17, s[0:1]
	global_load_dwordx2 v[16:17], v[16:17], off
	v_add3_u32 v20, v8, v5, s54
	v_ashrrev_i32_e32 v21, 31, v20
	v_lshlrev_b64 v[22:23], 2, v[20:21]
	v_mov_b32_e32 v18, s27
	v_add_co_u32_e64 v22, s[0:1], s26, v22
	v_addc_co_u32_e64 v23, s[0:1], v18, v23, s[0:1]
	global_store_dword v[22:23], v19, off
	v_lshlrev_b64 v[18:19], 3, v[20:21]
	v_mov_b32_e32 v20, s23
	v_add_co_u32_e64 v18, s[0:1], s22, v18
	v_addc_co_u32_e64 v19, s[0:1], v20, v19, s[0:1]
	s_waitcnt vmcnt(1)
	global_store_dwordx2 v[18:19], v[16:17], off
	s_branch .LBB97_12
.LBB97_45:
	s_endpgm
	.section	.rodata,"a",@progbits
	.p2align	6, 0x0
	.amdhsa_kernel _ZN9rocsparseL37gebsr2csr_block_per_row_33_128_kernelILi1024ELi128ELi128ELi32ELi32EdEEv20rocsparse_direction_ii21rocsparse_index_base_PKT4_PKiS7_iiS2_PS3_PiS9_
		.amdhsa_group_segment_fixed_size 0
		.amdhsa_private_segment_fixed_size 0
		.amdhsa_kernarg_size 80
		.amdhsa_user_sgpr_count 6
		.amdhsa_user_sgpr_private_segment_buffer 1
		.amdhsa_user_sgpr_dispatch_ptr 0
		.amdhsa_user_sgpr_queue_ptr 0
		.amdhsa_user_sgpr_kernarg_segment_ptr 1
		.amdhsa_user_sgpr_dispatch_id 0
		.amdhsa_user_sgpr_flat_scratch_init 0
		.amdhsa_user_sgpr_kernarg_preload_length 0
		.amdhsa_user_sgpr_kernarg_preload_offset 0
		.amdhsa_user_sgpr_private_segment_size 0
		.amdhsa_uses_dynamic_stack 0
		.amdhsa_system_sgpr_private_segment_wavefront_offset 0
		.amdhsa_system_sgpr_workgroup_id_x 1
		.amdhsa_system_sgpr_workgroup_id_y 0
		.amdhsa_system_sgpr_workgroup_id_z 0
		.amdhsa_system_sgpr_workgroup_info 0
		.amdhsa_system_vgpr_workitem_id 0
		.amdhsa_next_free_vgpr 32
		.amdhsa_next_free_sgpr 58
		.amdhsa_accum_offset 32
		.amdhsa_reserve_vcc 1
		.amdhsa_reserve_flat_scratch 0
		.amdhsa_float_round_mode_32 0
		.amdhsa_float_round_mode_16_64 0
		.amdhsa_float_denorm_mode_32 3
		.amdhsa_float_denorm_mode_16_64 3
		.amdhsa_dx10_clamp 1
		.amdhsa_ieee_mode 1
		.amdhsa_fp16_overflow 0
		.amdhsa_tg_split 0
		.amdhsa_exception_fp_ieee_invalid_op 0
		.amdhsa_exception_fp_denorm_src 0
		.amdhsa_exception_fp_ieee_div_zero 0
		.amdhsa_exception_fp_ieee_overflow 0
		.amdhsa_exception_fp_ieee_underflow 0
		.amdhsa_exception_fp_ieee_inexact 0
		.amdhsa_exception_int_div_zero 0
	.end_amdhsa_kernel
	.section	.text._ZN9rocsparseL37gebsr2csr_block_per_row_33_128_kernelILi1024ELi128ELi128ELi32ELi32EdEEv20rocsparse_direction_ii21rocsparse_index_base_PKT4_PKiS7_iiS2_PS3_PiS9_,"axG",@progbits,_ZN9rocsparseL37gebsr2csr_block_per_row_33_128_kernelILi1024ELi128ELi128ELi32ELi32EdEEv20rocsparse_direction_ii21rocsparse_index_base_PKT4_PKiS7_iiS2_PS3_PiS9_,comdat
.Lfunc_end97:
	.size	_ZN9rocsparseL37gebsr2csr_block_per_row_33_128_kernelILi1024ELi128ELi128ELi32ELi32EdEEv20rocsparse_direction_ii21rocsparse_index_base_PKT4_PKiS7_iiS2_PS3_PiS9_, .Lfunc_end97-_ZN9rocsparseL37gebsr2csr_block_per_row_33_128_kernelILi1024ELi128ELi128ELi32ELi32EdEEv20rocsparse_direction_ii21rocsparse_index_base_PKT4_PKiS7_iiS2_PS3_PiS9_
                                        ; -- End function
	.section	.AMDGPU.csdata,"",@progbits
; Kernel info:
; codeLenInByte = 3620
; NumSgprs: 62
; NumVgprs: 32
; NumAgprs: 0
; TotalNumVgprs: 32
; ScratchSize: 0
; MemoryBound: 0
; FloatMode: 240
; IeeeMode: 1
; LDSByteSize: 0 bytes/workgroup (compile time only)
; SGPRBlocks: 7
; VGPRBlocks: 3
; NumSGPRsForWavesPerEU: 62
; NumVGPRsForWavesPerEU: 32
; AccumOffset: 32
; Occupancy: 8
; WaveLimiterHint : 1
; COMPUTE_PGM_RSRC2:SCRATCH_EN: 0
; COMPUTE_PGM_RSRC2:USER_SGPR: 6
; COMPUTE_PGM_RSRC2:TRAP_HANDLER: 0
; COMPUTE_PGM_RSRC2:TGID_X_EN: 1
; COMPUTE_PGM_RSRC2:TGID_Y_EN: 0
; COMPUTE_PGM_RSRC2:TGID_Z_EN: 0
; COMPUTE_PGM_RSRC2:TIDIG_COMP_CNT: 0
; COMPUTE_PGM_RSRC3_GFX90A:ACCUM_OFFSET: 7
; COMPUTE_PGM_RSRC3_GFX90A:TG_SPLIT: 0
	.section	.text._ZN9rocsparseL35gebsr2csr_block_per_row_1_32_kernelILi256ELi2ELi2E21rocsparse_complex_numIfEEEv20rocsparse_direction_ii21rocsparse_index_base_PKT2_PKiS9_iiS4_PS5_PiSB_,"axG",@progbits,_ZN9rocsparseL35gebsr2csr_block_per_row_1_32_kernelILi256ELi2ELi2E21rocsparse_complex_numIfEEEv20rocsparse_direction_ii21rocsparse_index_base_PKT2_PKiS9_iiS4_PS5_PiSB_,comdat
	.globl	_ZN9rocsparseL35gebsr2csr_block_per_row_1_32_kernelILi256ELi2ELi2E21rocsparse_complex_numIfEEEv20rocsparse_direction_ii21rocsparse_index_base_PKT2_PKiS9_iiS4_PS5_PiSB_ ; -- Begin function _ZN9rocsparseL35gebsr2csr_block_per_row_1_32_kernelILi256ELi2ELi2E21rocsparse_complex_numIfEEEv20rocsparse_direction_ii21rocsparse_index_base_PKT2_PKiS9_iiS4_PS5_PiSB_
	.p2align	8
	.type	_ZN9rocsparseL35gebsr2csr_block_per_row_1_32_kernelILi256ELi2ELi2E21rocsparse_complex_numIfEEEv20rocsparse_direction_ii21rocsparse_index_base_PKT2_PKiS9_iiS4_PS5_PiSB_,@function
_ZN9rocsparseL35gebsr2csr_block_per_row_1_32_kernelILi256ELi2ELi2E21rocsparse_complex_numIfEEEv20rocsparse_direction_ii21rocsparse_index_base_PKT2_PKiS9_iiS4_PS5_PiSB_: ; @_ZN9rocsparseL35gebsr2csr_block_per_row_1_32_kernelILi256ELi2ELi2E21rocsparse_complex_numIfEEEv20rocsparse_direction_ii21rocsparse_index_base_PKT2_PKiS9_iiS4_PS5_PiSB_
; %bb.0:
	s_load_dwordx2 s[0:1], s[4:5], 0x18
	s_load_dwordx4 s[8:11], s[4:5], 0x28
	s_load_dwordx2 s[2:3], s[4:5], 0x40
	s_ashr_i32 s7, s6, 31
	s_lshl_b64 s[12:13], s[6:7], 2
	s_waitcnt lgkmcnt(0)
	s_add_u32 s12, s0, s12
	v_or_b32_e32 v1, s6, v0
	s_addc_u32 s13, s1, s13
	v_cmp_eq_u32_e32 vcc, 0, v1
	s_and_saveexec_b64 s[0:1], vcc
	s_cbranch_execz .LBB98_2
; %bb.1:
	v_mov_b32_e32 v1, 0
	v_mov_b32_e32 v2, s10
	global_store_dword v1, v2, s[2:3]
.LBB98_2:
	s_or_b64 exec, exec, s[0:1]
	v_and_b32_e32 v6, 1, v0
	v_bfe_u32 v8, v0, 1, 1
	v_cmp_gt_i32_e32 vcc, s8, v8
	v_cmp_gt_i32_e64 s[0:1], s9, v6
	s_and_b64 s[0:1], vcc, s[0:1]
	s_and_saveexec_b64 s[14:15], s[0:1]
	s_cbranch_execz .LBB98_6
; %bb.3:
	s_load_dwordx2 s[14:15], s[12:13], 0x0
	s_load_dword s11, s[4:5], 0xc
	s_mul_i32 s6, s6, s8
	v_add_u32_e32 v2, s6, v8
	s_mul_i32 s1, s9, s8
	v_ashrrev_i32_e32 v3, 31, v2
	s_waitcnt lgkmcnt(0)
	s_sub_i32 s0, s14, s11
	s_sub_i32 s14, s15, s11
	;; [unrolled: 1-line block ×3, first 2 shown]
	s_mul_i32 s12, s15, s9
	v_lshrrev_b32_e32 v1, 2, v0
	s_mul_i32 s7, s0, s1
	v_mul_lo_u32 v0, s12, v8
	s_add_i32 s12, s12, s10
	v_lshlrev_b64 v[2:3], 2, v[2:3]
	s_add_i32 s12, s12, s7
	v_mov_b32_e32 v4, s3
	v_add_co_u32_e32 v2, vcc, s2, v2
	v_add_u32_e32 v0, s12, v0
	v_addc_co_u32_e32 v3, vcc, v4, v3, vcc
	global_store_dword v[2:3], v0, off offset:4
	v_add_u32_e32 v0, s0, v1
	v_cmp_gt_i32_e32 vcc, s14, v0
	s_and_b64 exec, exec, vcc
	s_cbranch_execz .LBB98_6
; %bb.4:
	s_load_dwordx2 s[16:17], s[4:5], 0x20
	s_load_dwordx2 s[2:3], s[4:5], 0x38
	s_load_dword s18, s[4:5], 0x0
	s_load_dwordx2 s[6:7], s[4:5], 0x10
	s_load_dwordx2 s[12:13], s[4:5], 0x48
	v_mad_u64_u32 v[4:5], s[4:5], v6, s8, v[8:9]
	s_waitcnt lgkmcnt(0)
	s_cmp_eq_u32 s18, 0
	v_mad_u64_u32 v[10:11], s[4:5], v8, s9, v[6:7]
	s_cselect_b64 vcc, -1, 0
	s_mul_i32 s0, s8, s0
	v_mul_lo_u32 v3, s15, v8
	v_cndmask_b32_e32 v4, v4, v10, vcc
	v_add3_u32 v1, v1, s0, v3
	v_add_u32_e32 v2, s10, v6
	v_mad_u64_u32 v[4:5], s[4:5], s1, v0, v[4:5]
	s_lshl_b32 s10, s1, 6
	v_mad_u64_u32 v[6:7], s[0:1], s9, v1, v[6:7]
	v_ashrrev_i32_e32 v1, 31, v0
	v_lshlrev_b64 v[8:9], 2, v[0:1]
	v_mov_b32_e32 v1, s17
	v_add_co_u32_e32 v8, vcc, s16, v8
	s_lshl_b32 s8, s9, 6
	v_addc_co_u32_e32 v9, vcc, v1, v9, vcc
	s_mov_b64 s[4:5], 0
	v_mov_b32_e32 v1, s13
	v_mov_b32_e32 v3, s7
	;; [unrolled: 1-line block ×3, first 2 shown]
.LBB98_5:                               ; =>This Inner Loop Header: Depth=1
	v_ashrrev_i32_e32 v5, 31, v4
	global_load_dword v11, v[8:9], off
	v_lshlrev_b64 v[12:13], 3, v[4:5]
	v_add_co_u32_e32 v12, vcc, s6, v12
	v_addc_co_u32_e32 v13, vcc, v3, v13, vcc
	global_load_dwordx2 v[12:13], v[12:13], off
	v_ashrrev_i32_e32 v7, 31, v6
	v_lshlrev_b64 v[14:15], 2, v[6:7]
	v_add_co_u32_e32 v8, vcc, 0x100, v8
	v_add_co_u32_e64 v14, s[0:1], s12, v14
	v_add_u32_e32 v0, 64, v0
	v_lshlrev_b64 v[16:17], 3, v[6:7]
	v_addc_co_u32_e32 v9, vcc, 0, v9, vcc
	v_addc_co_u32_e64 v15, s[0:1], v1, v15, s[0:1]
	v_cmp_le_i32_e32 vcc, s14, v0
	v_add_co_u32_e64 v16, s[0:1], s2, v16
	v_add_u32_e32 v4, s10, v4
	v_add_u32_e32 v6, s8, v6
	v_addc_co_u32_e64 v17, s[0:1], v10, v17, s[0:1]
	s_or_b64 s[4:5], vcc, s[4:5]
	s_waitcnt vmcnt(1)
	v_subrev_u32_e32 v5, s11, v11
	v_mad_u64_u32 v[18:19], s[0:1], v5, s9, v[2:3]
	global_store_dword v[14:15], v18, off
	s_waitcnt vmcnt(1)
	global_store_dwordx2 v[16:17], v[12:13], off
	s_andn2_b64 exec, exec, s[4:5]
	s_cbranch_execnz .LBB98_5
.LBB98_6:
	s_endpgm
	.section	.rodata,"a",@progbits
	.p2align	6, 0x0
	.amdhsa_kernel _ZN9rocsparseL35gebsr2csr_block_per_row_1_32_kernelILi256ELi2ELi2E21rocsparse_complex_numIfEEEv20rocsparse_direction_ii21rocsparse_index_base_PKT2_PKiS9_iiS4_PS5_PiSB_
		.amdhsa_group_segment_fixed_size 0
		.amdhsa_private_segment_fixed_size 0
		.amdhsa_kernarg_size 80
		.amdhsa_user_sgpr_count 6
		.amdhsa_user_sgpr_private_segment_buffer 1
		.amdhsa_user_sgpr_dispatch_ptr 0
		.amdhsa_user_sgpr_queue_ptr 0
		.amdhsa_user_sgpr_kernarg_segment_ptr 1
		.amdhsa_user_sgpr_dispatch_id 0
		.amdhsa_user_sgpr_flat_scratch_init 0
		.amdhsa_user_sgpr_kernarg_preload_length 0
		.amdhsa_user_sgpr_kernarg_preload_offset 0
		.amdhsa_user_sgpr_private_segment_size 0
		.amdhsa_uses_dynamic_stack 0
		.amdhsa_system_sgpr_private_segment_wavefront_offset 0
		.amdhsa_system_sgpr_workgroup_id_x 1
		.amdhsa_system_sgpr_workgroup_id_y 0
		.amdhsa_system_sgpr_workgroup_id_z 0
		.amdhsa_system_sgpr_workgroup_info 0
		.amdhsa_system_vgpr_workitem_id 0
		.amdhsa_next_free_vgpr 20
		.amdhsa_next_free_sgpr 19
		.amdhsa_accum_offset 20
		.amdhsa_reserve_vcc 1
		.amdhsa_reserve_flat_scratch 0
		.amdhsa_float_round_mode_32 0
		.amdhsa_float_round_mode_16_64 0
		.amdhsa_float_denorm_mode_32 3
		.amdhsa_float_denorm_mode_16_64 3
		.amdhsa_dx10_clamp 1
		.amdhsa_ieee_mode 1
		.amdhsa_fp16_overflow 0
		.amdhsa_tg_split 0
		.amdhsa_exception_fp_ieee_invalid_op 0
		.amdhsa_exception_fp_denorm_src 0
		.amdhsa_exception_fp_ieee_div_zero 0
		.amdhsa_exception_fp_ieee_overflow 0
		.amdhsa_exception_fp_ieee_underflow 0
		.amdhsa_exception_fp_ieee_inexact 0
		.amdhsa_exception_int_div_zero 0
	.end_amdhsa_kernel
	.section	.text._ZN9rocsparseL35gebsr2csr_block_per_row_1_32_kernelILi256ELi2ELi2E21rocsparse_complex_numIfEEEv20rocsparse_direction_ii21rocsparse_index_base_PKT2_PKiS9_iiS4_PS5_PiSB_,"axG",@progbits,_ZN9rocsparseL35gebsr2csr_block_per_row_1_32_kernelILi256ELi2ELi2E21rocsparse_complex_numIfEEEv20rocsparse_direction_ii21rocsparse_index_base_PKT2_PKiS9_iiS4_PS5_PiSB_,comdat
.Lfunc_end98:
	.size	_ZN9rocsparseL35gebsr2csr_block_per_row_1_32_kernelILi256ELi2ELi2E21rocsparse_complex_numIfEEEv20rocsparse_direction_ii21rocsparse_index_base_PKT2_PKiS9_iiS4_PS5_PiSB_, .Lfunc_end98-_ZN9rocsparseL35gebsr2csr_block_per_row_1_32_kernelILi256ELi2ELi2E21rocsparse_complex_numIfEEEv20rocsparse_direction_ii21rocsparse_index_base_PKT2_PKiS9_iiS4_PS5_PiSB_
                                        ; -- End function
	.section	.AMDGPU.csdata,"",@progbits
; Kernel info:
; codeLenInByte = 568
; NumSgprs: 23
; NumVgprs: 20
; NumAgprs: 0
; TotalNumVgprs: 20
; ScratchSize: 0
; MemoryBound: 0
; FloatMode: 240
; IeeeMode: 1
; LDSByteSize: 0 bytes/workgroup (compile time only)
; SGPRBlocks: 2
; VGPRBlocks: 2
; NumSGPRsForWavesPerEU: 23
; NumVGPRsForWavesPerEU: 20
; AccumOffset: 20
; Occupancy: 8
; WaveLimiterHint : 0
; COMPUTE_PGM_RSRC2:SCRATCH_EN: 0
; COMPUTE_PGM_RSRC2:USER_SGPR: 6
; COMPUTE_PGM_RSRC2:TRAP_HANDLER: 0
; COMPUTE_PGM_RSRC2:TGID_X_EN: 1
; COMPUTE_PGM_RSRC2:TGID_Y_EN: 0
; COMPUTE_PGM_RSRC2:TGID_Z_EN: 0
; COMPUTE_PGM_RSRC2:TIDIG_COMP_CNT: 0
; COMPUTE_PGM_RSRC3_GFX90A:ACCUM_OFFSET: 4
; COMPUTE_PGM_RSRC3_GFX90A:TG_SPLIT: 0
	.section	.text._ZN9rocsparseL35gebsr2csr_block_per_row_1_32_kernelILi256ELi2ELi4E21rocsparse_complex_numIfEEEv20rocsparse_direction_ii21rocsparse_index_base_PKT2_PKiS9_iiS4_PS5_PiSB_,"axG",@progbits,_ZN9rocsparseL35gebsr2csr_block_per_row_1_32_kernelILi256ELi2ELi4E21rocsparse_complex_numIfEEEv20rocsparse_direction_ii21rocsparse_index_base_PKT2_PKiS9_iiS4_PS5_PiSB_,comdat
	.globl	_ZN9rocsparseL35gebsr2csr_block_per_row_1_32_kernelILi256ELi2ELi4E21rocsparse_complex_numIfEEEv20rocsparse_direction_ii21rocsparse_index_base_PKT2_PKiS9_iiS4_PS5_PiSB_ ; -- Begin function _ZN9rocsparseL35gebsr2csr_block_per_row_1_32_kernelILi256ELi2ELi4E21rocsparse_complex_numIfEEEv20rocsparse_direction_ii21rocsparse_index_base_PKT2_PKiS9_iiS4_PS5_PiSB_
	.p2align	8
	.type	_ZN9rocsparseL35gebsr2csr_block_per_row_1_32_kernelILi256ELi2ELi4E21rocsparse_complex_numIfEEEv20rocsparse_direction_ii21rocsparse_index_base_PKT2_PKiS9_iiS4_PS5_PiSB_,@function
_ZN9rocsparseL35gebsr2csr_block_per_row_1_32_kernelILi256ELi2ELi4E21rocsparse_complex_numIfEEEv20rocsparse_direction_ii21rocsparse_index_base_PKT2_PKiS9_iiS4_PS5_PiSB_: ; @_ZN9rocsparseL35gebsr2csr_block_per_row_1_32_kernelILi256ELi2ELi4E21rocsparse_complex_numIfEEEv20rocsparse_direction_ii21rocsparse_index_base_PKT2_PKiS9_iiS4_PS5_PiSB_
; %bb.0:
	s_load_dwordx2 s[0:1], s[4:5], 0x18
	s_load_dwordx4 s[8:11], s[4:5], 0x28
	s_load_dwordx2 s[2:3], s[4:5], 0x40
	s_ashr_i32 s7, s6, 31
	s_lshl_b64 s[12:13], s[6:7], 2
	s_waitcnt lgkmcnt(0)
	s_add_u32 s12, s0, s12
	v_or_b32_e32 v1, s6, v0
	s_addc_u32 s13, s1, s13
	v_cmp_eq_u32_e32 vcc, 0, v1
	s_and_saveexec_b64 s[0:1], vcc
	s_cbranch_execz .LBB99_2
; %bb.1:
	v_mov_b32_e32 v1, 0
	v_mov_b32_e32 v2, s10
	global_store_dword v1, v2, s[2:3]
.LBB99_2:
	s_or_b64 exec, exec, s[0:1]
	v_and_b32_e32 v6, 3, v0
	v_bfe_u32 v8, v0, 2, 1
	v_cmp_gt_i32_e32 vcc, s8, v8
	v_cmp_gt_i32_e64 s[0:1], s9, v6
	s_and_b64 s[0:1], vcc, s[0:1]
	s_and_saveexec_b64 s[14:15], s[0:1]
	s_cbranch_execz .LBB99_6
; %bb.3:
	s_load_dwordx2 s[14:15], s[12:13], 0x0
	s_load_dword s11, s[4:5], 0xc
	s_mul_i32 s6, s6, s8
	v_add_u32_e32 v2, s6, v8
	s_mul_i32 s1, s9, s8
	v_ashrrev_i32_e32 v3, 31, v2
	s_waitcnt lgkmcnt(0)
	s_sub_i32 s0, s14, s11
	s_sub_i32 s14, s15, s11
	s_sub_i32 s15, s14, s0
	s_mul_i32 s12, s15, s9
	v_lshrrev_b32_e32 v1, 3, v0
	s_mul_i32 s7, s0, s1
	v_mul_lo_u32 v0, s12, v8
	s_add_i32 s12, s12, s10
	v_lshlrev_b64 v[2:3], 2, v[2:3]
	s_add_i32 s12, s12, s7
	v_mov_b32_e32 v4, s3
	v_add_co_u32_e32 v2, vcc, s2, v2
	v_add_u32_e32 v0, s12, v0
	v_addc_co_u32_e32 v3, vcc, v4, v3, vcc
	global_store_dword v[2:3], v0, off offset:4
	v_add_u32_e32 v0, s0, v1
	v_cmp_gt_i32_e32 vcc, s14, v0
	s_and_b64 exec, exec, vcc
	s_cbranch_execz .LBB99_6
; %bb.4:
	s_load_dwordx2 s[16:17], s[4:5], 0x20
	s_load_dwordx2 s[2:3], s[4:5], 0x38
	s_load_dword s18, s[4:5], 0x0
	s_load_dwordx2 s[6:7], s[4:5], 0x10
	s_load_dwordx2 s[12:13], s[4:5], 0x48
	v_mad_u64_u32 v[4:5], s[4:5], v6, s8, v[8:9]
	s_waitcnt lgkmcnt(0)
	s_cmp_eq_u32 s18, 0
	v_mad_u64_u32 v[10:11], s[4:5], v8, s9, v[6:7]
	s_cselect_b64 vcc, -1, 0
	s_mul_i32 s0, s8, s0
	v_mul_lo_u32 v3, s15, v8
	v_cndmask_b32_e32 v4, v4, v10, vcc
	v_add3_u32 v1, v1, s0, v3
	v_add_u32_e32 v2, s10, v6
	v_mad_u64_u32 v[4:5], s[4:5], s1, v0, v[4:5]
	s_lshl_b32 s10, s1, 5
	v_mad_u64_u32 v[6:7], s[0:1], s9, v1, v[6:7]
	v_ashrrev_i32_e32 v1, 31, v0
	v_lshlrev_b64 v[8:9], 2, v[0:1]
	v_mov_b32_e32 v1, s17
	v_add_co_u32_e32 v8, vcc, s16, v8
	s_lshl_b32 s8, s9, 5
	v_addc_co_u32_e32 v9, vcc, v1, v9, vcc
	s_mov_b64 s[4:5], 0
	v_mov_b32_e32 v1, s13
	v_mov_b32_e32 v3, s7
	;; [unrolled: 1-line block ×3, first 2 shown]
.LBB99_5:                               ; =>This Inner Loop Header: Depth=1
	v_ashrrev_i32_e32 v5, 31, v4
	global_load_dword v11, v[8:9], off
	v_lshlrev_b64 v[12:13], 3, v[4:5]
	v_add_co_u32_e32 v12, vcc, s6, v12
	v_addc_co_u32_e32 v13, vcc, v3, v13, vcc
	global_load_dwordx2 v[12:13], v[12:13], off
	v_ashrrev_i32_e32 v7, 31, v6
	v_lshlrev_b64 v[14:15], 2, v[6:7]
	v_add_co_u32_e32 v8, vcc, 0x80, v8
	v_add_co_u32_e64 v14, s[0:1], s12, v14
	v_add_u32_e32 v0, 32, v0
	v_lshlrev_b64 v[16:17], 3, v[6:7]
	v_addc_co_u32_e32 v9, vcc, 0, v9, vcc
	v_addc_co_u32_e64 v15, s[0:1], v1, v15, s[0:1]
	v_cmp_le_i32_e32 vcc, s14, v0
	v_add_co_u32_e64 v16, s[0:1], s2, v16
	v_add_u32_e32 v4, s10, v4
	v_add_u32_e32 v6, s8, v6
	v_addc_co_u32_e64 v17, s[0:1], v10, v17, s[0:1]
	s_or_b64 s[4:5], vcc, s[4:5]
	s_waitcnt vmcnt(1)
	v_subrev_u32_e32 v5, s11, v11
	v_mad_u64_u32 v[18:19], s[0:1], v5, s9, v[2:3]
	global_store_dword v[14:15], v18, off
	s_waitcnt vmcnt(1)
	global_store_dwordx2 v[16:17], v[12:13], off
	s_andn2_b64 exec, exec, s[4:5]
	s_cbranch_execnz .LBB99_5
.LBB99_6:
	s_endpgm
	.section	.rodata,"a",@progbits
	.p2align	6, 0x0
	.amdhsa_kernel _ZN9rocsparseL35gebsr2csr_block_per_row_1_32_kernelILi256ELi2ELi4E21rocsparse_complex_numIfEEEv20rocsparse_direction_ii21rocsparse_index_base_PKT2_PKiS9_iiS4_PS5_PiSB_
		.amdhsa_group_segment_fixed_size 0
		.amdhsa_private_segment_fixed_size 0
		.amdhsa_kernarg_size 80
		.amdhsa_user_sgpr_count 6
		.amdhsa_user_sgpr_private_segment_buffer 1
		.amdhsa_user_sgpr_dispatch_ptr 0
		.amdhsa_user_sgpr_queue_ptr 0
		.amdhsa_user_sgpr_kernarg_segment_ptr 1
		.amdhsa_user_sgpr_dispatch_id 0
		.amdhsa_user_sgpr_flat_scratch_init 0
		.amdhsa_user_sgpr_kernarg_preload_length 0
		.amdhsa_user_sgpr_kernarg_preload_offset 0
		.amdhsa_user_sgpr_private_segment_size 0
		.amdhsa_uses_dynamic_stack 0
		.amdhsa_system_sgpr_private_segment_wavefront_offset 0
		.amdhsa_system_sgpr_workgroup_id_x 1
		.amdhsa_system_sgpr_workgroup_id_y 0
		.amdhsa_system_sgpr_workgroup_id_z 0
		.amdhsa_system_sgpr_workgroup_info 0
		.amdhsa_system_vgpr_workitem_id 0
		.amdhsa_next_free_vgpr 20
		.amdhsa_next_free_sgpr 19
		.amdhsa_accum_offset 20
		.amdhsa_reserve_vcc 1
		.amdhsa_reserve_flat_scratch 0
		.amdhsa_float_round_mode_32 0
		.amdhsa_float_round_mode_16_64 0
		.amdhsa_float_denorm_mode_32 3
		.amdhsa_float_denorm_mode_16_64 3
		.amdhsa_dx10_clamp 1
		.amdhsa_ieee_mode 1
		.amdhsa_fp16_overflow 0
		.amdhsa_tg_split 0
		.amdhsa_exception_fp_ieee_invalid_op 0
		.amdhsa_exception_fp_denorm_src 0
		.amdhsa_exception_fp_ieee_div_zero 0
		.amdhsa_exception_fp_ieee_overflow 0
		.amdhsa_exception_fp_ieee_underflow 0
		.amdhsa_exception_fp_ieee_inexact 0
		.amdhsa_exception_int_div_zero 0
	.end_amdhsa_kernel
	.section	.text._ZN9rocsparseL35gebsr2csr_block_per_row_1_32_kernelILi256ELi2ELi4E21rocsparse_complex_numIfEEEv20rocsparse_direction_ii21rocsparse_index_base_PKT2_PKiS9_iiS4_PS5_PiSB_,"axG",@progbits,_ZN9rocsparseL35gebsr2csr_block_per_row_1_32_kernelILi256ELi2ELi4E21rocsparse_complex_numIfEEEv20rocsparse_direction_ii21rocsparse_index_base_PKT2_PKiS9_iiS4_PS5_PiSB_,comdat
.Lfunc_end99:
	.size	_ZN9rocsparseL35gebsr2csr_block_per_row_1_32_kernelILi256ELi2ELi4E21rocsparse_complex_numIfEEEv20rocsparse_direction_ii21rocsparse_index_base_PKT2_PKiS9_iiS4_PS5_PiSB_, .Lfunc_end99-_ZN9rocsparseL35gebsr2csr_block_per_row_1_32_kernelILi256ELi2ELi4E21rocsparse_complex_numIfEEEv20rocsparse_direction_ii21rocsparse_index_base_PKT2_PKiS9_iiS4_PS5_PiSB_
                                        ; -- End function
	.section	.AMDGPU.csdata,"",@progbits
; Kernel info:
; codeLenInByte = 568
; NumSgprs: 23
; NumVgprs: 20
; NumAgprs: 0
; TotalNumVgprs: 20
; ScratchSize: 0
; MemoryBound: 0
; FloatMode: 240
; IeeeMode: 1
; LDSByteSize: 0 bytes/workgroup (compile time only)
; SGPRBlocks: 2
; VGPRBlocks: 2
; NumSGPRsForWavesPerEU: 23
; NumVGPRsForWavesPerEU: 20
; AccumOffset: 20
; Occupancy: 8
; WaveLimiterHint : 0
; COMPUTE_PGM_RSRC2:SCRATCH_EN: 0
; COMPUTE_PGM_RSRC2:USER_SGPR: 6
; COMPUTE_PGM_RSRC2:TRAP_HANDLER: 0
; COMPUTE_PGM_RSRC2:TGID_X_EN: 1
; COMPUTE_PGM_RSRC2:TGID_Y_EN: 0
; COMPUTE_PGM_RSRC2:TGID_Z_EN: 0
; COMPUTE_PGM_RSRC2:TIDIG_COMP_CNT: 0
; COMPUTE_PGM_RSRC3_GFX90A:ACCUM_OFFSET: 4
; COMPUTE_PGM_RSRC3_GFX90A:TG_SPLIT: 0
	.section	.text._ZN9rocsparseL35gebsr2csr_block_per_row_1_32_kernelILi256ELi2ELi8E21rocsparse_complex_numIfEEEv20rocsparse_direction_ii21rocsparse_index_base_PKT2_PKiS9_iiS4_PS5_PiSB_,"axG",@progbits,_ZN9rocsparseL35gebsr2csr_block_per_row_1_32_kernelILi256ELi2ELi8E21rocsparse_complex_numIfEEEv20rocsparse_direction_ii21rocsparse_index_base_PKT2_PKiS9_iiS4_PS5_PiSB_,comdat
	.globl	_ZN9rocsparseL35gebsr2csr_block_per_row_1_32_kernelILi256ELi2ELi8E21rocsparse_complex_numIfEEEv20rocsparse_direction_ii21rocsparse_index_base_PKT2_PKiS9_iiS4_PS5_PiSB_ ; -- Begin function _ZN9rocsparseL35gebsr2csr_block_per_row_1_32_kernelILi256ELi2ELi8E21rocsparse_complex_numIfEEEv20rocsparse_direction_ii21rocsparse_index_base_PKT2_PKiS9_iiS4_PS5_PiSB_
	.p2align	8
	.type	_ZN9rocsparseL35gebsr2csr_block_per_row_1_32_kernelILi256ELi2ELi8E21rocsparse_complex_numIfEEEv20rocsparse_direction_ii21rocsparse_index_base_PKT2_PKiS9_iiS4_PS5_PiSB_,@function
_ZN9rocsparseL35gebsr2csr_block_per_row_1_32_kernelILi256ELi2ELi8E21rocsparse_complex_numIfEEEv20rocsparse_direction_ii21rocsparse_index_base_PKT2_PKiS9_iiS4_PS5_PiSB_: ; @_ZN9rocsparseL35gebsr2csr_block_per_row_1_32_kernelILi256ELi2ELi8E21rocsparse_complex_numIfEEEv20rocsparse_direction_ii21rocsparse_index_base_PKT2_PKiS9_iiS4_PS5_PiSB_
; %bb.0:
	s_load_dwordx2 s[0:1], s[4:5], 0x18
	s_load_dwordx4 s[8:11], s[4:5], 0x28
	s_load_dwordx2 s[2:3], s[4:5], 0x40
	s_ashr_i32 s7, s6, 31
	s_lshl_b64 s[12:13], s[6:7], 2
	s_waitcnt lgkmcnt(0)
	s_add_u32 s12, s0, s12
	v_or_b32_e32 v1, s6, v0
	s_addc_u32 s13, s1, s13
	v_cmp_eq_u32_e32 vcc, 0, v1
	s_and_saveexec_b64 s[0:1], vcc
	s_cbranch_execz .LBB100_2
; %bb.1:
	v_mov_b32_e32 v1, 0
	v_mov_b32_e32 v2, s10
	global_store_dword v1, v2, s[2:3]
.LBB100_2:
	s_or_b64 exec, exec, s[0:1]
	v_and_b32_e32 v6, 7, v0
	v_bfe_u32 v8, v0, 3, 1
	v_cmp_gt_i32_e32 vcc, s8, v8
	v_cmp_gt_i32_e64 s[0:1], s9, v6
	s_and_b64 s[0:1], vcc, s[0:1]
	s_and_saveexec_b64 s[14:15], s[0:1]
	s_cbranch_execz .LBB100_6
; %bb.3:
	s_load_dwordx2 s[14:15], s[12:13], 0x0
	s_load_dword s11, s[4:5], 0xc
	s_mul_i32 s6, s6, s8
	v_add_u32_e32 v2, s6, v8
	s_mul_i32 s1, s9, s8
	v_ashrrev_i32_e32 v3, 31, v2
	s_waitcnt lgkmcnt(0)
	s_sub_i32 s0, s14, s11
	s_sub_i32 s14, s15, s11
	s_sub_i32 s15, s14, s0
	s_mul_i32 s12, s15, s9
	v_lshrrev_b32_e32 v1, 4, v0
	s_mul_i32 s7, s0, s1
	v_mul_lo_u32 v0, s12, v8
	s_add_i32 s12, s12, s10
	v_lshlrev_b64 v[2:3], 2, v[2:3]
	s_add_i32 s12, s12, s7
	v_mov_b32_e32 v4, s3
	v_add_co_u32_e32 v2, vcc, s2, v2
	v_add_u32_e32 v0, s12, v0
	v_addc_co_u32_e32 v3, vcc, v4, v3, vcc
	global_store_dword v[2:3], v0, off offset:4
	v_add_u32_e32 v0, s0, v1
	v_cmp_gt_i32_e32 vcc, s14, v0
	s_and_b64 exec, exec, vcc
	s_cbranch_execz .LBB100_6
; %bb.4:
	s_load_dwordx2 s[16:17], s[4:5], 0x20
	s_load_dwordx2 s[2:3], s[4:5], 0x38
	s_load_dword s18, s[4:5], 0x0
	s_load_dwordx2 s[6:7], s[4:5], 0x10
	s_load_dwordx2 s[12:13], s[4:5], 0x48
	v_mad_u64_u32 v[4:5], s[4:5], v6, s8, v[8:9]
	s_waitcnt lgkmcnt(0)
	s_cmp_eq_u32 s18, 0
	v_mad_u64_u32 v[10:11], s[4:5], v8, s9, v[6:7]
	s_cselect_b64 vcc, -1, 0
	s_mul_i32 s0, s8, s0
	v_mul_lo_u32 v3, s15, v8
	v_cndmask_b32_e32 v4, v4, v10, vcc
	v_add3_u32 v1, v1, s0, v3
	v_add_u32_e32 v2, s10, v6
	v_mad_u64_u32 v[4:5], s[4:5], s1, v0, v[4:5]
	s_lshl_b32 s10, s1, 4
	v_mad_u64_u32 v[6:7], s[0:1], s9, v1, v[6:7]
	v_ashrrev_i32_e32 v1, 31, v0
	v_lshlrev_b64 v[8:9], 2, v[0:1]
	v_mov_b32_e32 v1, s17
	v_add_co_u32_e32 v8, vcc, s16, v8
	s_lshl_b32 s8, s9, 4
	v_addc_co_u32_e32 v9, vcc, v1, v9, vcc
	s_mov_b64 s[4:5], 0
	v_mov_b32_e32 v1, s13
	v_mov_b32_e32 v3, s7
	;; [unrolled: 1-line block ×3, first 2 shown]
.LBB100_5:                              ; =>This Inner Loop Header: Depth=1
	v_ashrrev_i32_e32 v5, 31, v4
	global_load_dword v11, v[8:9], off
	v_lshlrev_b64 v[12:13], 3, v[4:5]
	v_add_co_u32_e32 v12, vcc, s6, v12
	v_addc_co_u32_e32 v13, vcc, v3, v13, vcc
	global_load_dwordx2 v[12:13], v[12:13], off
	v_ashrrev_i32_e32 v7, 31, v6
	v_lshlrev_b64 v[14:15], 2, v[6:7]
	v_add_co_u32_e32 v8, vcc, 64, v8
	v_add_co_u32_e64 v14, s[0:1], s12, v14
	v_add_u32_e32 v0, 16, v0
	v_addc_co_u32_e32 v9, vcc, 0, v9, vcc
	v_lshlrev_b64 v[16:17], 3, v[6:7]
	v_addc_co_u32_e64 v15, s[0:1], v1, v15, s[0:1]
	v_cmp_le_i32_e32 vcc, s14, v0
	v_add_co_u32_e64 v16, s[0:1], s2, v16
	v_add_u32_e32 v4, s10, v4
	v_add_u32_e32 v6, s8, v6
	v_addc_co_u32_e64 v17, s[0:1], v10, v17, s[0:1]
	s_or_b64 s[4:5], vcc, s[4:5]
	s_waitcnt vmcnt(1)
	v_subrev_u32_e32 v5, s11, v11
	v_mad_u64_u32 v[18:19], s[0:1], v5, s9, v[2:3]
	global_store_dword v[14:15], v18, off
	s_waitcnt vmcnt(1)
	global_store_dwordx2 v[16:17], v[12:13], off
	s_andn2_b64 exec, exec, s[4:5]
	s_cbranch_execnz .LBB100_5
.LBB100_6:
	s_endpgm
	.section	.rodata,"a",@progbits
	.p2align	6, 0x0
	.amdhsa_kernel _ZN9rocsparseL35gebsr2csr_block_per_row_1_32_kernelILi256ELi2ELi8E21rocsparse_complex_numIfEEEv20rocsparse_direction_ii21rocsparse_index_base_PKT2_PKiS9_iiS4_PS5_PiSB_
		.amdhsa_group_segment_fixed_size 0
		.amdhsa_private_segment_fixed_size 0
		.amdhsa_kernarg_size 80
		.amdhsa_user_sgpr_count 6
		.amdhsa_user_sgpr_private_segment_buffer 1
		.amdhsa_user_sgpr_dispatch_ptr 0
		.amdhsa_user_sgpr_queue_ptr 0
		.amdhsa_user_sgpr_kernarg_segment_ptr 1
		.amdhsa_user_sgpr_dispatch_id 0
		.amdhsa_user_sgpr_flat_scratch_init 0
		.amdhsa_user_sgpr_kernarg_preload_length 0
		.amdhsa_user_sgpr_kernarg_preload_offset 0
		.amdhsa_user_sgpr_private_segment_size 0
		.amdhsa_uses_dynamic_stack 0
		.amdhsa_system_sgpr_private_segment_wavefront_offset 0
		.amdhsa_system_sgpr_workgroup_id_x 1
		.amdhsa_system_sgpr_workgroup_id_y 0
		.amdhsa_system_sgpr_workgroup_id_z 0
		.amdhsa_system_sgpr_workgroup_info 0
		.amdhsa_system_vgpr_workitem_id 0
		.amdhsa_next_free_vgpr 20
		.amdhsa_next_free_sgpr 19
		.amdhsa_accum_offset 20
		.amdhsa_reserve_vcc 1
		.amdhsa_reserve_flat_scratch 0
		.amdhsa_float_round_mode_32 0
		.amdhsa_float_round_mode_16_64 0
		.amdhsa_float_denorm_mode_32 3
		.amdhsa_float_denorm_mode_16_64 3
		.amdhsa_dx10_clamp 1
		.amdhsa_ieee_mode 1
		.amdhsa_fp16_overflow 0
		.amdhsa_tg_split 0
		.amdhsa_exception_fp_ieee_invalid_op 0
		.amdhsa_exception_fp_denorm_src 0
		.amdhsa_exception_fp_ieee_div_zero 0
		.amdhsa_exception_fp_ieee_overflow 0
		.amdhsa_exception_fp_ieee_underflow 0
		.amdhsa_exception_fp_ieee_inexact 0
		.amdhsa_exception_int_div_zero 0
	.end_amdhsa_kernel
	.section	.text._ZN9rocsparseL35gebsr2csr_block_per_row_1_32_kernelILi256ELi2ELi8E21rocsparse_complex_numIfEEEv20rocsparse_direction_ii21rocsparse_index_base_PKT2_PKiS9_iiS4_PS5_PiSB_,"axG",@progbits,_ZN9rocsparseL35gebsr2csr_block_per_row_1_32_kernelILi256ELi2ELi8E21rocsparse_complex_numIfEEEv20rocsparse_direction_ii21rocsparse_index_base_PKT2_PKiS9_iiS4_PS5_PiSB_,comdat
.Lfunc_end100:
	.size	_ZN9rocsparseL35gebsr2csr_block_per_row_1_32_kernelILi256ELi2ELi8E21rocsparse_complex_numIfEEEv20rocsparse_direction_ii21rocsparse_index_base_PKT2_PKiS9_iiS4_PS5_PiSB_, .Lfunc_end100-_ZN9rocsparseL35gebsr2csr_block_per_row_1_32_kernelILi256ELi2ELi8E21rocsparse_complex_numIfEEEv20rocsparse_direction_ii21rocsparse_index_base_PKT2_PKiS9_iiS4_PS5_PiSB_
                                        ; -- End function
	.section	.AMDGPU.csdata,"",@progbits
; Kernel info:
; codeLenInByte = 564
; NumSgprs: 23
; NumVgprs: 20
; NumAgprs: 0
; TotalNumVgprs: 20
; ScratchSize: 0
; MemoryBound: 0
; FloatMode: 240
; IeeeMode: 1
; LDSByteSize: 0 bytes/workgroup (compile time only)
; SGPRBlocks: 2
; VGPRBlocks: 2
; NumSGPRsForWavesPerEU: 23
; NumVGPRsForWavesPerEU: 20
; AccumOffset: 20
; Occupancy: 8
; WaveLimiterHint : 0
; COMPUTE_PGM_RSRC2:SCRATCH_EN: 0
; COMPUTE_PGM_RSRC2:USER_SGPR: 6
; COMPUTE_PGM_RSRC2:TRAP_HANDLER: 0
; COMPUTE_PGM_RSRC2:TGID_X_EN: 1
; COMPUTE_PGM_RSRC2:TGID_Y_EN: 0
; COMPUTE_PGM_RSRC2:TGID_Z_EN: 0
; COMPUTE_PGM_RSRC2:TIDIG_COMP_CNT: 0
; COMPUTE_PGM_RSRC3_GFX90A:ACCUM_OFFSET: 4
; COMPUTE_PGM_RSRC3_GFX90A:TG_SPLIT: 0
	.section	.text._ZN9rocsparseL35gebsr2csr_block_per_row_1_32_kernelILi256ELi2ELi16E21rocsparse_complex_numIfEEEv20rocsparse_direction_ii21rocsparse_index_base_PKT2_PKiS9_iiS4_PS5_PiSB_,"axG",@progbits,_ZN9rocsparseL35gebsr2csr_block_per_row_1_32_kernelILi256ELi2ELi16E21rocsparse_complex_numIfEEEv20rocsparse_direction_ii21rocsparse_index_base_PKT2_PKiS9_iiS4_PS5_PiSB_,comdat
	.globl	_ZN9rocsparseL35gebsr2csr_block_per_row_1_32_kernelILi256ELi2ELi16E21rocsparse_complex_numIfEEEv20rocsparse_direction_ii21rocsparse_index_base_PKT2_PKiS9_iiS4_PS5_PiSB_ ; -- Begin function _ZN9rocsparseL35gebsr2csr_block_per_row_1_32_kernelILi256ELi2ELi16E21rocsparse_complex_numIfEEEv20rocsparse_direction_ii21rocsparse_index_base_PKT2_PKiS9_iiS4_PS5_PiSB_
	.p2align	8
	.type	_ZN9rocsparseL35gebsr2csr_block_per_row_1_32_kernelILi256ELi2ELi16E21rocsparse_complex_numIfEEEv20rocsparse_direction_ii21rocsparse_index_base_PKT2_PKiS9_iiS4_PS5_PiSB_,@function
_ZN9rocsparseL35gebsr2csr_block_per_row_1_32_kernelILi256ELi2ELi16E21rocsparse_complex_numIfEEEv20rocsparse_direction_ii21rocsparse_index_base_PKT2_PKiS9_iiS4_PS5_PiSB_: ; @_ZN9rocsparseL35gebsr2csr_block_per_row_1_32_kernelILi256ELi2ELi16E21rocsparse_complex_numIfEEEv20rocsparse_direction_ii21rocsparse_index_base_PKT2_PKiS9_iiS4_PS5_PiSB_
; %bb.0:
	s_load_dwordx2 s[0:1], s[4:5], 0x18
	s_load_dwordx4 s[8:11], s[4:5], 0x28
	s_load_dwordx2 s[2:3], s[4:5], 0x40
	s_ashr_i32 s7, s6, 31
	s_lshl_b64 s[12:13], s[6:7], 2
	s_waitcnt lgkmcnt(0)
	s_add_u32 s12, s0, s12
	v_or_b32_e32 v1, s6, v0
	s_addc_u32 s13, s1, s13
	v_cmp_eq_u32_e32 vcc, 0, v1
	s_and_saveexec_b64 s[0:1], vcc
	s_cbranch_execz .LBB101_2
; %bb.1:
	v_mov_b32_e32 v1, 0
	v_mov_b32_e32 v2, s10
	global_store_dword v1, v2, s[2:3]
.LBB101_2:
	s_or_b64 exec, exec, s[0:1]
	v_and_b32_e32 v6, 15, v0
	v_bfe_u32 v8, v0, 4, 1
	v_cmp_gt_i32_e32 vcc, s8, v8
	v_cmp_gt_i32_e64 s[0:1], s9, v6
	s_and_b64 s[0:1], vcc, s[0:1]
	s_and_saveexec_b64 s[14:15], s[0:1]
	s_cbranch_execz .LBB101_6
; %bb.3:
	s_load_dwordx2 s[14:15], s[12:13], 0x0
	s_load_dword s11, s[4:5], 0xc
	s_mul_i32 s6, s6, s8
	v_add_u32_e32 v2, s6, v8
	s_mul_i32 s1, s9, s8
	v_ashrrev_i32_e32 v3, 31, v2
	s_waitcnt lgkmcnt(0)
	s_sub_i32 s0, s14, s11
	s_sub_i32 s14, s15, s11
	;; [unrolled: 1-line block ×3, first 2 shown]
	s_mul_i32 s12, s15, s9
	v_lshrrev_b32_e32 v1, 5, v0
	s_mul_i32 s7, s0, s1
	v_mul_lo_u32 v0, s12, v8
	s_add_i32 s12, s12, s10
	v_lshlrev_b64 v[2:3], 2, v[2:3]
	s_add_i32 s12, s12, s7
	v_mov_b32_e32 v4, s3
	v_add_co_u32_e32 v2, vcc, s2, v2
	v_add_u32_e32 v0, s12, v0
	v_addc_co_u32_e32 v3, vcc, v4, v3, vcc
	global_store_dword v[2:3], v0, off offset:4
	v_add_u32_e32 v0, s0, v1
	v_cmp_gt_i32_e32 vcc, s14, v0
	s_and_b64 exec, exec, vcc
	s_cbranch_execz .LBB101_6
; %bb.4:
	s_load_dwordx2 s[16:17], s[4:5], 0x20
	s_load_dwordx2 s[2:3], s[4:5], 0x38
	s_load_dword s18, s[4:5], 0x0
	s_load_dwordx2 s[6:7], s[4:5], 0x10
	s_load_dwordx2 s[12:13], s[4:5], 0x48
	v_mad_u64_u32 v[4:5], s[4:5], v6, s8, v[8:9]
	s_waitcnt lgkmcnt(0)
	s_cmp_eq_u32 s18, 0
	v_mad_u64_u32 v[10:11], s[4:5], v8, s9, v[6:7]
	s_cselect_b64 vcc, -1, 0
	s_mul_i32 s0, s8, s0
	v_mul_lo_u32 v3, s15, v8
	v_cndmask_b32_e32 v4, v4, v10, vcc
	v_add3_u32 v1, v1, s0, v3
	v_add_u32_e32 v2, s10, v6
	v_mad_u64_u32 v[4:5], s[4:5], s1, v0, v[4:5]
	s_lshl_b32 s10, s1, 3
	v_mad_u64_u32 v[6:7], s[0:1], s9, v1, v[6:7]
	v_ashrrev_i32_e32 v1, 31, v0
	v_lshlrev_b64 v[8:9], 2, v[0:1]
	v_mov_b32_e32 v1, s17
	v_add_co_u32_e32 v8, vcc, s16, v8
	s_lshl_b32 s8, s9, 3
	v_addc_co_u32_e32 v9, vcc, v1, v9, vcc
	s_mov_b64 s[4:5], 0
	v_mov_b32_e32 v1, s13
	v_mov_b32_e32 v3, s7
	;; [unrolled: 1-line block ×3, first 2 shown]
.LBB101_5:                              ; =>This Inner Loop Header: Depth=1
	v_ashrrev_i32_e32 v5, 31, v4
	global_load_dword v11, v[8:9], off
	v_lshlrev_b64 v[12:13], 3, v[4:5]
	v_add_co_u32_e32 v12, vcc, s6, v12
	v_addc_co_u32_e32 v13, vcc, v3, v13, vcc
	global_load_dwordx2 v[12:13], v[12:13], off
	v_ashrrev_i32_e32 v7, 31, v6
	v_lshlrev_b64 v[14:15], 2, v[6:7]
	v_add_co_u32_e32 v8, vcc, 32, v8
	v_add_co_u32_e64 v14, s[0:1], s12, v14
	v_add_u32_e32 v0, 8, v0
	v_addc_co_u32_e32 v9, vcc, 0, v9, vcc
	v_lshlrev_b64 v[16:17], 3, v[6:7]
	v_addc_co_u32_e64 v15, s[0:1], v1, v15, s[0:1]
	v_cmp_le_i32_e32 vcc, s14, v0
	v_add_co_u32_e64 v16, s[0:1], s2, v16
	v_add_u32_e32 v4, s10, v4
	v_add_u32_e32 v6, s8, v6
	v_addc_co_u32_e64 v17, s[0:1], v10, v17, s[0:1]
	s_or_b64 s[4:5], vcc, s[4:5]
	s_waitcnt vmcnt(1)
	v_subrev_u32_e32 v5, s11, v11
	v_mad_u64_u32 v[18:19], s[0:1], v5, s9, v[2:3]
	global_store_dword v[14:15], v18, off
	s_waitcnt vmcnt(1)
	global_store_dwordx2 v[16:17], v[12:13], off
	s_andn2_b64 exec, exec, s[4:5]
	s_cbranch_execnz .LBB101_5
.LBB101_6:
	s_endpgm
	.section	.rodata,"a",@progbits
	.p2align	6, 0x0
	.amdhsa_kernel _ZN9rocsparseL35gebsr2csr_block_per_row_1_32_kernelILi256ELi2ELi16E21rocsparse_complex_numIfEEEv20rocsparse_direction_ii21rocsparse_index_base_PKT2_PKiS9_iiS4_PS5_PiSB_
		.amdhsa_group_segment_fixed_size 0
		.amdhsa_private_segment_fixed_size 0
		.amdhsa_kernarg_size 80
		.amdhsa_user_sgpr_count 6
		.amdhsa_user_sgpr_private_segment_buffer 1
		.amdhsa_user_sgpr_dispatch_ptr 0
		.amdhsa_user_sgpr_queue_ptr 0
		.amdhsa_user_sgpr_kernarg_segment_ptr 1
		.amdhsa_user_sgpr_dispatch_id 0
		.amdhsa_user_sgpr_flat_scratch_init 0
		.amdhsa_user_sgpr_kernarg_preload_length 0
		.amdhsa_user_sgpr_kernarg_preload_offset 0
		.amdhsa_user_sgpr_private_segment_size 0
		.amdhsa_uses_dynamic_stack 0
		.amdhsa_system_sgpr_private_segment_wavefront_offset 0
		.amdhsa_system_sgpr_workgroup_id_x 1
		.amdhsa_system_sgpr_workgroup_id_y 0
		.amdhsa_system_sgpr_workgroup_id_z 0
		.amdhsa_system_sgpr_workgroup_info 0
		.amdhsa_system_vgpr_workitem_id 0
		.amdhsa_next_free_vgpr 20
		.amdhsa_next_free_sgpr 19
		.amdhsa_accum_offset 20
		.amdhsa_reserve_vcc 1
		.amdhsa_reserve_flat_scratch 0
		.amdhsa_float_round_mode_32 0
		.amdhsa_float_round_mode_16_64 0
		.amdhsa_float_denorm_mode_32 3
		.amdhsa_float_denorm_mode_16_64 3
		.amdhsa_dx10_clamp 1
		.amdhsa_ieee_mode 1
		.amdhsa_fp16_overflow 0
		.amdhsa_tg_split 0
		.amdhsa_exception_fp_ieee_invalid_op 0
		.amdhsa_exception_fp_denorm_src 0
		.amdhsa_exception_fp_ieee_div_zero 0
		.amdhsa_exception_fp_ieee_overflow 0
		.amdhsa_exception_fp_ieee_underflow 0
		.amdhsa_exception_fp_ieee_inexact 0
		.amdhsa_exception_int_div_zero 0
	.end_amdhsa_kernel
	.section	.text._ZN9rocsparseL35gebsr2csr_block_per_row_1_32_kernelILi256ELi2ELi16E21rocsparse_complex_numIfEEEv20rocsparse_direction_ii21rocsparse_index_base_PKT2_PKiS9_iiS4_PS5_PiSB_,"axG",@progbits,_ZN9rocsparseL35gebsr2csr_block_per_row_1_32_kernelILi256ELi2ELi16E21rocsparse_complex_numIfEEEv20rocsparse_direction_ii21rocsparse_index_base_PKT2_PKiS9_iiS4_PS5_PiSB_,comdat
.Lfunc_end101:
	.size	_ZN9rocsparseL35gebsr2csr_block_per_row_1_32_kernelILi256ELi2ELi16E21rocsparse_complex_numIfEEEv20rocsparse_direction_ii21rocsparse_index_base_PKT2_PKiS9_iiS4_PS5_PiSB_, .Lfunc_end101-_ZN9rocsparseL35gebsr2csr_block_per_row_1_32_kernelILi256ELi2ELi16E21rocsparse_complex_numIfEEEv20rocsparse_direction_ii21rocsparse_index_base_PKT2_PKiS9_iiS4_PS5_PiSB_
                                        ; -- End function
	.section	.AMDGPU.csdata,"",@progbits
; Kernel info:
; codeLenInByte = 564
; NumSgprs: 23
; NumVgprs: 20
; NumAgprs: 0
; TotalNumVgprs: 20
; ScratchSize: 0
; MemoryBound: 0
; FloatMode: 240
; IeeeMode: 1
; LDSByteSize: 0 bytes/workgroup (compile time only)
; SGPRBlocks: 2
; VGPRBlocks: 2
; NumSGPRsForWavesPerEU: 23
; NumVGPRsForWavesPerEU: 20
; AccumOffset: 20
; Occupancy: 8
; WaveLimiterHint : 0
; COMPUTE_PGM_RSRC2:SCRATCH_EN: 0
; COMPUTE_PGM_RSRC2:USER_SGPR: 6
; COMPUTE_PGM_RSRC2:TRAP_HANDLER: 0
; COMPUTE_PGM_RSRC2:TGID_X_EN: 1
; COMPUTE_PGM_RSRC2:TGID_Y_EN: 0
; COMPUTE_PGM_RSRC2:TGID_Z_EN: 0
; COMPUTE_PGM_RSRC2:TIDIG_COMP_CNT: 0
; COMPUTE_PGM_RSRC3_GFX90A:ACCUM_OFFSET: 4
; COMPUTE_PGM_RSRC3_GFX90A:TG_SPLIT: 0
	.section	.text._ZN9rocsparseL35gebsr2csr_block_per_row_1_32_kernelILi256ELi2ELi32E21rocsparse_complex_numIfEEEv20rocsparse_direction_ii21rocsparse_index_base_PKT2_PKiS9_iiS4_PS5_PiSB_,"axG",@progbits,_ZN9rocsparseL35gebsr2csr_block_per_row_1_32_kernelILi256ELi2ELi32E21rocsparse_complex_numIfEEEv20rocsparse_direction_ii21rocsparse_index_base_PKT2_PKiS9_iiS4_PS5_PiSB_,comdat
	.globl	_ZN9rocsparseL35gebsr2csr_block_per_row_1_32_kernelILi256ELi2ELi32E21rocsparse_complex_numIfEEEv20rocsparse_direction_ii21rocsparse_index_base_PKT2_PKiS9_iiS4_PS5_PiSB_ ; -- Begin function _ZN9rocsparseL35gebsr2csr_block_per_row_1_32_kernelILi256ELi2ELi32E21rocsparse_complex_numIfEEEv20rocsparse_direction_ii21rocsparse_index_base_PKT2_PKiS9_iiS4_PS5_PiSB_
	.p2align	8
	.type	_ZN9rocsparseL35gebsr2csr_block_per_row_1_32_kernelILi256ELi2ELi32E21rocsparse_complex_numIfEEEv20rocsparse_direction_ii21rocsparse_index_base_PKT2_PKiS9_iiS4_PS5_PiSB_,@function
_ZN9rocsparseL35gebsr2csr_block_per_row_1_32_kernelILi256ELi2ELi32E21rocsparse_complex_numIfEEEv20rocsparse_direction_ii21rocsparse_index_base_PKT2_PKiS9_iiS4_PS5_PiSB_: ; @_ZN9rocsparseL35gebsr2csr_block_per_row_1_32_kernelILi256ELi2ELi32E21rocsparse_complex_numIfEEEv20rocsparse_direction_ii21rocsparse_index_base_PKT2_PKiS9_iiS4_PS5_PiSB_
; %bb.0:
	s_load_dwordx2 s[0:1], s[4:5], 0x18
	s_load_dwordx4 s[8:11], s[4:5], 0x28
	s_load_dwordx2 s[2:3], s[4:5], 0x40
	s_ashr_i32 s7, s6, 31
	s_lshl_b64 s[12:13], s[6:7], 2
	s_waitcnt lgkmcnt(0)
	s_add_u32 s12, s0, s12
	v_or_b32_e32 v1, s6, v0
	s_addc_u32 s13, s1, s13
	v_cmp_eq_u32_e32 vcc, 0, v1
	s_and_saveexec_b64 s[0:1], vcc
	s_cbranch_execz .LBB102_2
; %bb.1:
	v_mov_b32_e32 v1, 0
	v_mov_b32_e32 v2, s10
	global_store_dword v1, v2, s[2:3]
.LBB102_2:
	s_or_b64 exec, exec, s[0:1]
	v_and_b32_e32 v6, 31, v0
	v_bfe_u32 v8, v0, 5, 1
	v_cmp_gt_i32_e32 vcc, s8, v8
	v_cmp_gt_i32_e64 s[0:1], s9, v6
	s_and_b64 s[0:1], vcc, s[0:1]
	s_and_saveexec_b64 s[14:15], s[0:1]
	s_cbranch_execz .LBB102_6
; %bb.3:
	s_load_dwordx2 s[14:15], s[12:13], 0x0
	s_load_dword s11, s[4:5], 0xc
	s_mul_i32 s6, s6, s8
	v_add_u32_e32 v2, s6, v8
	s_mul_i32 s1, s9, s8
	v_ashrrev_i32_e32 v3, 31, v2
	s_waitcnt lgkmcnt(0)
	s_sub_i32 s0, s14, s11
	s_sub_i32 s14, s15, s11
	;; [unrolled: 1-line block ×3, first 2 shown]
	s_mul_i32 s12, s15, s9
	v_lshrrev_b32_e32 v1, 6, v0
	s_mul_i32 s7, s0, s1
	v_mul_lo_u32 v0, s12, v8
	s_add_i32 s12, s12, s10
	v_lshlrev_b64 v[2:3], 2, v[2:3]
	s_add_i32 s12, s12, s7
	v_mov_b32_e32 v4, s3
	v_add_co_u32_e32 v2, vcc, s2, v2
	v_add_u32_e32 v0, s12, v0
	v_addc_co_u32_e32 v3, vcc, v4, v3, vcc
	global_store_dword v[2:3], v0, off offset:4
	v_add_u32_e32 v0, s0, v1
	v_cmp_gt_i32_e32 vcc, s14, v0
	s_and_b64 exec, exec, vcc
	s_cbranch_execz .LBB102_6
; %bb.4:
	s_load_dwordx2 s[16:17], s[4:5], 0x20
	s_load_dwordx2 s[2:3], s[4:5], 0x38
	s_load_dword s18, s[4:5], 0x0
	s_load_dwordx2 s[6:7], s[4:5], 0x10
	s_load_dwordx2 s[12:13], s[4:5], 0x48
	v_mad_u64_u32 v[4:5], s[4:5], v6, s8, v[8:9]
	s_waitcnt lgkmcnt(0)
	s_cmp_eq_u32 s18, 0
	v_mad_u64_u32 v[10:11], s[4:5], v8, s9, v[6:7]
	s_cselect_b64 vcc, -1, 0
	s_mul_i32 s0, s8, s0
	v_mul_lo_u32 v3, s15, v8
	v_cndmask_b32_e32 v4, v4, v10, vcc
	v_add3_u32 v1, v1, s0, v3
	v_add_u32_e32 v2, s10, v6
	v_mad_u64_u32 v[4:5], s[4:5], s1, v0, v[4:5]
	s_lshl_b32 s10, s1, 2
	v_mad_u64_u32 v[6:7], s[0:1], s9, v1, v[6:7]
	v_ashrrev_i32_e32 v1, 31, v0
	v_lshlrev_b64 v[8:9], 2, v[0:1]
	v_mov_b32_e32 v1, s17
	v_add_co_u32_e32 v8, vcc, s16, v8
	s_lshl_b32 s8, s9, 2
	v_addc_co_u32_e32 v9, vcc, v1, v9, vcc
	s_mov_b64 s[4:5], 0
	v_mov_b32_e32 v1, s13
	v_mov_b32_e32 v3, s7
	;; [unrolled: 1-line block ×3, first 2 shown]
.LBB102_5:                              ; =>This Inner Loop Header: Depth=1
	v_ashrrev_i32_e32 v5, 31, v4
	global_load_dword v11, v[8:9], off
	v_lshlrev_b64 v[12:13], 3, v[4:5]
	v_add_co_u32_e32 v12, vcc, s6, v12
	v_addc_co_u32_e32 v13, vcc, v3, v13, vcc
	global_load_dwordx2 v[12:13], v[12:13], off
	v_ashrrev_i32_e32 v7, 31, v6
	v_lshlrev_b64 v[14:15], 2, v[6:7]
	v_add_co_u32_e32 v8, vcc, 16, v8
	v_add_co_u32_e64 v14, s[0:1], s12, v14
	v_add_u32_e32 v0, 4, v0
	v_addc_co_u32_e32 v9, vcc, 0, v9, vcc
	v_lshlrev_b64 v[16:17], 3, v[6:7]
	v_addc_co_u32_e64 v15, s[0:1], v1, v15, s[0:1]
	v_cmp_le_i32_e32 vcc, s14, v0
	v_add_co_u32_e64 v16, s[0:1], s2, v16
	v_add_u32_e32 v4, s10, v4
	v_add_u32_e32 v6, s8, v6
	v_addc_co_u32_e64 v17, s[0:1], v10, v17, s[0:1]
	s_or_b64 s[4:5], vcc, s[4:5]
	s_waitcnt vmcnt(1)
	v_subrev_u32_e32 v5, s11, v11
	v_mad_u64_u32 v[18:19], s[0:1], v5, s9, v[2:3]
	global_store_dword v[14:15], v18, off
	s_waitcnt vmcnt(1)
	global_store_dwordx2 v[16:17], v[12:13], off
	s_andn2_b64 exec, exec, s[4:5]
	s_cbranch_execnz .LBB102_5
.LBB102_6:
	s_endpgm
	.section	.rodata,"a",@progbits
	.p2align	6, 0x0
	.amdhsa_kernel _ZN9rocsparseL35gebsr2csr_block_per_row_1_32_kernelILi256ELi2ELi32E21rocsparse_complex_numIfEEEv20rocsparse_direction_ii21rocsparse_index_base_PKT2_PKiS9_iiS4_PS5_PiSB_
		.amdhsa_group_segment_fixed_size 0
		.amdhsa_private_segment_fixed_size 0
		.amdhsa_kernarg_size 80
		.amdhsa_user_sgpr_count 6
		.amdhsa_user_sgpr_private_segment_buffer 1
		.amdhsa_user_sgpr_dispatch_ptr 0
		.amdhsa_user_sgpr_queue_ptr 0
		.amdhsa_user_sgpr_kernarg_segment_ptr 1
		.amdhsa_user_sgpr_dispatch_id 0
		.amdhsa_user_sgpr_flat_scratch_init 0
		.amdhsa_user_sgpr_kernarg_preload_length 0
		.amdhsa_user_sgpr_kernarg_preload_offset 0
		.amdhsa_user_sgpr_private_segment_size 0
		.amdhsa_uses_dynamic_stack 0
		.amdhsa_system_sgpr_private_segment_wavefront_offset 0
		.amdhsa_system_sgpr_workgroup_id_x 1
		.amdhsa_system_sgpr_workgroup_id_y 0
		.amdhsa_system_sgpr_workgroup_id_z 0
		.amdhsa_system_sgpr_workgroup_info 0
		.amdhsa_system_vgpr_workitem_id 0
		.amdhsa_next_free_vgpr 20
		.amdhsa_next_free_sgpr 19
		.amdhsa_accum_offset 20
		.amdhsa_reserve_vcc 1
		.amdhsa_reserve_flat_scratch 0
		.amdhsa_float_round_mode_32 0
		.amdhsa_float_round_mode_16_64 0
		.amdhsa_float_denorm_mode_32 3
		.amdhsa_float_denorm_mode_16_64 3
		.amdhsa_dx10_clamp 1
		.amdhsa_ieee_mode 1
		.amdhsa_fp16_overflow 0
		.amdhsa_tg_split 0
		.amdhsa_exception_fp_ieee_invalid_op 0
		.amdhsa_exception_fp_denorm_src 0
		.amdhsa_exception_fp_ieee_div_zero 0
		.amdhsa_exception_fp_ieee_overflow 0
		.amdhsa_exception_fp_ieee_underflow 0
		.amdhsa_exception_fp_ieee_inexact 0
		.amdhsa_exception_int_div_zero 0
	.end_amdhsa_kernel
	.section	.text._ZN9rocsparseL35gebsr2csr_block_per_row_1_32_kernelILi256ELi2ELi32E21rocsparse_complex_numIfEEEv20rocsparse_direction_ii21rocsparse_index_base_PKT2_PKiS9_iiS4_PS5_PiSB_,"axG",@progbits,_ZN9rocsparseL35gebsr2csr_block_per_row_1_32_kernelILi256ELi2ELi32E21rocsparse_complex_numIfEEEv20rocsparse_direction_ii21rocsparse_index_base_PKT2_PKiS9_iiS4_PS5_PiSB_,comdat
.Lfunc_end102:
	.size	_ZN9rocsparseL35gebsr2csr_block_per_row_1_32_kernelILi256ELi2ELi32E21rocsparse_complex_numIfEEEv20rocsparse_direction_ii21rocsparse_index_base_PKT2_PKiS9_iiS4_PS5_PiSB_, .Lfunc_end102-_ZN9rocsparseL35gebsr2csr_block_per_row_1_32_kernelILi256ELi2ELi32E21rocsparse_complex_numIfEEEv20rocsparse_direction_ii21rocsparse_index_base_PKT2_PKiS9_iiS4_PS5_PiSB_
                                        ; -- End function
	.section	.AMDGPU.csdata,"",@progbits
; Kernel info:
; codeLenInByte = 564
; NumSgprs: 23
; NumVgprs: 20
; NumAgprs: 0
; TotalNumVgprs: 20
; ScratchSize: 0
; MemoryBound: 0
; FloatMode: 240
; IeeeMode: 1
; LDSByteSize: 0 bytes/workgroup (compile time only)
; SGPRBlocks: 2
; VGPRBlocks: 2
; NumSGPRsForWavesPerEU: 23
; NumVGPRsForWavesPerEU: 20
; AccumOffset: 20
; Occupancy: 8
; WaveLimiterHint : 0
; COMPUTE_PGM_RSRC2:SCRATCH_EN: 0
; COMPUTE_PGM_RSRC2:USER_SGPR: 6
; COMPUTE_PGM_RSRC2:TRAP_HANDLER: 0
; COMPUTE_PGM_RSRC2:TGID_X_EN: 1
; COMPUTE_PGM_RSRC2:TGID_Y_EN: 0
; COMPUTE_PGM_RSRC2:TGID_Z_EN: 0
; COMPUTE_PGM_RSRC2:TIDIG_COMP_CNT: 0
; COMPUTE_PGM_RSRC3_GFX90A:ACCUM_OFFSET: 4
; COMPUTE_PGM_RSRC3_GFX90A:TG_SPLIT: 0
	.section	.text._ZN9rocsparseL37gebsr2csr_block_per_row_33_128_kernelILi256ELi2ELi64ELi2ELi32E21rocsparse_complex_numIfEEEv20rocsparse_direction_ii21rocsparse_index_base_PKT4_PKiS9_iiS4_PS5_PiSB_,"axG",@progbits,_ZN9rocsparseL37gebsr2csr_block_per_row_33_128_kernelILi256ELi2ELi64ELi2ELi32E21rocsparse_complex_numIfEEEv20rocsparse_direction_ii21rocsparse_index_base_PKT4_PKiS9_iiS4_PS5_PiSB_,comdat
	.globl	_ZN9rocsparseL37gebsr2csr_block_per_row_33_128_kernelILi256ELi2ELi64ELi2ELi32E21rocsparse_complex_numIfEEEv20rocsparse_direction_ii21rocsparse_index_base_PKT4_PKiS9_iiS4_PS5_PiSB_ ; -- Begin function _ZN9rocsparseL37gebsr2csr_block_per_row_33_128_kernelILi256ELi2ELi64ELi2ELi32E21rocsparse_complex_numIfEEEv20rocsparse_direction_ii21rocsparse_index_base_PKT4_PKiS9_iiS4_PS5_PiSB_
	.p2align	8
	.type	_ZN9rocsparseL37gebsr2csr_block_per_row_33_128_kernelILi256ELi2ELi64ELi2ELi32E21rocsparse_complex_numIfEEEv20rocsparse_direction_ii21rocsparse_index_base_PKT4_PKiS9_iiS4_PS5_PiSB_,@function
_ZN9rocsparseL37gebsr2csr_block_per_row_33_128_kernelILi256ELi2ELi64ELi2ELi32E21rocsparse_complex_numIfEEEv20rocsparse_direction_ii21rocsparse_index_base_PKT4_PKiS9_iiS4_PS5_PiSB_: ; @_ZN9rocsparseL37gebsr2csr_block_per_row_33_128_kernelILi256ELi2ELi64ELi2ELi32E21rocsparse_complex_numIfEEEv20rocsparse_direction_ii21rocsparse_index_base_PKT4_PKiS9_iiS4_PS5_PiSB_
; %bb.0:
	s_load_dwordx2 s[0:1], s[4:5], 0x18
	s_load_dwordx4 s[8:11], s[4:5], 0x28
	s_load_dwordx2 s[2:3], s[4:5], 0x40
	s_ashr_i32 s7, s6, 31
	s_lshl_b64 s[12:13], s[6:7], 2
	s_waitcnt lgkmcnt(0)
	s_add_u32 s0, s0, s12
	s_addc_u32 s1, s1, s13
	s_load_dwordx2 s[14:15], s[0:1], 0x0
	v_or_b32_e32 v1, s6, v0
	v_cmp_eq_u32_e32 vcc, 0, v1
	s_and_saveexec_b64 s[0:1], vcc
	s_cbranch_execz .LBB103_2
; %bb.1:
	v_mov_b32_e32 v1, 0
	v_mov_b32_e32 v2, s10
	global_store_dword v1, v2, s[2:3]
.LBB103_2:
	s_or_b64 exec, exec, s[0:1]
	s_load_dword s11, s[4:5], 0xc
	v_lshrrev_b32_e32 v4, 5, v0
	v_cmp_gt_i32_e64 s[0:1], s8, v4
	s_mul_i32 s23, s9, s8
	s_waitcnt lgkmcnt(0)
	s_sub_i32 s12, s14, s11
	s_sub_i32 s22, s15, s11
	s_and_saveexec_b64 s[16:17], s[0:1]
	s_cbranch_execz .LBB103_4
; %bb.3:
	s_mul_i32 s6, s6, s8
	v_add_u32_e32 v2, s6, v4
	s_mul_i32 s7, s23, s12
	s_sub_i32 s13, s22, s12
	v_ashrrev_i32_e32 v3, 31, v2
	s_mul_i32 s13, s13, s9
	s_add_i32 s7, s7, s10
	v_lshlrev_b64 v[2:3], 2, v[2:3]
	v_mul_lo_u32 v1, s13, v4
	s_add_i32 s7, s7, s13
	v_mov_b32_e32 v5, s3
	v_add_co_u32_e32 v2, vcc, s2, v2
	v_add_u32_e32 v1, s7, v1
	v_addc_co_u32_e32 v3, vcc, v5, v3, vcc
	global_store_dword v[2:3], v1, off offset:4
.LBB103_4:
	s_or_b64 exec, exec, s[16:17]
	s_cmp_ge_i32 s14, s15
	s_cbranch_scc1 .LBB103_11
; %bb.5:
	s_load_dwordx2 s[18:19], s[4:5], 0x20
	s_load_dwordx2 s[6:7], s[4:5], 0x38
	;; [unrolled: 1-line block ×4, first 2 shown]
	s_load_dword s2, s[4:5], 0x0
	s_mul_i32 s13, s8, s12
	v_and_b32_e32 v0, 31, v0
	v_add_u32_e32 v1, s13, v4
	v_mad_u64_u32 v[2:3], s[4:5], s9, v1, v[0:1]
	s_mul_i32 s4, s9, s12
	s_sub_i32 s3, s22, s12
	v_add_u32_e32 v3, s4, v0
	v_mul_lo_u32 v6, s3, v4
	s_waitcnt lgkmcnt(0)
	s_cmp_eq_u32 s2, 0
	v_cmp_gt_i32_e64 s[2:3], s9, v0
	v_mad_u64_u32 v[8:9], s[4:5], s8, v3, v[4:5]
	v_or_b32_e32 v1, 32, v0
	s_cselect_b64 vcc, -1, 0
	s_and_b64 s[4:5], s[0:1], s[2:3]
	v_cmp_gt_i32_e64 s[2:3], s9, v1
	v_add_u32_e32 v3, 32, v3
	s_and_b64 s[2:3], s[0:1], s[2:3]
	v_mad_u64_u32 v[4:5], s[0:1], s8, v3, v[4:5]
	v_add_u32_e32 v3, s13, v6
	v_mad_u64_u32 v[6:7], s[0:1], s9, v3, v[0:1]
	s_ashr_i32 s13, s12, 31
	s_lshl_b64 s[0:1], s[12:13], 2
	s_add_u32 s18, s18, s0
	s_mov_b32 s24, 0
	s_addc_u32 s19, s19, s1
	v_cndmask_b32_e32 v3, v8, v2, vcc
	s_branch .LBB103_7
.LBB103_6:                              ;   in Loop: Header=BB103_7 Depth=1
	s_or_b64 exec, exec, s[20:21]
	s_add_i32 s12, s12, 1
	s_add_i32 s24, s24, s23
	s_add_u32 s18, s18, 4
	s_addc_u32 s19, s19, 0
	s_cmp_ge_i32 s12, s22
	v_add_u32_e32 v6, s9, v6
	s_cbranch_scc1 .LBB103_11
.LBB103_7:                              ; =>This Inner Loop Header: Depth=1
	s_load_dword s0, s[18:19], 0x0
	s_waitcnt lgkmcnt(0)
	s_sub_i32 s0, s0, s11
	s_mul_i32 s8, s0, s9
	s_add_i32 s8, s8, s10
	s_and_saveexec_b64 s[20:21], s[4:5]
	s_cbranch_execz .LBB103_9
; %bb.8:                                ;   in Loop: Header=BB103_7 Depth=1
	v_add_u32_e32 v8, s24, v3
	v_ashrrev_i32_e32 v9, 31, v8
	v_lshlrev_b64 v[8:9], 3, v[8:9]
	v_mov_b32_e32 v5, s17
	v_add_co_u32_e64 v8, s[0:1], s16, v8
	v_addc_co_u32_e64 v9, s[0:1], v5, v9, s[0:1]
	global_load_dwordx2 v[8:9], v[8:9], off
	v_ashrrev_i32_e32 v7, 31, v6
	v_lshlrev_b64 v[10:11], 2, v[6:7]
	v_mov_b32_e32 v12, s15
	v_add_co_u32_e64 v10, s[0:1], s14, v10
	v_add_u32_e32 v5, s8, v0
	v_addc_co_u32_e64 v11, s[0:1], v12, v11, s[0:1]
	global_store_dword v[10:11], v5, off
	v_lshlrev_b64 v[10:11], 3, v[6:7]
	v_mov_b32_e32 v5, s7
	v_add_co_u32_e64 v10, s[0:1], s6, v10
	v_addc_co_u32_e64 v11, s[0:1], v5, v11, s[0:1]
	s_waitcnt vmcnt(1)
	global_store_dwordx2 v[10:11], v[8:9], off
.LBB103_9:                              ;   in Loop: Header=BB103_7 Depth=1
	s_or_b64 exec, exec, s[20:21]
	s_and_saveexec_b64 s[20:21], s[2:3]
	s_cbranch_execz .LBB103_6
; %bb.10:                               ;   in Loop: Header=BB103_7 Depth=1
	v_add3_u32 v5, v2, s24, 32
	v_add_u32_e32 v7, s24, v4
	v_cndmask_b32_e32 v8, v7, v5, vcc
	v_ashrrev_i32_e32 v9, 31, v8
	v_lshlrev_b64 v[8:9], 3, v[8:9]
	v_mov_b32_e32 v5, s17
	v_add_co_u32_e64 v8, s[0:1], s16, v8
	v_addc_co_u32_e64 v9, s[0:1], v5, v9, s[0:1]
	global_load_dwordx2 v[8:9], v[8:9], off
	v_add_u32_e32 v10, 32, v6
	v_ashrrev_i32_e32 v11, 31, v10
	v_lshlrev_b64 v[12:13], 2, v[10:11]
	v_mov_b32_e32 v7, s15
	v_add_co_u32_e64 v12, s[0:1], s14, v12
	v_add_u32_e32 v5, s8, v1
	v_addc_co_u32_e64 v13, s[0:1], v7, v13, s[0:1]
	v_lshlrev_b64 v[10:11], 3, v[10:11]
	global_store_dword v[12:13], v5, off
	v_mov_b32_e32 v5, s7
	v_add_co_u32_e64 v10, s[0:1], s6, v10
	v_addc_co_u32_e64 v11, s[0:1], v5, v11, s[0:1]
	s_waitcnt vmcnt(1)
	global_store_dwordx2 v[10:11], v[8:9], off
	s_branch .LBB103_6
.LBB103_11:
	s_endpgm
	.section	.rodata,"a",@progbits
	.p2align	6, 0x0
	.amdhsa_kernel _ZN9rocsparseL37gebsr2csr_block_per_row_33_128_kernelILi256ELi2ELi64ELi2ELi32E21rocsparse_complex_numIfEEEv20rocsparse_direction_ii21rocsparse_index_base_PKT4_PKiS9_iiS4_PS5_PiSB_
		.amdhsa_group_segment_fixed_size 0
		.amdhsa_private_segment_fixed_size 0
		.amdhsa_kernarg_size 80
		.amdhsa_user_sgpr_count 6
		.amdhsa_user_sgpr_private_segment_buffer 1
		.amdhsa_user_sgpr_dispatch_ptr 0
		.amdhsa_user_sgpr_queue_ptr 0
		.amdhsa_user_sgpr_kernarg_segment_ptr 1
		.amdhsa_user_sgpr_dispatch_id 0
		.amdhsa_user_sgpr_flat_scratch_init 0
		.amdhsa_user_sgpr_kernarg_preload_length 0
		.amdhsa_user_sgpr_kernarg_preload_offset 0
		.amdhsa_user_sgpr_private_segment_size 0
		.amdhsa_uses_dynamic_stack 0
		.amdhsa_system_sgpr_private_segment_wavefront_offset 0
		.amdhsa_system_sgpr_workgroup_id_x 1
		.amdhsa_system_sgpr_workgroup_id_y 0
		.amdhsa_system_sgpr_workgroup_id_z 0
		.amdhsa_system_sgpr_workgroup_info 0
		.amdhsa_system_vgpr_workitem_id 0
		.amdhsa_next_free_vgpr 14
		.amdhsa_next_free_sgpr 25
		.amdhsa_accum_offset 16
		.amdhsa_reserve_vcc 1
		.amdhsa_reserve_flat_scratch 0
		.amdhsa_float_round_mode_32 0
		.amdhsa_float_round_mode_16_64 0
		.amdhsa_float_denorm_mode_32 3
		.amdhsa_float_denorm_mode_16_64 3
		.amdhsa_dx10_clamp 1
		.amdhsa_ieee_mode 1
		.amdhsa_fp16_overflow 0
		.amdhsa_tg_split 0
		.amdhsa_exception_fp_ieee_invalid_op 0
		.amdhsa_exception_fp_denorm_src 0
		.amdhsa_exception_fp_ieee_div_zero 0
		.amdhsa_exception_fp_ieee_overflow 0
		.amdhsa_exception_fp_ieee_underflow 0
		.amdhsa_exception_fp_ieee_inexact 0
		.amdhsa_exception_int_div_zero 0
	.end_amdhsa_kernel
	.section	.text._ZN9rocsparseL37gebsr2csr_block_per_row_33_128_kernelILi256ELi2ELi64ELi2ELi32E21rocsparse_complex_numIfEEEv20rocsparse_direction_ii21rocsparse_index_base_PKT4_PKiS9_iiS4_PS5_PiSB_,"axG",@progbits,_ZN9rocsparseL37gebsr2csr_block_per_row_33_128_kernelILi256ELi2ELi64ELi2ELi32E21rocsparse_complex_numIfEEEv20rocsparse_direction_ii21rocsparse_index_base_PKT4_PKiS9_iiS4_PS5_PiSB_,comdat
.Lfunc_end103:
	.size	_ZN9rocsparseL37gebsr2csr_block_per_row_33_128_kernelILi256ELi2ELi64ELi2ELi32E21rocsparse_complex_numIfEEEv20rocsparse_direction_ii21rocsparse_index_base_PKT4_PKiS9_iiS4_PS5_PiSB_, .Lfunc_end103-_ZN9rocsparseL37gebsr2csr_block_per_row_33_128_kernelILi256ELi2ELi64ELi2ELi32E21rocsparse_complex_numIfEEEv20rocsparse_direction_ii21rocsparse_index_base_PKT4_PKiS9_iiS4_PS5_PiSB_
                                        ; -- End function
	.section	.AMDGPU.csdata,"",@progbits
; Kernel info:
; codeLenInByte = 752
; NumSgprs: 29
; NumVgprs: 14
; NumAgprs: 0
; TotalNumVgprs: 14
; ScratchSize: 0
; MemoryBound: 0
; FloatMode: 240
; IeeeMode: 1
; LDSByteSize: 0 bytes/workgroup (compile time only)
; SGPRBlocks: 3
; VGPRBlocks: 1
; NumSGPRsForWavesPerEU: 29
; NumVGPRsForWavesPerEU: 14
; AccumOffset: 16
; Occupancy: 8
; WaveLimiterHint : 1
; COMPUTE_PGM_RSRC2:SCRATCH_EN: 0
; COMPUTE_PGM_RSRC2:USER_SGPR: 6
; COMPUTE_PGM_RSRC2:TRAP_HANDLER: 0
; COMPUTE_PGM_RSRC2:TGID_X_EN: 1
; COMPUTE_PGM_RSRC2:TGID_Y_EN: 0
; COMPUTE_PGM_RSRC2:TGID_Z_EN: 0
; COMPUTE_PGM_RSRC2:TIDIG_COMP_CNT: 0
; COMPUTE_PGM_RSRC3_GFX90A:ACCUM_OFFSET: 3
; COMPUTE_PGM_RSRC3_GFX90A:TG_SPLIT: 0
	.section	.text._ZN9rocsparseL37gebsr2csr_block_per_row_33_128_kernelILi256ELi2ELi128ELi2ELi32E21rocsparse_complex_numIfEEEv20rocsparse_direction_ii21rocsparse_index_base_PKT4_PKiS9_iiS4_PS5_PiSB_,"axG",@progbits,_ZN9rocsparseL37gebsr2csr_block_per_row_33_128_kernelILi256ELi2ELi128ELi2ELi32E21rocsparse_complex_numIfEEEv20rocsparse_direction_ii21rocsparse_index_base_PKT4_PKiS9_iiS4_PS5_PiSB_,comdat
	.globl	_ZN9rocsparseL37gebsr2csr_block_per_row_33_128_kernelILi256ELi2ELi128ELi2ELi32E21rocsparse_complex_numIfEEEv20rocsparse_direction_ii21rocsparse_index_base_PKT4_PKiS9_iiS4_PS5_PiSB_ ; -- Begin function _ZN9rocsparseL37gebsr2csr_block_per_row_33_128_kernelILi256ELi2ELi128ELi2ELi32E21rocsparse_complex_numIfEEEv20rocsparse_direction_ii21rocsparse_index_base_PKT4_PKiS9_iiS4_PS5_PiSB_
	.p2align	8
	.type	_ZN9rocsparseL37gebsr2csr_block_per_row_33_128_kernelILi256ELi2ELi128ELi2ELi32E21rocsparse_complex_numIfEEEv20rocsparse_direction_ii21rocsparse_index_base_PKT4_PKiS9_iiS4_PS5_PiSB_,@function
_ZN9rocsparseL37gebsr2csr_block_per_row_33_128_kernelILi256ELi2ELi128ELi2ELi32E21rocsparse_complex_numIfEEEv20rocsparse_direction_ii21rocsparse_index_base_PKT4_PKiS9_iiS4_PS5_PiSB_: ; @_ZN9rocsparseL37gebsr2csr_block_per_row_33_128_kernelILi256ELi2ELi128ELi2ELi32E21rocsparse_complex_numIfEEEv20rocsparse_direction_ii21rocsparse_index_base_PKT4_PKiS9_iiS4_PS5_PiSB_
; %bb.0:
	s_load_dwordx2 s[0:1], s[4:5], 0x18
	s_load_dwordx4 s[8:11], s[4:5], 0x28
	s_load_dwordx2 s[2:3], s[4:5], 0x40
	s_ashr_i32 s7, s6, 31
	s_lshl_b64 s[12:13], s[6:7], 2
	s_waitcnt lgkmcnt(0)
	s_add_u32 s0, s0, s12
	s_addc_u32 s1, s1, s13
	s_load_dwordx2 s[14:15], s[0:1], 0x0
	v_or_b32_e32 v1, s6, v0
	v_cmp_eq_u32_e32 vcc, 0, v1
	s_and_saveexec_b64 s[0:1], vcc
	s_cbranch_execz .LBB104_2
; %bb.1:
	v_mov_b32_e32 v1, 0
	v_mov_b32_e32 v2, s10
	global_store_dword v1, v2, s[2:3]
.LBB104_2:
	s_or_b64 exec, exec, s[0:1]
	s_load_dword s11, s[4:5], 0xc
	v_lshrrev_b32_e32 v1, 5, v0
	v_cmp_gt_i32_e64 s[0:1], s8, v1
	s_mul_i32 s27, s9, s8
	s_waitcnt lgkmcnt(0)
	s_sub_i32 s12, s14, s11
	s_sub_i32 s26, s15, s11
	s_and_saveexec_b64 s[16:17], s[0:1]
	s_cbranch_execz .LBB104_4
; %bb.3:
	s_mul_i32 s7, s27, s12
	s_sub_i32 s13, s26, s12
	s_mul_i32 s13, s13, s9
	s_add_i32 s7, s7, s10
	v_mul_lo_u32 v2, s13, v1
	s_add_i32 s7, s7, s13
	s_mul_i32 s6, s6, s8
	v_add_u32_e32 v4, s7, v2
	v_add_u32_e32 v2, s6, v1
	v_ashrrev_i32_e32 v3, 31, v2
	v_lshlrev_b64 v[2:3], 2, v[2:3]
	v_mov_b32_e32 v5, s3
	v_add_co_u32_e32 v2, vcc, s2, v2
	v_addc_co_u32_e32 v3, vcc, v5, v3, vcc
	global_store_dword v[2:3], v4, off offset:4
.LBB104_4:
	s_or_b64 exec, exec, s[16:17]
	s_cmp_ge_i32 s14, s15
	s_cbranch_scc1 .LBB104_15
; %bb.5:
	s_load_dwordx2 s[22:23], s[4:5], 0x20
	s_load_dwordx2 s[6:7], s[4:5], 0x38
	;; [unrolled: 1-line block ×3, first 2 shown]
	s_load_dword s2, s[4:5], 0x0
	s_load_dwordx2 s[16:17], s[4:5], 0x48
	v_and_b32_e32 v0, 31, v0
	s_sub_i32 s3, s26, s12
	v_mul_lo_u32 v10, s3, v1
	s_waitcnt lgkmcnt(0)
	s_cmp_eq_u32 s2, 0
	v_cmp_gt_i32_e64 s[2:3], s9, v0
	v_or_b32_e32 v2, 32, v0
	s_cselect_b64 vcc, -1, 0
	s_and_b64 s[4:5], s[0:1], s[2:3]
	v_cmp_gt_i32_e64 s[2:3], s9, v2
	v_or_b32_e32 v3, 64, v0
	s_and_b64 s[18:19], s[0:1], s[2:3]
	v_cmp_gt_i32_e64 s[2:3], s9, v3
	v_or_b32_e32 v4, 0x60, v0
	s_and_b64 s[20:21], s[0:1], s[2:3]
	v_cmp_gt_i32_e64 s[2:3], s9, v4
	s_and_b64 s[2:3], s[0:1], s[2:3]
	s_mul_i32 s0, s8, s12
	s_mul_i32 s1, s9, s12
	s_ashr_i32 s13, s12, 31
	v_add_u32_e32 v5, s0, v1
	v_add_u32_e32 v9, s1, v0
	v_add_u32_e32 v10, s0, v10
	s_lshl_b64 s[0:1], s[12:13], 2
	v_add_u32_e32 v6, 0x60, v9
	v_add_u32_e32 v7, 64, v9
	v_add_u32_e32 v8, 32, v9
	s_add_u32 s22, s22, s0
	s_movk_i32 s28, 0x60
	v_mul_lo_u32 v5, s9, v5
	v_mul_lo_u32 v6, s8, v6
	;; [unrolled: 1-line block ×6, first 2 shown]
	s_addc_u32 s23, s23, s1
	s_branch .LBB104_7
.LBB104_6:                              ;   in Loop: Header=BB104_7 Depth=1
	s_or_b64 exec, exec, s[24:25]
	s_add_i32 s12, s12, 1
	s_add_u32 s22, s22, 4
	s_addc_u32 s23, s23, 0
	v_add_u32_e32 v5, s27, v5
	v_add_u32_e32 v1, s27, v1
	s_cmp_ge_i32 s12, s26
	v_add_u32_e32 v10, s9, v10
	s_cbranch_scc1 .LBB104_15
.LBB104_7:                              ; =>This Inner Loop Header: Depth=1
	s_load_dword s0, s[22:23], 0x0
	s_waitcnt lgkmcnt(0)
	s_sub_i32 s0, s0, s11
	s_mul_i32 s8, s0, s9
	s_add_i32 s8, s8, s10
	s_and_saveexec_b64 s[24:25], s[4:5]
	s_cbranch_execnz .LBB104_11
; %bb.8:                                ;   in Loop: Header=BB104_7 Depth=1
	s_or_b64 exec, exec, s[24:25]
	s_and_saveexec_b64 s[24:25], s[18:19]
	s_cbranch_execnz .LBB104_12
.LBB104_9:                              ;   in Loop: Header=BB104_7 Depth=1
	s_or_b64 exec, exec, s[24:25]
	s_and_saveexec_b64 s[24:25], s[20:21]
	s_cbranch_execnz .LBB104_13
.LBB104_10:                             ;   in Loop: Header=BB104_7 Depth=1
	s_or_b64 exec, exec, s[24:25]
	s_and_saveexec_b64 s[24:25], s[2:3]
	s_cbranch_execz .LBB104_6
	s_branch .LBB104_14
.LBB104_11:                             ;   in Loop: Header=BB104_7 Depth=1
	v_add_u32_e32 v11, v0, v5
	v_add_u32_e32 v12, v9, v1
	v_cndmask_b32_e32 v12, v12, v11, vcc
	v_ashrrev_i32_e32 v13, 31, v12
	v_lshlrev_b64 v[12:13], 3, v[12:13]
	v_mov_b32_e32 v11, s15
	v_add_co_u32_e64 v12, s[0:1], s14, v12
	v_addc_co_u32_e64 v13, s[0:1], v11, v13, s[0:1]
	global_load_dwordx2 v[12:13], v[12:13], off
	v_add_u32_e32 v14, v0, v10
	v_ashrrev_i32_e32 v15, 31, v14
	v_lshlrev_b64 v[16:17], 2, v[14:15]
	v_mov_b32_e32 v18, s17
	v_add_co_u32_e64 v16, s[0:1], s16, v16
	v_add_u32_e32 v11, s8, v0
	v_addc_co_u32_e64 v17, s[0:1], v18, v17, s[0:1]
	v_lshlrev_b64 v[14:15], 3, v[14:15]
	global_store_dword v[16:17], v11, off
	v_mov_b32_e32 v11, s7
	v_add_co_u32_e64 v14, s[0:1], s6, v14
	v_addc_co_u32_e64 v15, s[0:1], v11, v15, s[0:1]
	s_waitcnt vmcnt(1)
	global_store_dwordx2 v[14:15], v[12:13], off
	s_or_b64 exec, exec, s[24:25]
	s_and_saveexec_b64 s[24:25], s[18:19]
	s_cbranch_execz .LBB104_9
.LBB104_12:                             ;   in Loop: Header=BB104_7 Depth=1
	v_add3_u32 v11, v0, v5, 32
	v_add_u32_e32 v12, v8, v1
	v_cndmask_b32_e32 v12, v12, v11, vcc
	v_ashrrev_i32_e32 v13, 31, v12
	v_lshlrev_b64 v[12:13], 3, v[12:13]
	v_mov_b32_e32 v11, s15
	v_add_co_u32_e64 v12, s[0:1], s14, v12
	v_addc_co_u32_e64 v13, s[0:1], v11, v13, s[0:1]
	global_load_dwordx2 v[12:13], v[12:13], off
	v_add3_u32 v14, v0, v10, 32
	v_ashrrev_i32_e32 v15, 31, v14
	v_lshlrev_b64 v[16:17], 2, v[14:15]
	v_mov_b32_e32 v18, s17
	v_add_co_u32_e64 v16, s[0:1], s16, v16
	v_add_u32_e32 v11, s8, v2
	v_addc_co_u32_e64 v17, s[0:1], v18, v17, s[0:1]
	v_lshlrev_b64 v[14:15], 3, v[14:15]
	global_store_dword v[16:17], v11, off
	v_mov_b32_e32 v11, s7
	v_add_co_u32_e64 v14, s[0:1], s6, v14
	v_addc_co_u32_e64 v15, s[0:1], v11, v15, s[0:1]
	s_waitcnt vmcnt(1)
	global_store_dwordx2 v[14:15], v[12:13], off
	s_or_b64 exec, exec, s[24:25]
	s_and_saveexec_b64 s[24:25], s[20:21]
	s_cbranch_execz .LBB104_10
.LBB104_13:                             ;   in Loop: Header=BB104_7 Depth=1
	v_add3_u32 v11, v0, v5, 64
	v_add_u32_e32 v12, v7, v1
	v_cndmask_b32_e32 v12, v12, v11, vcc
	v_ashrrev_i32_e32 v13, 31, v12
	v_lshlrev_b64 v[12:13], 3, v[12:13]
	v_mov_b32_e32 v11, s15
	v_add_co_u32_e64 v12, s[0:1], s14, v12
	v_addc_co_u32_e64 v13, s[0:1], v11, v13, s[0:1]
	global_load_dwordx2 v[12:13], v[12:13], off
	v_add3_u32 v14, v0, v10, 64
	v_ashrrev_i32_e32 v15, 31, v14
	v_lshlrev_b64 v[16:17], 2, v[14:15]
	v_mov_b32_e32 v18, s17
	v_add_co_u32_e64 v16, s[0:1], s16, v16
	v_add_u32_e32 v11, s8, v3
	v_addc_co_u32_e64 v17, s[0:1], v18, v17, s[0:1]
	v_lshlrev_b64 v[14:15], 3, v[14:15]
	global_store_dword v[16:17], v11, off
	v_mov_b32_e32 v11, s7
	v_add_co_u32_e64 v14, s[0:1], s6, v14
	v_addc_co_u32_e64 v15, s[0:1], v11, v15, s[0:1]
	s_waitcnt vmcnt(1)
	global_store_dwordx2 v[14:15], v[12:13], off
	s_or_b64 exec, exec, s[24:25]
	s_and_saveexec_b64 s[24:25], s[2:3]
	s_cbranch_execz .LBB104_6
.LBB104_14:                             ;   in Loop: Header=BB104_7 Depth=1
	v_add3_u32 v11, v0, v5, s28
	v_add_u32_e32 v12, v6, v1
	v_cndmask_b32_e32 v12, v12, v11, vcc
	v_ashrrev_i32_e32 v13, 31, v12
	v_lshlrev_b64 v[12:13], 3, v[12:13]
	v_mov_b32_e32 v11, s15
	v_add_co_u32_e64 v12, s[0:1], s14, v12
	v_addc_co_u32_e64 v13, s[0:1], v11, v13, s[0:1]
	global_load_dwordx2 v[12:13], v[12:13], off
	v_add3_u32 v14, v0, v10, s28
	v_ashrrev_i32_e32 v15, 31, v14
	v_lshlrev_b64 v[16:17], 2, v[14:15]
	v_mov_b32_e32 v18, s17
	v_add_co_u32_e64 v16, s[0:1], s16, v16
	v_add_u32_e32 v11, s8, v4
	v_addc_co_u32_e64 v17, s[0:1], v18, v17, s[0:1]
	v_lshlrev_b64 v[14:15], 3, v[14:15]
	global_store_dword v[16:17], v11, off
	v_mov_b32_e32 v11, s7
	v_add_co_u32_e64 v14, s[0:1], s6, v14
	v_addc_co_u32_e64 v15, s[0:1], v11, v15, s[0:1]
	s_waitcnt vmcnt(1)
	global_store_dwordx2 v[14:15], v[12:13], off
	s_branch .LBB104_6
.LBB104_15:
	s_endpgm
	.section	.rodata,"a",@progbits
	.p2align	6, 0x0
	.amdhsa_kernel _ZN9rocsparseL37gebsr2csr_block_per_row_33_128_kernelILi256ELi2ELi128ELi2ELi32E21rocsparse_complex_numIfEEEv20rocsparse_direction_ii21rocsparse_index_base_PKT4_PKiS9_iiS4_PS5_PiSB_
		.amdhsa_group_segment_fixed_size 0
		.amdhsa_private_segment_fixed_size 0
		.amdhsa_kernarg_size 80
		.amdhsa_user_sgpr_count 6
		.amdhsa_user_sgpr_private_segment_buffer 1
		.amdhsa_user_sgpr_dispatch_ptr 0
		.amdhsa_user_sgpr_queue_ptr 0
		.amdhsa_user_sgpr_kernarg_segment_ptr 1
		.amdhsa_user_sgpr_dispatch_id 0
		.amdhsa_user_sgpr_flat_scratch_init 0
		.amdhsa_user_sgpr_kernarg_preload_length 0
		.amdhsa_user_sgpr_kernarg_preload_offset 0
		.amdhsa_user_sgpr_private_segment_size 0
		.amdhsa_uses_dynamic_stack 0
		.amdhsa_system_sgpr_private_segment_wavefront_offset 0
		.amdhsa_system_sgpr_workgroup_id_x 1
		.amdhsa_system_sgpr_workgroup_id_y 0
		.amdhsa_system_sgpr_workgroup_id_z 0
		.amdhsa_system_sgpr_workgroup_info 0
		.amdhsa_system_vgpr_workitem_id 0
		.amdhsa_next_free_vgpr 19
		.amdhsa_next_free_sgpr 29
		.amdhsa_accum_offset 20
		.amdhsa_reserve_vcc 1
		.amdhsa_reserve_flat_scratch 0
		.amdhsa_float_round_mode_32 0
		.amdhsa_float_round_mode_16_64 0
		.amdhsa_float_denorm_mode_32 3
		.amdhsa_float_denorm_mode_16_64 3
		.amdhsa_dx10_clamp 1
		.amdhsa_ieee_mode 1
		.amdhsa_fp16_overflow 0
		.amdhsa_tg_split 0
		.amdhsa_exception_fp_ieee_invalid_op 0
		.amdhsa_exception_fp_denorm_src 0
		.amdhsa_exception_fp_ieee_div_zero 0
		.amdhsa_exception_fp_ieee_overflow 0
		.amdhsa_exception_fp_ieee_underflow 0
		.amdhsa_exception_fp_ieee_inexact 0
		.amdhsa_exception_int_div_zero 0
	.end_amdhsa_kernel
	.section	.text._ZN9rocsparseL37gebsr2csr_block_per_row_33_128_kernelILi256ELi2ELi128ELi2ELi32E21rocsparse_complex_numIfEEEv20rocsparse_direction_ii21rocsparse_index_base_PKT4_PKiS9_iiS4_PS5_PiSB_,"axG",@progbits,_ZN9rocsparseL37gebsr2csr_block_per_row_33_128_kernelILi256ELi2ELi128ELi2ELi32E21rocsparse_complex_numIfEEEv20rocsparse_direction_ii21rocsparse_index_base_PKT4_PKiS9_iiS4_PS5_PiSB_,comdat
.Lfunc_end104:
	.size	_ZN9rocsparseL37gebsr2csr_block_per_row_33_128_kernelILi256ELi2ELi128ELi2ELi32E21rocsparse_complex_numIfEEEv20rocsparse_direction_ii21rocsparse_index_base_PKT4_PKiS9_iiS4_PS5_PiSB_, .Lfunc_end104-_ZN9rocsparseL37gebsr2csr_block_per_row_33_128_kernelILi256ELi2ELi128ELi2ELi32E21rocsparse_complex_numIfEEEv20rocsparse_direction_ii21rocsparse_index_base_PKT4_PKiS9_iiS4_PS5_PiSB_
                                        ; -- End function
	.section	.AMDGPU.csdata,"",@progbits
; Kernel info:
; codeLenInByte = 1192
; NumSgprs: 33
; NumVgprs: 19
; NumAgprs: 0
; TotalNumVgprs: 19
; ScratchSize: 0
; MemoryBound: 0
; FloatMode: 240
; IeeeMode: 1
; LDSByteSize: 0 bytes/workgroup (compile time only)
; SGPRBlocks: 4
; VGPRBlocks: 2
; NumSGPRsForWavesPerEU: 33
; NumVGPRsForWavesPerEU: 19
; AccumOffset: 20
; Occupancy: 8
; WaveLimiterHint : 1
; COMPUTE_PGM_RSRC2:SCRATCH_EN: 0
; COMPUTE_PGM_RSRC2:USER_SGPR: 6
; COMPUTE_PGM_RSRC2:TRAP_HANDLER: 0
; COMPUTE_PGM_RSRC2:TGID_X_EN: 1
; COMPUTE_PGM_RSRC2:TGID_Y_EN: 0
; COMPUTE_PGM_RSRC2:TGID_Z_EN: 0
; COMPUTE_PGM_RSRC2:TIDIG_COMP_CNT: 0
; COMPUTE_PGM_RSRC3_GFX90A:ACCUM_OFFSET: 4
; COMPUTE_PGM_RSRC3_GFX90A:TG_SPLIT: 0
	.section	.text._ZN9rocsparseL35gebsr2csr_block_per_row_1_32_kernelILi256ELi4ELi2E21rocsparse_complex_numIfEEEv20rocsparse_direction_ii21rocsparse_index_base_PKT2_PKiS9_iiS4_PS5_PiSB_,"axG",@progbits,_ZN9rocsparseL35gebsr2csr_block_per_row_1_32_kernelILi256ELi4ELi2E21rocsparse_complex_numIfEEEv20rocsparse_direction_ii21rocsparse_index_base_PKT2_PKiS9_iiS4_PS5_PiSB_,comdat
	.globl	_ZN9rocsparseL35gebsr2csr_block_per_row_1_32_kernelILi256ELi4ELi2E21rocsparse_complex_numIfEEEv20rocsparse_direction_ii21rocsparse_index_base_PKT2_PKiS9_iiS4_PS5_PiSB_ ; -- Begin function _ZN9rocsparseL35gebsr2csr_block_per_row_1_32_kernelILi256ELi4ELi2E21rocsparse_complex_numIfEEEv20rocsparse_direction_ii21rocsparse_index_base_PKT2_PKiS9_iiS4_PS5_PiSB_
	.p2align	8
	.type	_ZN9rocsparseL35gebsr2csr_block_per_row_1_32_kernelILi256ELi4ELi2E21rocsparse_complex_numIfEEEv20rocsparse_direction_ii21rocsparse_index_base_PKT2_PKiS9_iiS4_PS5_PiSB_,@function
_ZN9rocsparseL35gebsr2csr_block_per_row_1_32_kernelILi256ELi4ELi2E21rocsparse_complex_numIfEEEv20rocsparse_direction_ii21rocsparse_index_base_PKT2_PKiS9_iiS4_PS5_PiSB_: ; @_ZN9rocsparseL35gebsr2csr_block_per_row_1_32_kernelILi256ELi4ELi2E21rocsparse_complex_numIfEEEv20rocsparse_direction_ii21rocsparse_index_base_PKT2_PKiS9_iiS4_PS5_PiSB_
; %bb.0:
	s_load_dwordx2 s[0:1], s[4:5], 0x18
	s_load_dwordx4 s[8:11], s[4:5], 0x28
	s_load_dwordx2 s[2:3], s[4:5], 0x40
	s_ashr_i32 s7, s6, 31
	s_lshl_b64 s[12:13], s[6:7], 2
	s_waitcnt lgkmcnt(0)
	s_add_u32 s12, s0, s12
	v_or_b32_e32 v1, s6, v0
	s_addc_u32 s13, s1, s13
	v_cmp_eq_u32_e32 vcc, 0, v1
	s_and_saveexec_b64 s[0:1], vcc
	s_cbranch_execz .LBB105_2
; %bb.1:
	v_mov_b32_e32 v1, 0
	v_mov_b32_e32 v2, s10
	global_store_dword v1, v2, s[2:3]
.LBB105_2:
	s_or_b64 exec, exec, s[0:1]
	v_and_b32_e32 v6, 1, v0
	v_bfe_u32 v8, v0, 1, 2
	v_cmp_gt_i32_e32 vcc, s8, v8
	v_cmp_gt_i32_e64 s[0:1], s9, v6
	s_and_b64 s[0:1], vcc, s[0:1]
	s_and_saveexec_b64 s[14:15], s[0:1]
	s_cbranch_execz .LBB105_6
; %bb.3:
	s_load_dwordx2 s[14:15], s[12:13], 0x0
	s_load_dword s11, s[4:5], 0xc
	s_mul_i32 s6, s6, s8
	v_add_u32_e32 v2, s6, v8
	s_mul_i32 s1, s9, s8
	v_ashrrev_i32_e32 v3, 31, v2
	s_waitcnt lgkmcnt(0)
	s_sub_i32 s0, s14, s11
	s_sub_i32 s14, s15, s11
	;; [unrolled: 1-line block ×3, first 2 shown]
	s_mul_i32 s12, s15, s9
	v_lshrrev_b32_e32 v1, 3, v0
	s_mul_i32 s7, s0, s1
	v_mul_lo_u32 v0, s12, v8
	s_add_i32 s12, s12, s10
	v_lshlrev_b64 v[2:3], 2, v[2:3]
	s_add_i32 s12, s12, s7
	v_mov_b32_e32 v4, s3
	v_add_co_u32_e32 v2, vcc, s2, v2
	v_add_u32_e32 v0, s12, v0
	v_addc_co_u32_e32 v3, vcc, v4, v3, vcc
	global_store_dword v[2:3], v0, off offset:4
	v_add_u32_e32 v0, s0, v1
	v_cmp_gt_i32_e32 vcc, s14, v0
	s_and_b64 exec, exec, vcc
	s_cbranch_execz .LBB105_6
; %bb.4:
	s_load_dwordx2 s[16:17], s[4:5], 0x20
	s_load_dwordx2 s[2:3], s[4:5], 0x38
	s_load_dword s18, s[4:5], 0x0
	s_load_dwordx2 s[6:7], s[4:5], 0x10
	s_load_dwordx2 s[12:13], s[4:5], 0x48
	v_mad_u64_u32 v[4:5], s[4:5], v6, s8, v[8:9]
	s_waitcnt lgkmcnt(0)
	s_cmp_eq_u32 s18, 0
	v_mad_u64_u32 v[10:11], s[4:5], v8, s9, v[6:7]
	s_cselect_b64 vcc, -1, 0
	s_mul_i32 s0, s8, s0
	v_mul_lo_u32 v3, s15, v8
	v_cndmask_b32_e32 v4, v4, v10, vcc
	v_add3_u32 v1, v1, s0, v3
	v_add_u32_e32 v2, s10, v6
	v_mad_u64_u32 v[4:5], s[4:5], s1, v0, v[4:5]
	s_lshl_b32 s10, s1, 5
	v_mad_u64_u32 v[6:7], s[0:1], s9, v1, v[6:7]
	v_ashrrev_i32_e32 v1, 31, v0
	v_lshlrev_b64 v[8:9], 2, v[0:1]
	v_mov_b32_e32 v1, s17
	v_add_co_u32_e32 v8, vcc, s16, v8
	s_lshl_b32 s8, s9, 5
	v_addc_co_u32_e32 v9, vcc, v1, v9, vcc
	s_mov_b64 s[4:5], 0
	v_mov_b32_e32 v1, s13
	v_mov_b32_e32 v3, s7
	;; [unrolled: 1-line block ×3, first 2 shown]
.LBB105_5:                              ; =>This Inner Loop Header: Depth=1
	v_ashrrev_i32_e32 v5, 31, v4
	global_load_dword v11, v[8:9], off
	v_lshlrev_b64 v[12:13], 3, v[4:5]
	v_add_co_u32_e32 v12, vcc, s6, v12
	v_addc_co_u32_e32 v13, vcc, v3, v13, vcc
	global_load_dwordx2 v[12:13], v[12:13], off
	v_ashrrev_i32_e32 v7, 31, v6
	v_lshlrev_b64 v[14:15], 2, v[6:7]
	v_add_co_u32_e32 v8, vcc, 0x80, v8
	v_add_co_u32_e64 v14, s[0:1], s12, v14
	v_add_u32_e32 v0, 32, v0
	v_lshlrev_b64 v[16:17], 3, v[6:7]
	v_addc_co_u32_e32 v9, vcc, 0, v9, vcc
	v_addc_co_u32_e64 v15, s[0:1], v1, v15, s[0:1]
	v_cmp_le_i32_e32 vcc, s14, v0
	v_add_co_u32_e64 v16, s[0:1], s2, v16
	v_add_u32_e32 v4, s10, v4
	v_add_u32_e32 v6, s8, v6
	v_addc_co_u32_e64 v17, s[0:1], v10, v17, s[0:1]
	s_or_b64 s[4:5], vcc, s[4:5]
	s_waitcnt vmcnt(1)
	v_subrev_u32_e32 v5, s11, v11
	v_mad_u64_u32 v[18:19], s[0:1], v5, s9, v[2:3]
	global_store_dword v[14:15], v18, off
	s_waitcnt vmcnt(1)
	global_store_dwordx2 v[16:17], v[12:13], off
	s_andn2_b64 exec, exec, s[4:5]
	s_cbranch_execnz .LBB105_5
.LBB105_6:
	s_endpgm
	.section	.rodata,"a",@progbits
	.p2align	6, 0x0
	.amdhsa_kernel _ZN9rocsparseL35gebsr2csr_block_per_row_1_32_kernelILi256ELi4ELi2E21rocsparse_complex_numIfEEEv20rocsparse_direction_ii21rocsparse_index_base_PKT2_PKiS9_iiS4_PS5_PiSB_
		.amdhsa_group_segment_fixed_size 0
		.amdhsa_private_segment_fixed_size 0
		.amdhsa_kernarg_size 80
		.amdhsa_user_sgpr_count 6
		.amdhsa_user_sgpr_private_segment_buffer 1
		.amdhsa_user_sgpr_dispatch_ptr 0
		.amdhsa_user_sgpr_queue_ptr 0
		.amdhsa_user_sgpr_kernarg_segment_ptr 1
		.amdhsa_user_sgpr_dispatch_id 0
		.amdhsa_user_sgpr_flat_scratch_init 0
		.amdhsa_user_sgpr_kernarg_preload_length 0
		.amdhsa_user_sgpr_kernarg_preload_offset 0
		.amdhsa_user_sgpr_private_segment_size 0
		.amdhsa_uses_dynamic_stack 0
		.amdhsa_system_sgpr_private_segment_wavefront_offset 0
		.amdhsa_system_sgpr_workgroup_id_x 1
		.amdhsa_system_sgpr_workgroup_id_y 0
		.amdhsa_system_sgpr_workgroup_id_z 0
		.amdhsa_system_sgpr_workgroup_info 0
		.amdhsa_system_vgpr_workitem_id 0
		.amdhsa_next_free_vgpr 20
		.amdhsa_next_free_sgpr 19
		.amdhsa_accum_offset 20
		.amdhsa_reserve_vcc 1
		.amdhsa_reserve_flat_scratch 0
		.amdhsa_float_round_mode_32 0
		.amdhsa_float_round_mode_16_64 0
		.amdhsa_float_denorm_mode_32 3
		.amdhsa_float_denorm_mode_16_64 3
		.amdhsa_dx10_clamp 1
		.amdhsa_ieee_mode 1
		.amdhsa_fp16_overflow 0
		.amdhsa_tg_split 0
		.amdhsa_exception_fp_ieee_invalid_op 0
		.amdhsa_exception_fp_denorm_src 0
		.amdhsa_exception_fp_ieee_div_zero 0
		.amdhsa_exception_fp_ieee_overflow 0
		.amdhsa_exception_fp_ieee_underflow 0
		.amdhsa_exception_fp_ieee_inexact 0
		.amdhsa_exception_int_div_zero 0
	.end_amdhsa_kernel
	.section	.text._ZN9rocsparseL35gebsr2csr_block_per_row_1_32_kernelILi256ELi4ELi2E21rocsparse_complex_numIfEEEv20rocsparse_direction_ii21rocsparse_index_base_PKT2_PKiS9_iiS4_PS5_PiSB_,"axG",@progbits,_ZN9rocsparseL35gebsr2csr_block_per_row_1_32_kernelILi256ELi4ELi2E21rocsparse_complex_numIfEEEv20rocsparse_direction_ii21rocsparse_index_base_PKT2_PKiS9_iiS4_PS5_PiSB_,comdat
.Lfunc_end105:
	.size	_ZN9rocsparseL35gebsr2csr_block_per_row_1_32_kernelILi256ELi4ELi2E21rocsparse_complex_numIfEEEv20rocsparse_direction_ii21rocsparse_index_base_PKT2_PKiS9_iiS4_PS5_PiSB_, .Lfunc_end105-_ZN9rocsparseL35gebsr2csr_block_per_row_1_32_kernelILi256ELi4ELi2E21rocsparse_complex_numIfEEEv20rocsparse_direction_ii21rocsparse_index_base_PKT2_PKiS9_iiS4_PS5_PiSB_
                                        ; -- End function
	.section	.AMDGPU.csdata,"",@progbits
; Kernel info:
; codeLenInByte = 568
; NumSgprs: 23
; NumVgprs: 20
; NumAgprs: 0
; TotalNumVgprs: 20
; ScratchSize: 0
; MemoryBound: 0
; FloatMode: 240
; IeeeMode: 1
; LDSByteSize: 0 bytes/workgroup (compile time only)
; SGPRBlocks: 2
; VGPRBlocks: 2
; NumSGPRsForWavesPerEU: 23
; NumVGPRsForWavesPerEU: 20
; AccumOffset: 20
; Occupancy: 8
; WaveLimiterHint : 0
; COMPUTE_PGM_RSRC2:SCRATCH_EN: 0
; COMPUTE_PGM_RSRC2:USER_SGPR: 6
; COMPUTE_PGM_RSRC2:TRAP_HANDLER: 0
; COMPUTE_PGM_RSRC2:TGID_X_EN: 1
; COMPUTE_PGM_RSRC2:TGID_Y_EN: 0
; COMPUTE_PGM_RSRC2:TGID_Z_EN: 0
; COMPUTE_PGM_RSRC2:TIDIG_COMP_CNT: 0
; COMPUTE_PGM_RSRC3_GFX90A:ACCUM_OFFSET: 4
; COMPUTE_PGM_RSRC3_GFX90A:TG_SPLIT: 0
	.section	.text._ZN9rocsparseL35gebsr2csr_block_per_row_1_32_kernelILi256ELi4ELi4E21rocsparse_complex_numIfEEEv20rocsparse_direction_ii21rocsparse_index_base_PKT2_PKiS9_iiS4_PS5_PiSB_,"axG",@progbits,_ZN9rocsparseL35gebsr2csr_block_per_row_1_32_kernelILi256ELi4ELi4E21rocsparse_complex_numIfEEEv20rocsparse_direction_ii21rocsparse_index_base_PKT2_PKiS9_iiS4_PS5_PiSB_,comdat
	.globl	_ZN9rocsparseL35gebsr2csr_block_per_row_1_32_kernelILi256ELi4ELi4E21rocsparse_complex_numIfEEEv20rocsparse_direction_ii21rocsparse_index_base_PKT2_PKiS9_iiS4_PS5_PiSB_ ; -- Begin function _ZN9rocsparseL35gebsr2csr_block_per_row_1_32_kernelILi256ELi4ELi4E21rocsparse_complex_numIfEEEv20rocsparse_direction_ii21rocsparse_index_base_PKT2_PKiS9_iiS4_PS5_PiSB_
	.p2align	8
	.type	_ZN9rocsparseL35gebsr2csr_block_per_row_1_32_kernelILi256ELi4ELi4E21rocsparse_complex_numIfEEEv20rocsparse_direction_ii21rocsparse_index_base_PKT2_PKiS9_iiS4_PS5_PiSB_,@function
_ZN9rocsparseL35gebsr2csr_block_per_row_1_32_kernelILi256ELi4ELi4E21rocsparse_complex_numIfEEEv20rocsparse_direction_ii21rocsparse_index_base_PKT2_PKiS9_iiS4_PS5_PiSB_: ; @_ZN9rocsparseL35gebsr2csr_block_per_row_1_32_kernelILi256ELi4ELi4E21rocsparse_complex_numIfEEEv20rocsparse_direction_ii21rocsparse_index_base_PKT2_PKiS9_iiS4_PS5_PiSB_
; %bb.0:
	s_load_dwordx2 s[0:1], s[4:5], 0x18
	s_load_dwordx4 s[8:11], s[4:5], 0x28
	s_load_dwordx2 s[2:3], s[4:5], 0x40
	s_ashr_i32 s7, s6, 31
	s_lshl_b64 s[12:13], s[6:7], 2
	s_waitcnt lgkmcnt(0)
	s_add_u32 s12, s0, s12
	v_or_b32_e32 v1, s6, v0
	s_addc_u32 s13, s1, s13
	v_cmp_eq_u32_e32 vcc, 0, v1
	s_and_saveexec_b64 s[0:1], vcc
	s_cbranch_execz .LBB106_2
; %bb.1:
	v_mov_b32_e32 v1, 0
	v_mov_b32_e32 v2, s10
	global_store_dword v1, v2, s[2:3]
.LBB106_2:
	s_or_b64 exec, exec, s[0:1]
	v_and_b32_e32 v6, 3, v0
	v_bfe_u32 v8, v0, 2, 2
	v_cmp_gt_i32_e32 vcc, s8, v8
	v_cmp_gt_i32_e64 s[0:1], s9, v6
	s_and_b64 s[0:1], vcc, s[0:1]
	s_and_saveexec_b64 s[14:15], s[0:1]
	s_cbranch_execz .LBB106_6
; %bb.3:
	s_load_dwordx2 s[14:15], s[12:13], 0x0
	s_load_dword s11, s[4:5], 0xc
	s_mul_i32 s6, s6, s8
	v_add_u32_e32 v2, s6, v8
	s_mul_i32 s1, s9, s8
	v_ashrrev_i32_e32 v3, 31, v2
	s_waitcnt lgkmcnt(0)
	s_sub_i32 s0, s14, s11
	s_sub_i32 s14, s15, s11
	;; [unrolled: 1-line block ×3, first 2 shown]
	s_mul_i32 s12, s15, s9
	v_lshrrev_b32_e32 v1, 4, v0
	s_mul_i32 s7, s0, s1
	v_mul_lo_u32 v0, s12, v8
	s_add_i32 s12, s12, s10
	v_lshlrev_b64 v[2:3], 2, v[2:3]
	s_add_i32 s12, s12, s7
	v_mov_b32_e32 v4, s3
	v_add_co_u32_e32 v2, vcc, s2, v2
	v_add_u32_e32 v0, s12, v0
	v_addc_co_u32_e32 v3, vcc, v4, v3, vcc
	global_store_dword v[2:3], v0, off offset:4
	v_add_u32_e32 v0, s0, v1
	v_cmp_gt_i32_e32 vcc, s14, v0
	s_and_b64 exec, exec, vcc
	s_cbranch_execz .LBB106_6
; %bb.4:
	s_load_dwordx2 s[16:17], s[4:5], 0x20
	s_load_dwordx2 s[2:3], s[4:5], 0x38
	s_load_dword s18, s[4:5], 0x0
	s_load_dwordx2 s[6:7], s[4:5], 0x10
	s_load_dwordx2 s[12:13], s[4:5], 0x48
	v_mad_u64_u32 v[4:5], s[4:5], v6, s8, v[8:9]
	s_waitcnt lgkmcnt(0)
	s_cmp_eq_u32 s18, 0
	v_mad_u64_u32 v[10:11], s[4:5], v8, s9, v[6:7]
	s_cselect_b64 vcc, -1, 0
	s_mul_i32 s0, s8, s0
	v_mul_lo_u32 v3, s15, v8
	v_cndmask_b32_e32 v4, v4, v10, vcc
	v_add3_u32 v1, v1, s0, v3
	v_add_u32_e32 v2, s10, v6
	v_mad_u64_u32 v[4:5], s[4:5], s1, v0, v[4:5]
	s_lshl_b32 s10, s1, 4
	v_mad_u64_u32 v[6:7], s[0:1], s9, v1, v[6:7]
	v_ashrrev_i32_e32 v1, 31, v0
	v_lshlrev_b64 v[8:9], 2, v[0:1]
	v_mov_b32_e32 v1, s17
	v_add_co_u32_e32 v8, vcc, s16, v8
	s_lshl_b32 s8, s9, 4
	v_addc_co_u32_e32 v9, vcc, v1, v9, vcc
	s_mov_b64 s[4:5], 0
	v_mov_b32_e32 v1, s13
	v_mov_b32_e32 v3, s7
	;; [unrolled: 1-line block ×3, first 2 shown]
.LBB106_5:                              ; =>This Inner Loop Header: Depth=1
	v_ashrrev_i32_e32 v5, 31, v4
	global_load_dword v11, v[8:9], off
	v_lshlrev_b64 v[12:13], 3, v[4:5]
	v_add_co_u32_e32 v12, vcc, s6, v12
	v_addc_co_u32_e32 v13, vcc, v3, v13, vcc
	global_load_dwordx2 v[12:13], v[12:13], off
	v_ashrrev_i32_e32 v7, 31, v6
	v_lshlrev_b64 v[14:15], 2, v[6:7]
	v_add_co_u32_e32 v8, vcc, 64, v8
	v_add_co_u32_e64 v14, s[0:1], s12, v14
	v_add_u32_e32 v0, 16, v0
	v_addc_co_u32_e32 v9, vcc, 0, v9, vcc
	v_lshlrev_b64 v[16:17], 3, v[6:7]
	v_addc_co_u32_e64 v15, s[0:1], v1, v15, s[0:1]
	v_cmp_le_i32_e32 vcc, s14, v0
	v_add_co_u32_e64 v16, s[0:1], s2, v16
	v_add_u32_e32 v4, s10, v4
	v_add_u32_e32 v6, s8, v6
	v_addc_co_u32_e64 v17, s[0:1], v10, v17, s[0:1]
	s_or_b64 s[4:5], vcc, s[4:5]
	s_waitcnt vmcnt(1)
	v_subrev_u32_e32 v5, s11, v11
	v_mad_u64_u32 v[18:19], s[0:1], v5, s9, v[2:3]
	global_store_dword v[14:15], v18, off
	s_waitcnt vmcnt(1)
	global_store_dwordx2 v[16:17], v[12:13], off
	s_andn2_b64 exec, exec, s[4:5]
	s_cbranch_execnz .LBB106_5
.LBB106_6:
	s_endpgm
	.section	.rodata,"a",@progbits
	.p2align	6, 0x0
	.amdhsa_kernel _ZN9rocsparseL35gebsr2csr_block_per_row_1_32_kernelILi256ELi4ELi4E21rocsparse_complex_numIfEEEv20rocsparse_direction_ii21rocsparse_index_base_PKT2_PKiS9_iiS4_PS5_PiSB_
		.amdhsa_group_segment_fixed_size 0
		.amdhsa_private_segment_fixed_size 0
		.amdhsa_kernarg_size 80
		.amdhsa_user_sgpr_count 6
		.amdhsa_user_sgpr_private_segment_buffer 1
		.amdhsa_user_sgpr_dispatch_ptr 0
		.amdhsa_user_sgpr_queue_ptr 0
		.amdhsa_user_sgpr_kernarg_segment_ptr 1
		.amdhsa_user_sgpr_dispatch_id 0
		.amdhsa_user_sgpr_flat_scratch_init 0
		.amdhsa_user_sgpr_kernarg_preload_length 0
		.amdhsa_user_sgpr_kernarg_preload_offset 0
		.amdhsa_user_sgpr_private_segment_size 0
		.amdhsa_uses_dynamic_stack 0
		.amdhsa_system_sgpr_private_segment_wavefront_offset 0
		.amdhsa_system_sgpr_workgroup_id_x 1
		.amdhsa_system_sgpr_workgroup_id_y 0
		.amdhsa_system_sgpr_workgroup_id_z 0
		.amdhsa_system_sgpr_workgroup_info 0
		.amdhsa_system_vgpr_workitem_id 0
		.amdhsa_next_free_vgpr 20
		.amdhsa_next_free_sgpr 19
		.amdhsa_accum_offset 20
		.amdhsa_reserve_vcc 1
		.amdhsa_reserve_flat_scratch 0
		.amdhsa_float_round_mode_32 0
		.amdhsa_float_round_mode_16_64 0
		.amdhsa_float_denorm_mode_32 3
		.amdhsa_float_denorm_mode_16_64 3
		.amdhsa_dx10_clamp 1
		.amdhsa_ieee_mode 1
		.amdhsa_fp16_overflow 0
		.amdhsa_tg_split 0
		.amdhsa_exception_fp_ieee_invalid_op 0
		.amdhsa_exception_fp_denorm_src 0
		.amdhsa_exception_fp_ieee_div_zero 0
		.amdhsa_exception_fp_ieee_overflow 0
		.amdhsa_exception_fp_ieee_underflow 0
		.amdhsa_exception_fp_ieee_inexact 0
		.amdhsa_exception_int_div_zero 0
	.end_amdhsa_kernel
	.section	.text._ZN9rocsparseL35gebsr2csr_block_per_row_1_32_kernelILi256ELi4ELi4E21rocsparse_complex_numIfEEEv20rocsparse_direction_ii21rocsparse_index_base_PKT2_PKiS9_iiS4_PS5_PiSB_,"axG",@progbits,_ZN9rocsparseL35gebsr2csr_block_per_row_1_32_kernelILi256ELi4ELi4E21rocsparse_complex_numIfEEEv20rocsparse_direction_ii21rocsparse_index_base_PKT2_PKiS9_iiS4_PS5_PiSB_,comdat
.Lfunc_end106:
	.size	_ZN9rocsparseL35gebsr2csr_block_per_row_1_32_kernelILi256ELi4ELi4E21rocsparse_complex_numIfEEEv20rocsparse_direction_ii21rocsparse_index_base_PKT2_PKiS9_iiS4_PS5_PiSB_, .Lfunc_end106-_ZN9rocsparseL35gebsr2csr_block_per_row_1_32_kernelILi256ELi4ELi4E21rocsparse_complex_numIfEEEv20rocsparse_direction_ii21rocsparse_index_base_PKT2_PKiS9_iiS4_PS5_PiSB_
                                        ; -- End function
	.section	.AMDGPU.csdata,"",@progbits
; Kernel info:
; codeLenInByte = 564
; NumSgprs: 23
; NumVgprs: 20
; NumAgprs: 0
; TotalNumVgprs: 20
; ScratchSize: 0
; MemoryBound: 0
; FloatMode: 240
; IeeeMode: 1
; LDSByteSize: 0 bytes/workgroup (compile time only)
; SGPRBlocks: 2
; VGPRBlocks: 2
; NumSGPRsForWavesPerEU: 23
; NumVGPRsForWavesPerEU: 20
; AccumOffset: 20
; Occupancy: 8
; WaveLimiterHint : 0
; COMPUTE_PGM_RSRC2:SCRATCH_EN: 0
; COMPUTE_PGM_RSRC2:USER_SGPR: 6
; COMPUTE_PGM_RSRC2:TRAP_HANDLER: 0
; COMPUTE_PGM_RSRC2:TGID_X_EN: 1
; COMPUTE_PGM_RSRC2:TGID_Y_EN: 0
; COMPUTE_PGM_RSRC2:TGID_Z_EN: 0
; COMPUTE_PGM_RSRC2:TIDIG_COMP_CNT: 0
; COMPUTE_PGM_RSRC3_GFX90A:ACCUM_OFFSET: 4
; COMPUTE_PGM_RSRC3_GFX90A:TG_SPLIT: 0
	.section	.text._ZN9rocsparseL35gebsr2csr_block_per_row_1_32_kernelILi256ELi4ELi8E21rocsparse_complex_numIfEEEv20rocsparse_direction_ii21rocsparse_index_base_PKT2_PKiS9_iiS4_PS5_PiSB_,"axG",@progbits,_ZN9rocsparseL35gebsr2csr_block_per_row_1_32_kernelILi256ELi4ELi8E21rocsparse_complex_numIfEEEv20rocsparse_direction_ii21rocsparse_index_base_PKT2_PKiS9_iiS4_PS5_PiSB_,comdat
	.globl	_ZN9rocsparseL35gebsr2csr_block_per_row_1_32_kernelILi256ELi4ELi8E21rocsparse_complex_numIfEEEv20rocsparse_direction_ii21rocsparse_index_base_PKT2_PKiS9_iiS4_PS5_PiSB_ ; -- Begin function _ZN9rocsparseL35gebsr2csr_block_per_row_1_32_kernelILi256ELi4ELi8E21rocsparse_complex_numIfEEEv20rocsparse_direction_ii21rocsparse_index_base_PKT2_PKiS9_iiS4_PS5_PiSB_
	.p2align	8
	.type	_ZN9rocsparseL35gebsr2csr_block_per_row_1_32_kernelILi256ELi4ELi8E21rocsparse_complex_numIfEEEv20rocsparse_direction_ii21rocsparse_index_base_PKT2_PKiS9_iiS4_PS5_PiSB_,@function
_ZN9rocsparseL35gebsr2csr_block_per_row_1_32_kernelILi256ELi4ELi8E21rocsparse_complex_numIfEEEv20rocsparse_direction_ii21rocsparse_index_base_PKT2_PKiS9_iiS4_PS5_PiSB_: ; @_ZN9rocsparseL35gebsr2csr_block_per_row_1_32_kernelILi256ELi4ELi8E21rocsparse_complex_numIfEEEv20rocsparse_direction_ii21rocsparse_index_base_PKT2_PKiS9_iiS4_PS5_PiSB_
; %bb.0:
	s_load_dwordx2 s[0:1], s[4:5], 0x18
	s_load_dwordx4 s[8:11], s[4:5], 0x28
	s_load_dwordx2 s[2:3], s[4:5], 0x40
	s_ashr_i32 s7, s6, 31
	s_lshl_b64 s[12:13], s[6:7], 2
	s_waitcnt lgkmcnt(0)
	s_add_u32 s12, s0, s12
	v_or_b32_e32 v1, s6, v0
	s_addc_u32 s13, s1, s13
	v_cmp_eq_u32_e32 vcc, 0, v1
	s_and_saveexec_b64 s[0:1], vcc
	s_cbranch_execz .LBB107_2
; %bb.1:
	v_mov_b32_e32 v1, 0
	v_mov_b32_e32 v2, s10
	global_store_dword v1, v2, s[2:3]
.LBB107_2:
	s_or_b64 exec, exec, s[0:1]
	v_and_b32_e32 v6, 7, v0
	v_bfe_u32 v8, v0, 3, 2
	v_cmp_gt_i32_e32 vcc, s8, v8
	v_cmp_gt_i32_e64 s[0:1], s9, v6
	s_and_b64 s[0:1], vcc, s[0:1]
	s_and_saveexec_b64 s[14:15], s[0:1]
	s_cbranch_execz .LBB107_6
; %bb.3:
	s_load_dwordx2 s[14:15], s[12:13], 0x0
	s_load_dword s11, s[4:5], 0xc
	s_mul_i32 s6, s6, s8
	v_add_u32_e32 v2, s6, v8
	s_mul_i32 s1, s9, s8
	v_ashrrev_i32_e32 v3, 31, v2
	s_waitcnt lgkmcnt(0)
	s_sub_i32 s0, s14, s11
	s_sub_i32 s14, s15, s11
	;; [unrolled: 1-line block ×3, first 2 shown]
	s_mul_i32 s12, s15, s9
	v_lshrrev_b32_e32 v1, 5, v0
	s_mul_i32 s7, s0, s1
	v_mul_lo_u32 v0, s12, v8
	s_add_i32 s12, s12, s10
	v_lshlrev_b64 v[2:3], 2, v[2:3]
	s_add_i32 s12, s12, s7
	v_mov_b32_e32 v4, s3
	v_add_co_u32_e32 v2, vcc, s2, v2
	v_add_u32_e32 v0, s12, v0
	v_addc_co_u32_e32 v3, vcc, v4, v3, vcc
	global_store_dword v[2:3], v0, off offset:4
	v_add_u32_e32 v0, s0, v1
	v_cmp_gt_i32_e32 vcc, s14, v0
	s_and_b64 exec, exec, vcc
	s_cbranch_execz .LBB107_6
; %bb.4:
	s_load_dwordx2 s[16:17], s[4:5], 0x20
	s_load_dwordx2 s[2:3], s[4:5], 0x38
	s_load_dword s18, s[4:5], 0x0
	s_load_dwordx2 s[6:7], s[4:5], 0x10
	s_load_dwordx2 s[12:13], s[4:5], 0x48
	v_mad_u64_u32 v[4:5], s[4:5], v6, s8, v[8:9]
	s_waitcnt lgkmcnt(0)
	s_cmp_eq_u32 s18, 0
	v_mad_u64_u32 v[10:11], s[4:5], v8, s9, v[6:7]
	s_cselect_b64 vcc, -1, 0
	s_mul_i32 s0, s8, s0
	v_mul_lo_u32 v3, s15, v8
	v_cndmask_b32_e32 v4, v4, v10, vcc
	v_add3_u32 v1, v1, s0, v3
	v_add_u32_e32 v2, s10, v6
	v_mad_u64_u32 v[4:5], s[4:5], s1, v0, v[4:5]
	s_lshl_b32 s10, s1, 3
	v_mad_u64_u32 v[6:7], s[0:1], s9, v1, v[6:7]
	v_ashrrev_i32_e32 v1, 31, v0
	v_lshlrev_b64 v[8:9], 2, v[0:1]
	v_mov_b32_e32 v1, s17
	v_add_co_u32_e32 v8, vcc, s16, v8
	s_lshl_b32 s8, s9, 3
	v_addc_co_u32_e32 v9, vcc, v1, v9, vcc
	s_mov_b64 s[4:5], 0
	v_mov_b32_e32 v1, s13
	v_mov_b32_e32 v3, s7
	;; [unrolled: 1-line block ×3, first 2 shown]
.LBB107_5:                              ; =>This Inner Loop Header: Depth=1
	v_ashrrev_i32_e32 v5, 31, v4
	global_load_dword v11, v[8:9], off
	v_lshlrev_b64 v[12:13], 3, v[4:5]
	v_add_co_u32_e32 v12, vcc, s6, v12
	v_addc_co_u32_e32 v13, vcc, v3, v13, vcc
	global_load_dwordx2 v[12:13], v[12:13], off
	v_ashrrev_i32_e32 v7, 31, v6
	v_lshlrev_b64 v[14:15], 2, v[6:7]
	v_add_co_u32_e32 v8, vcc, 32, v8
	v_add_co_u32_e64 v14, s[0:1], s12, v14
	v_add_u32_e32 v0, 8, v0
	v_addc_co_u32_e32 v9, vcc, 0, v9, vcc
	v_lshlrev_b64 v[16:17], 3, v[6:7]
	v_addc_co_u32_e64 v15, s[0:1], v1, v15, s[0:1]
	v_cmp_le_i32_e32 vcc, s14, v0
	v_add_co_u32_e64 v16, s[0:1], s2, v16
	v_add_u32_e32 v4, s10, v4
	v_add_u32_e32 v6, s8, v6
	v_addc_co_u32_e64 v17, s[0:1], v10, v17, s[0:1]
	s_or_b64 s[4:5], vcc, s[4:5]
	s_waitcnt vmcnt(1)
	v_subrev_u32_e32 v5, s11, v11
	v_mad_u64_u32 v[18:19], s[0:1], v5, s9, v[2:3]
	global_store_dword v[14:15], v18, off
	s_waitcnt vmcnt(1)
	global_store_dwordx2 v[16:17], v[12:13], off
	s_andn2_b64 exec, exec, s[4:5]
	s_cbranch_execnz .LBB107_5
.LBB107_6:
	s_endpgm
	.section	.rodata,"a",@progbits
	.p2align	6, 0x0
	.amdhsa_kernel _ZN9rocsparseL35gebsr2csr_block_per_row_1_32_kernelILi256ELi4ELi8E21rocsparse_complex_numIfEEEv20rocsparse_direction_ii21rocsparse_index_base_PKT2_PKiS9_iiS4_PS5_PiSB_
		.amdhsa_group_segment_fixed_size 0
		.amdhsa_private_segment_fixed_size 0
		.amdhsa_kernarg_size 80
		.amdhsa_user_sgpr_count 6
		.amdhsa_user_sgpr_private_segment_buffer 1
		.amdhsa_user_sgpr_dispatch_ptr 0
		.amdhsa_user_sgpr_queue_ptr 0
		.amdhsa_user_sgpr_kernarg_segment_ptr 1
		.amdhsa_user_sgpr_dispatch_id 0
		.amdhsa_user_sgpr_flat_scratch_init 0
		.amdhsa_user_sgpr_kernarg_preload_length 0
		.amdhsa_user_sgpr_kernarg_preload_offset 0
		.amdhsa_user_sgpr_private_segment_size 0
		.amdhsa_uses_dynamic_stack 0
		.amdhsa_system_sgpr_private_segment_wavefront_offset 0
		.amdhsa_system_sgpr_workgroup_id_x 1
		.amdhsa_system_sgpr_workgroup_id_y 0
		.amdhsa_system_sgpr_workgroup_id_z 0
		.amdhsa_system_sgpr_workgroup_info 0
		.amdhsa_system_vgpr_workitem_id 0
		.amdhsa_next_free_vgpr 20
		.amdhsa_next_free_sgpr 19
		.amdhsa_accum_offset 20
		.amdhsa_reserve_vcc 1
		.amdhsa_reserve_flat_scratch 0
		.amdhsa_float_round_mode_32 0
		.amdhsa_float_round_mode_16_64 0
		.amdhsa_float_denorm_mode_32 3
		.amdhsa_float_denorm_mode_16_64 3
		.amdhsa_dx10_clamp 1
		.amdhsa_ieee_mode 1
		.amdhsa_fp16_overflow 0
		.amdhsa_tg_split 0
		.amdhsa_exception_fp_ieee_invalid_op 0
		.amdhsa_exception_fp_denorm_src 0
		.amdhsa_exception_fp_ieee_div_zero 0
		.amdhsa_exception_fp_ieee_overflow 0
		.amdhsa_exception_fp_ieee_underflow 0
		.amdhsa_exception_fp_ieee_inexact 0
		.amdhsa_exception_int_div_zero 0
	.end_amdhsa_kernel
	.section	.text._ZN9rocsparseL35gebsr2csr_block_per_row_1_32_kernelILi256ELi4ELi8E21rocsparse_complex_numIfEEEv20rocsparse_direction_ii21rocsparse_index_base_PKT2_PKiS9_iiS4_PS5_PiSB_,"axG",@progbits,_ZN9rocsparseL35gebsr2csr_block_per_row_1_32_kernelILi256ELi4ELi8E21rocsparse_complex_numIfEEEv20rocsparse_direction_ii21rocsparse_index_base_PKT2_PKiS9_iiS4_PS5_PiSB_,comdat
.Lfunc_end107:
	.size	_ZN9rocsparseL35gebsr2csr_block_per_row_1_32_kernelILi256ELi4ELi8E21rocsparse_complex_numIfEEEv20rocsparse_direction_ii21rocsparse_index_base_PKT2_PKiS9_iiS4_PS5_PiSB_, .Lfunc_end107-_ZN9rocsparseL35gebsr2csr_block_per_row_1_32_kernelILi256ELi4ELi8E21rocsparse_complex_numIfEEEv20rocsparse_direction_ii21rocsparse_index_base_PKT2_PKiS9_iiS4_PS5_PiSB_
                                        ; -- End function
	.section	.AMDGPU.csdata,"",@progbits
; Kernel info:
; codeLenInByte = 564
; NumSgprs: 23
; NumVgprs: 20
; NumAgprs: 0
; TotalNumVgprs: 20
; ScratchSize: 0
; MemoryBound: 0
; FloatMode: 240
; IeeeMode: 1
; LDSByteSize: 0 bytes/workgroup (compile time only)
; SGPRBlocks: 2
; VGPRBlocks: 2
; NumSGPRsForWavesPerEU: 23
; NumVGPRsForWavesPerEU: 20
; AccumOffset: 20
; Occupancy: 8
; WaveLimiterHint : 0
; COMPUTE_PGM_RSRC2:SCRATCH_EN: 0
; COMPUTE_PGM_RSRC2:USER_SGPR: 6
; COMPUTE_PGM_RSRC2:TRAP_HANDLER: 0
; COMPUTE_PGM_RSRC2:TGID_X_EN: 1
; COMPUTE_PGM_RSRC2:TGID_Y_EN: 0
; COMPUTE_PGM_RSRC2:TGID_Z_EN: 0
; COMPUTE_PGM_RSRC2:TIDIG_COMP_CNT: 0
; COMPUTE_PGM_RSRC3_GFX90A:ACCUM_OFFSET: 4
; COMPUTE_PGM_RSRC3_GFX90A:TG_SPLIT: 0
	.section	.text._ZN9rocsparseL35gebsr2csr_block_per_row_1_32_kernelILi1024ELi4ELi16E21rocsparse_complex_numIfEEEv20rocsparse_direction_ii21rocsparse_index_base_PKT2_PKiS9_iiS4_PS5_PiSB_,"axG",@progbits,_ZN9rocsparseL35gebsr2csr_block_per_row_1_32_kernelILi1024ELi4ELi16E21rocsparse_complex_numIfEEEv20rocsparse_direction_ii21rocsparse_index_base_PKT2_PKiS9_iiS4_PS5_PiSB_,comdat
	.globl	_ZN9rocsparseL35gebsr2csr_block_per_row_1_32_kernelILi1024ELi4ELi16E21rocsparse_complex_numIfEEEv20rocsparse_direction_ii21rocsparse_index_base_PKT2_PKiS9_iiS4_PS5_PiSB_ ; -- Begin function _ZN9rocsparseL35gebsr2csr_block_per_row_1_32_kernelILi1024ELi4ELi16E21rocsparse_complex_numIfEEEv20rocsparse_direction_ii21rocsparse_index_base_PKT2_PKiS9_iiS4_PS5_PiSB_
	.p2align	8
	.type	_ZN9rocsparseL35gebsr2csr_block_per_row_1_32_kernelILi1024ELi4ELi16E21rocsparse_complex_numIfEEEv20rocsparse_direction_ii21rocsparse_index_base_PKT2_PKiS9_iiS4_PS5_PiSB_,@function
_ZN9rocsparseL35gebsr2csr_block_per_row_1_32_kernelILi1024ELi4ELi16E21rocsparse_complex_numIfEEEv20rocsparse_direction_ii21rocsparse_index_base_PKT2_PKiS9_iiS4_PS5_PiSB_: ; @_ZN9rocsparseL35gebsr2csr_block_per_row_1_32_kernelILi1024ELi4ELi16E21rocsparse_complex_numIfEEEv20rocsparse_direction_ii21rocsparse_index_base_PKT2_PKiS9_iiS4_PS5_PiSB_
; %bb.0:
	s_load_dwordx2 s[0:1], s[4:5], 0x18
	s_load_dwordx4 s[8:11], s[4:5], 0x28
	s_load_dwordx2 s[2:3], s[4:5], 0x40
	s_ashr_i32 s7, s6, 31
	s_lshl_b64 s[12:13], s[6:7], 2
	s_waitcnt lgkmcnt(0)
	s_add_u32 s12, s0, s12
	v_or_b32_e32 v1, s6, v0
	s_addc_u32 s13, s1, s13
	v_cmp_eq_u32_e32 vcc, 0, v1
	s_and_saveexec_b64 s[0:1], vcc
	s_cbranch_execz .LBB108_2
; %bb.1:
	v_mov_b32_e32 v1, 0
	v_mov_b32_e32 v2, s10
	global_store_dword v1, v2, s[2:3]
.LBB108_2:
	s_or_b64 exec, exec, s[0:1]
	v_and_b32_e32 v6, 15, v0
	v_bfe_u32 v8, v0, 4, 2
	v_cmp_gt_i32_e32 vcc, s8, v8
	v_cmp_gt_i32_e64 s[0:1], s9, v6
	s_and_b64 s[0:1], vcc, s[0:1]
	s_and_saveexec_b64 s[14:15], s[0:1]
	s_cbranch_execz .LBB108_6
; %bb.3:
	s_load_dwordx2 s[14:15], s[12:13], 0x0
	s_load_dword s11, s[4:5], 0xc
	s_mul_i32 s6, s6, s8
	v_add_u32_e32 v2, s6, v8
	s_mul_i32 s1, s9, s8
	v_ashrrev_i32_e32 v3, 31, v2
	s_waitcnt lgkmcnt(0)
	s_sub_i32 s0, s14, s11
	s_sub_i32 s14, s15, s11
	;; [unrolled: 1-line block ×3, first 2 shown]
	s_mul_i32 s12, s15, s9
	v_lshrrev_b32_e32 v1, 6, v0
	s_mul_i32 s7, s0, s1
	v_mul_lo_u32 v0, s12, v8
	s_add_i32 s12, s12, s10
	v_lshlrev_b64 v[2:3], 2, v[2:3]
	s_add_i32 s12, s12, s7
	v_mov_b32_e32 v4, s3
	v_add_co_u32_e32 v2, vcc, s2, v2
	v_add_u32_e32 v0, s12, v0
	v_addc_co_u32_e32 v3, vcc, v4, v3, vcc
	global_store_dword v[2:3], v0, off offset:4
	v_add_u32_e32 v0, s0, v1
	v_cmp_gt_i32_e32 vcc, s14, v0
	s_and_b64 exec, exec, vcc
	s_cbranch_execz .LBB108_6
; %bb.4:
	s_load_dwordx2 s[16:17], s[4:5], 0x20
	s_load_dwordx2 s[2:3], s[4:5], 0x38
	s_load_dword s18, s[4:5], 0x0
	s_load_dwordx2 s[6:7], s[4:5], 0x10
	s_load_dwordx2 s[12:13], s[4:5], 0x48
	v_mad_u64_u32 v[4:5], s[4:5], v6, s8, v[8:9]
	s_waitcnt lgkmcnt(0)
	s_cmp_eq_u32 s18, 0
	v_mad_u64_u32 v[10:11], s[4:5], v8, s9, v[6:7]
	s_cselect_b64 vcc, -1, 0
	s_mul_i32 s0, s8, s0
	v_mul_lo_u32 v3, s15, v8
	v_cndmask_b32_e32 v4, v4, v10, vcc
	v_add3_u32 v1, v1, s0, v3
	v_add_u32_e32 v2, s10, v6
	v_mad_u64_u32 v[4:5], s[4:5], s1, v0, v[4:5]
	s_lshl_b32 s10, s1, 4
	v_mad_u64_u32 v[6:7], s[0:1], s9, v1, v[6:7]
	v_ashrrev_i32_e32 v1, 31, v0
	v_lshlrev_b64 v[8:9], 2, v[0:1]
	v_mov_b32_e32 v1, s17
	v_add_co_u32_e32 v8, vcc, s16, v8
	s_lshl_b32 s8, s9, 4
	v_addc_co_u32_e32 v9, vcc, v1, v9, vcc
	s_mov_b64 s[4:5], 0
	v_mov_b32_e32 v1, s13
	v_mov_b32_e32 v3, s7
	;; [unrolled: 1-line block ×3, first 2 shown]
.LBB108_5:                              ; =>This Inner Loop Header: Depth=1
	v_ashrrev_i32_e32 v5, 31, v4
	global_load_dword v11, v[8:9], off
	v_lshlrev_b64 v[12:13], 3, v[4:5]
	v_add_co_u32_e32 v12, vcc, s6, v12
	v_addc_co_u32_e32 v13, vcc, v3, v13, vcc
	global_load_dwordx2 v[12:13], v[12:13], off
	v_ashrrev_i32_e32 v7, 31, v6
	v_lshlrev_b64 v[14:15], 2, v[6:7]
	v_add_co_u32_e32 v8, vcc, 64, v8
	v_add_co_u32_e64 v14, s[0:1], s12, v14
	v_add_u32_e32 v0, 16, v0
	v_addc_co_u32_e32 v9, vcc, 0, v9, vcc
	v_lshlrev_b64 v[16:17], 3, v[6:7]
	v_addc_co_u32_e64 v15, s[0:1], v1, v15, s[0:1]
	v_cmp_le_i32_e32 vcc, s14, v0
	v_add_co_u32_e64 v16, s[0:1], s2, v16
	v_add_u32_e32 v4, s10, v4
	v_add_u32_e32 v6, s8, v6
	v_addc_co_u32_e64 v17, s[0:1], v10, v17, s[0:1]
	s_or_b64 s[4:5], vcc, s[4:5]
	s_waitcnt vmcnt(1)
	v_subrev_u32_e32 v5, s11, v11
	v_mad_u64_u32 v[18:19], s[0:1], v5, s9, v[2:3]
	global_store_dword v[14:15], v18, off
	s_waitcnt vmcnt(1)
	global_store_dwordx2 v[16:17], v[12:13], off
	s_andn2_b64 exec, exec, s[4:5]
	s_cbranch_execnz .LBB108_5
.LBB108_6:
	s_endpgm
	.section	.rodata,"a",@progbits
	.p2align	6, 0x0
	.amdhsa_kernel _ZN9rocsparseL35gebsr2csr_block_per_row_1_32_kernelILi1024ELi4ELi16E21rocsparse_complex_numIfEEEv20rocsparse_direction_ii21rocsparse_index_base_PKT2_PKiS9_iiS4_PS5_PiSB_
		.amdhsa_group_segment_fixed_size 0
		.amdhsa_private_segment_fixed_size 0
		.amdhsa_kernarg_size 80
		.amdhsa_user_sgpr_count 6
		.amdhsa_user_sgpr_private_segment_buffer 1
		.amdhsa_user_sgpr_dispatch_ptr 0
		.amdhsa_user_sgpr_queue_ptr 0
		.amdhsa_user_sgpr_kernarg_segment_ptr 1
		.amdhsa_user_sgpr_dispatch_id 0
		.amdhsa_user_sgpr_flat_scratch_init 0
		.amdhsa_user_sgpr_kernarg_preload_length 0
		.amdhsa_user_sgpr_kernarg_preload_offset 0
		.amdhsa_user_sgpr_private_segment_size 0
		.amdhsa_uses_dynamic_stack 0
		.amdhsa_system_sgpr_private_segment_wavefront_offset 0
		.amdhsa_system_sgpr_workgroup_id_x 1
		.amdhsa_system_sgpr_workgroup_id_y 0
		.amdhsa_system_sgpr_workgroup_id_z 0
		.amdhsa_system_sgpr_workgroup_info 0
		.amdhsa_system_vgpr_workitem_id 0
		.amdhsa_next_free_vgpr 20
		.amdhsa_next_free_sgpr 19
		.amdhsa_accum_offset 20
		.amdhsa_reserve_vcc 1
		.amdhsa_reserve_flat_scratch 0
		.amdhsa_float_round_mode_32 0
		.amdhsa_float_round_mode_16_64 0
		.amdhsa_float_denorm_mode_32 3
		.amdhsa_float_denorm_mode_16_64 3
		.amdhsa_dx10_clamp 1
		.amdhsa_ieee_mode 1
		.amdhsa_fp16_overflow 0
		.amdhsa_tg_split 0
		.amdhsa_exception_fp_ieee_invalid_op 0
		.amdhsa_exception_fp_denorm_src 0
		.amdhsa_exception_fp_ieee_div_zero 0
		.amdhsa_exception_fp_ieee_overflow 0
		.amdhsa_exception_fp_ieee_underflow 0
		.amdhsa_exception_fp_ieee_inexact 0
		.amdhsa_exception_int_div_zero 0
	.end_amdhsa_kernel
	.section	.text._ZN9rocsparseL35gebsr2csr_block_per_row_1_32_kernelILi1024ELi4ELi16E21rocsparse_complex_numIfEEEv20rocsparse_direction_ii21rocsparse_index_base_PKT2_PKiS9_iiS4_PS5_PiSB_,"axG",@progbits,_ZN9rocsparseL35gebsr2csr_block_per_row_1_32_kernelILi1024ELi4ELi16E21rocsparse_complex_numIfEEEv20rocsparse_direction_ii21rocsparse_index_base_PKT2_PKiS9_iiS4_PS5_PiSB_,comdat
.Lfunc_end108:
	.size	_ZN9rocsparseL35gebsr2csr_block_per_row_1_32_kernelILi1024ELi4ELi16E21rocsparse_complex_numIfEEEv20rocsparse_direction_ii21rocsparse_index_base_PKT2_PKiS9_iiS4_PS5_PiSB_, .Lfunc_end108-_ZN9rocsparseL35gebsr2csr_block_per_row_1_32_kernelILi1024ELi4ELi16E21rocsparse_complex_numIfEEEv20rocsparse_direction_ii21rocsparse_index_base_PKT2_PKiS9_iiS4_PS5_PiSB_
                                        ; -- End function
	.section	.AMDGPU.csdata,"",@progbits
; Kernel info:
; codeLenInByte = 564
; NumSgprs: 23
; NumVgprs: 20
; NumAgprs: 0
; TotalNumVgprs: 20
; ScratchSize: 0
; MemoryBound: 0
; FloatMode: 240
; IeeeMode: 1
; LDSByteSize: 0 bytes/workgroup (compile time only)
; SGPRBlocks: 2
; VGPRBlocks: 2
; NumSGPRsForWavesPerEU: 23
; NumVGPRsForWavesPerEU: 20
; AccumOffset: 20
; Occupancy: 8
; WaveLimiterHint : 0
; COMPUTE_PGM_RSRC2:SCRATCH_EN: 0
; COMPUTE_PGM_RSRC2:USER_SGPR: 6
; COMPUTE_PGM_RSRC2:TRAP_HANDLER: 0
; COMPUTE_PGM_RSRC2:TGID_X_EN: 1
; COMPUTE_PGM_RSRC2:TGID_Y_EN: 0
; COMPUTE_PGM_RSRC2:TGID_Z_EN: 0
; COMPUTE_PGM_RSRC2:TIDIG_COMP_CNT: 0
; COMPUTE_PGM_RSRC3_GFX90A:ACCUM_OFFSET: 4
; COMPUTE_PGM_RSRC3_GFX90A:TG_SPLIT: 0
	.section	.text._ZN9rocsparseL35gebsr2csr_block_per_row_1_32_kernelILi1024ELi4ELi32E21rocsparse_complex_numIfEEEv20rocsparse_direction_ii21rocsparse_index_base_PKT2_PKiS9_iiS4_PS5_PiSB_,"axG",@progbits,_ZN9rocsparseL35gebsr2csr_block_per_row_1_32_kernelILi1024ELi4ELi32E21rocsparse_complex_numIfEEEv20rocsparse_direction_ii21rocsparse_index_base_PKT2_PKiS9_iiS4_PS5_PiSB_,comdat
	.globl	_ZN9rocsparseL35gebsr2csr_block_per_row_1_32_kernelILi1024ELi4ELi32E21rocsparse_complex_numIfEEEv20rocsparse_direction_ii21rocsparse_index_base_PKT2_PKiS9_iiS4_PS5_PiSB_ ; -- Begin function _ZN9rocsparseL35gebsr2csr_block_per_row_1_32_kernelILi1024ELi4ELi32E21rocsparse_complex_numIfEEEv20rocsparse_direction_ii21rocsparse_index_base_PKT2_PKiS9_iiS4_PS5_PiSB_
	.p2align	8
	.type	_ZN9rocsparseL35gebsr2csr_block_per_row_1_32_kernelILi1024ELi4ELi32E21rocsparse_complex_numIfEEEv20rocsparse_direction_ii21rocsparse_index_base_PKT2_PKiS9_iiS4_PS5_PiSB_,@function
_ZN9rocsparseL35gebsr2csr_block_per_row_1_32_kernelILi1024ELi4ELi32E21rocsparse_complex_numIfEEEv20rocsparse_direction_ii21rocsparse_index_base_PKT2_PKiS9_iiS4_PS5_PiSB_: ; @_ZN9rocsparseL35gebsr2csr_block_per_row_1_32_kernelILi1024ELi4ELi32E21rocsparse_complex_numIfEEEv20rocsparse_direction_ii21rocsparse_index_base_PKT2_PKiS9_iiS4_PS5_PiSB_
; %bb.0:
	s_load_dwordx2 s[0:1], s[4:5], 0x18
	s_load_dwordx4 s[8:11], s[4:5], 0x28
	s_load_dwordx2 s[2:3], s[4:5], 0x40
	s_ashr_i32 s7, s6, 31
	s_lshl_b64 s[12:13], s[6:7], 2
	s_waitcnt lgkmcnt(0)
	s_add_u32 s12, s0, s12
	v_or_b32_e32 v1, s6, v0
	s_addc_u32 s13, s1, s13
	v_cmp_eq_u32_e32 vcc, 0, v1
	s_and_saveexec_b64 s[0:1], vcc
	s_cbranch_execz .LBB109_2
; %bb.1:
	v_mov_b32_e32 v1, 0
	v_mov_b32_e32 v2, s10
	global_store_dword v1, v2, s[2:3]
.LBB109_2:
	s_or_b64 exec, exec, s[0:1]
	v_and_b32_e32 v6, 31, v0
	v_bfe_u32 v8, v0, 5, 2
	v_cmp_gt_i32_e32 vcc, s8, v8
	v_cmp_gt_i32_e64 s[0:1], s9, v6
	s_and_b64 s[0:1], vcc, s[0:1]
	s_and_saveexec_b64 s[14:15], s[0:1]
	s_cbranch_execz .LBB109_6
; %bb.3:
	s_load_dwordx2 s[14:15], s[12:13], 0x0
	s_load_dword s11, s[4:5], 0xc
	s_mul_i32 s6, s6, s8
	v_add_u32_e32 v2, s6, v8
	s_mul_i32 s1, s9, s8
	v_ashrrev_i32_e32 v3, 31, v2
	s_waitcnt lgkmcnt(0)
	s_sub_i32 s0, s14, s11
	s_sub_i32 s14, s15, s11
	;; [unrolled: 1-line block ×3, first 2 shown]
	s_mul_i32 s12, s15, s9
	v_lshrrev_b32_e32 v1, 7, v0
	s_mul_i32 s7, s0, s1
	v_mul_lo_u32 v0, s12, v8
	s_add_i32 s12, s12, s10
	v_lshlrev_b64 v[2:3], 2, v[2:3]
	s_add_i32 s12, s12, s7
	v_mov_b32_e32 v4, s3
	v_add_co_u32_e32 v2, vcc, s2, v2
	v_add_u32_e32 v0, s12, v0
	v_addc_co_u32_e32 v3, vcc, v4, v3, vcc
	global_store_dword v[2:3], v0, off offset:4
	v_add_u32_e32 v0, s0, v1
	v_cmp_gt_i32_e32 vcc, s14, v0
	s_and_b64 exec, exec, vcc
	s_cbranch_execz .LBB109_6
; %bb.4:
	s_load_dwordx2 s[16:17], s[4:5], 0x20
	s_load_dwordx2 s[2:3], s[4:5], 0x38
	s_load_dword s18, s[4:5], 0x0
	s_load_dwordx2 s[6:7], s[4:5], 0x10
	s_load_dwordx2 s[12:13], s[4:5], 0x48
	v_mad_u64_u32 v[4:5], s[4:5], v6, s8, v[8:9]
	s_waitcnt lgkmcnt(0)
	s_cmp_eq_u32 s18, 0
	v_mad_u64_u32 v[10:11], s[4:5], v8, s9, v[6:7]
	s_cselect_b64 vcc, -1, 0
	s_mul_i32 s0, s8, s0
	v_mul_lo_u32 v3, s15, v8
	v_cndmask_b32_e32 v4, v4, v10, vcc
	v_add3_u32 v1, v1, s0, v3
	v_add_u32_e32 v2, s10, v6
	v_mad_u64_u32 v[4:5], s[4:5], s1, v0, v[4:5]
	s_lshl_b32 s10, s1, 3
	v_mad_u64_u32 v[6:7], s[0:1], s9, v1, v[6:7]
	v_ashrrev_i32_e32 v1, 31, v0
	v_lshlrev_b64 v[8:9], 2, v[0:1]
	v_mov_b32_e32 v1, s17
	v_add_co_u32_e32 v8, vcc, s16, v8
	s_lshl_b32 s8, s9, 3
	v_addc_co_u32_e32 v9, vcc, v1, v9, vcc
	s_mov_b64 s[4:5], 0
	v_mov_b32_e32 v1, s13
	v_mov_b32_e32 v3, s7
	;; [unrolled: 1-line block ×3, first 2 shown]
.LBB109_5:                              ; =>This Inner Loop Header: Depth=1
	v_ashrrev_i32_e32 v5, 31, v4
	global_load_dword v11, v[8:9], off
	v_lshlrev_b64 v[12:13], 3, v[4:5]
	v_add_co_u32_e32 v12, vcc, s6, v12
	v_addc_co_u32_e32 v13, vcc, v3, v13, vcc
	global_load_dwordx2 v[12:13], v[12:13], off
	v_ashrrev_i32_e32 v7, 31, v6
	v_lshlrev_b64 v[14:15], 2, v[6:7]
	v_add_co_u32_e32 v8, vcc, 32, v8
	v_add_co_u32_e64 v14, s[0:1], s12, v14
	v_add_u32_e32 v0, 8, v0
	v_addc_co_u32_e32 v9, vcc, 0, v9, vcc
	v_lshlrev_b64 v[16:17], 3, v[6:7]
	v_addc_co_u32_e64 v15, s[0:1], v1, v15, s[0:1]
	v_cmp_le_i32_e32 vcc, s14, v0
	v_add_co_u32_e64 v16, s[0:1], s2, v16
	v_add_u32_e32 v4, s10, v4
	v_add_u32_e32 v6, s8, v6
	v_addc_co_u32_e64 v17, s[0:1], v10, v17, s[0:1]
	s_or_b64 s[4:5], vcc, s[4:5]
	s_waitcnt vmcnt(1)
	v_subrev_u32_e32 v5, s11, v11
	v_mad_u64_u32 v[18:19], s[0:1], v5, s9, v[2:3]
	global_store_dword v[14:15], v18, off
	s_waitcnt vmcnt(1)
	global_store_dwordx2 v[16:17], v[12:13], off
	s_andn2_b64 exec, exec, s[4:5]
	s_cbranch_execnz .LBB109_5
.LBB109_6:
	s_endpgm
	.section	.rodata,"a",@progbits
	.p2align	6, 0x0
	.amdhsa_kernel _ZN9rocsparseL35gebsr2csr_block_per_row_1_32_kernelILi1024ELi4ELi32E21rocsparse_complex_numIfEEEv20rocsparse_direction_ii21rocsparse_index_base_PKT2_PKiS9_iiS4_PS5_PiSB_
		.amdhsa_group_segment_fixed_size 0
		.amdhsa_private_segment_fixed_size 0
		.amdhsa_kernarg_size 80
		.amdhsa_user_sgpr_count 6
		.amdhsa_user_sgpr_private_segment_buffer 1
		.amdhsa_user_sgpr_dispatch_ptr 0
		.amdhsa_user_sgpr_queue_ptr 0
		.amdhsa_user_sgpr_kernarg_segment_ptr 1
		.amdhsa_user_sgpr_dispatch_id 0
		.amdhsa_user_sgpr_flat_scratch_init 0
		.amdhsa_user_sgpr_kernarg_preload_length 0
		.amdhsa_user_sgpr_kernarg_preload_offset 0
		.amdhsa_user_sgpr_private_segment_size 0
		.amdhsa_uses_dynamic_stack 0
		.amdhsa_system_sgpr_private_segment_wavefront_offset 0
		.amdhsa_system_sgpr_workgroup_id_x 1
		.amdhsa_system_sgpr_workgroup_id_y 0
		.amdhsa_system_sgpr_workgroup_id_z 0
		.amdhsa_system_sgpr_workgroup_info 0
		.amdhsa_system_vgpr_workitem_id 0
		.amdhsa_next_free_vgpr 20
		.amdhsa_next_free_sgpr 19
		.amdhsa_accum_offset 20
		.amdhsa_reserve_vcc 1
		.amdhsa_reserve_flat_scratch 0
		.amdhsa_float_round_mode_32 0
		.amdhsa_float_round_mode_16_64 0
		.amdhsa_float_denorm_mode_32 3
		.amdhsa_float_denorm_mode_16_64 3
		.amdhsa_dx10_clamp 1
		.amdhsa_ieee_mode 1
		.amdhsa_fp16_overflow 0
		.amdhsa_tg_split 0
		.amdhsa_exception_fp_ieee_invalid_op 0
		.amdhsa_exception_fp_denorm_src 0
		.amdhsa_exception_fp_ieee_div_zero 0
		.amdhsa_exception_fp_ieee_overflow 0
		.amdhsa_exception_fp_ieee_underflow 0
		.amdhsa_exception_fp_ieee_inexact 0
		.amdhsa_exception_int_div_zero 0
	.end_amdhsa_kernel
	.section	.text._ZN9rocsparseL35gebsr2csr_block_per_row_1_32_kernelILi1024ELi4ELi32E21rocsparse_complex_numIfEEEv20rocsparse_direction_ii21rocsparse_index_base_PKT2_PKiS9_iiS4_PS5_PiSB_,"axG",@progbits,_ZN9rocsparseL35gebsr2csr_block_per_row_1_32_kernelILi1024ELi4ELi32E21rocsparse_complex_numIfEEEv20rocsparse_direction_ii21rocsparse_index_base_PKT2_PKiS9_iiS4_PS5_PiSB_,comdat
.Lfunc_end109:
	.size	_ZN9rocsparseL35gebsr2csr_block_per_row_1_32_kernelILi1024ELi4ELi32E21rocsparse_complex_numIfEEEv20rocsparse_direction_ii21rocsparse_index_base_PKT2_PKiS9_iiS4_PS5_PiSB_, .Lfunc_end109-_ZN9rocsparseL35gebsr2csr_block_per_row_1_32_kernelILi1024ELi4ELi32E21rocsparse_complex_numIfEEEv20rocsparse_direction_ii21rocsparse_index_base_PKT2_PKiS9_iiS4_PS5_PiSB_
                                        ; -- End function
	.section	.AMDGPU.csdata,"",@progbits
; Kernel info:
; codeLenInByte = 564
; NumSgprs: 23
; NumVgprs: 20
; NumAgprs: 0
; TotalNumVgprs: 20
; ScratchSize: 0
; MemoryBound: 0
; FloatMode: 240
; IeeeMode: 1
; LDSByteSize: 0 bytes/workgroup (compile time only)
; SGPRBlocks: 2
; VGPRBlocks: 2
; NumSGPRsForWavesPerEU: 23
; NumVGPRsForWavesPerEU: 20
; AccumOffset: 20
; Occupancy: 8
; WaveLimiterHint : 0
; COMPUTE_PGM_RSRC2:SCRATCH_EN: 0
; COMPUTE_PGM_RSRC2:USER_SGPR: 6
; COMPUTE_PGM_RSRC2:TRAP_HANDLER: 0
; COMPUTE_PGM_RSRC2:TGID_X_EN: 1
; COMPUTE_PGM_RSRC2:TGID_Y_EN: 0
; COMPUTE_PGM_RSRC2:TGID_Z_EN: 0
; COMPUTE_PGM_RSRC2:TIDIG_COMP_CNT: 0
; COMPUTE_PGM_RSRC3_GFX90A:ACCUM_OFFSET: 4
; COMPUTE_PGM_RSRC3_GFX90A:TG_SPLIT: 0
	.section	.text._ZN9rocsparseL37gebsr2csr_block_per_row_33_128_kernelILi1024ELi4ELi64ELi4ELi32E21rocsparse_complex_numIfEEEv20rocsparse_direction_ii21rocsparse_index_base_PKT4_PKiS9_iiS4_PS5_PiSB_,"axG",@progbits,_ZN9rocsparseL37gebsr2csr_block_per_row_33_128_kernelILi1024ELi4ELi64ELi4ELi32E21rocsparse_complex_numIfEEEv20rocsparse_direction_ii21rocsparse_index_base_PKT4_PKiS9_iiS4_PS5_PiSB_,comdat
	.globl	_ZN9rocsparseL37gebsr2csr_block_per_row_33_128_kernelILi1024ELi4ELi64ELi4ELi32E21rocsparse_complex_numIfEEEv20rocsparse_direction_ii21rocsparse_index_base_PKT4_PKiS9_iiS4_PS5_PiSB_ ; -- Begin function _ZN9rocsparseL37gebsr2csr_block_per_row_33_128_kernelILi1024ELi4ELi64ELi4ELi32E21rocsparse_complex_numIfEEEv20rocsparse_direction_ii21rocsparse_index_base_PKT4_PKiS9_iiS4_PS5_PiSB_
	.p2align	8
	.type	_ZN9rocsparseL37gebsr2csr_block_per_row_33_128_kernelILi1024ELi4ELi64ELi4ELi32E21rocsparse_complex_numIfEEEv20rocsparse_direction_ii21rocsparse_index_base_PKT4_PKiS9_iiS4_PS5_PiSB_,@function
_ZN9rocsparseL37gebsr2csr_block_per_row_33_128_kernelILi1024ELi4ELi64ELi4ELi32E21rocsparse_complex_numIfEEEv20rocsparse_direction_ii21rocsparse_index_base_PKT4_PKiS9_iiS4_PS5_PiSB_: ; @_ZN9rocsparseL37gebsr2csr_block_per_row_33_128_kernelILi1024ELi4ELi64ELi4ELi32E21rocsparse_complex_numIfEEEv20rocsparse_direction_ii21rocsparse_index_base_PKT4_PKiS9_iiS4_PS5_PiSB_
; %bb.0:
	s_load_dwordx2 s[0:1], s[4:5], 0x18
	s_load_dwordx4 s[8:11], s[4:5], 0x28
	s_load_dwordx2 s[2:3], s[4:5], 0x40
	s_ashr_i32 s7, s6, 31
	s_lshl_b64 s[12:13], s[6:7], 2
	s_waitcnt lgkmcnt(0)
	s_add_u32 s0, s0, s12
	s_addc_u32 s1, s1, s13
	s_load_dwordx2 s[14:15], s[0:1], 0x0
	v_or_b32_e32 v1, s6, v0
	v_cmp_eq_u32_e32 vcc, 0, v1
	s_and_saveexec_b64 s[0:1], vcc
	s_cbranch_execz .LBB110_2
; %bb.1:
	v_mov_b32_e32 v1, 0
	v_mov_b32_e32 v2, s10
	global_store_dword v1, v2, s[2:3]
.LBB110_2:
	s_or_b64 exec, exec, s[0:1]
	s_load_dword s11, s[4:5], 0xc
	v_lshrrev_b32_e32 v4, 5, v0
	v_cmp_gt_i32_e64 s[0:1], s8, v4
	s_mul_i32 s23, s9, s8
	s_waitcnt lgkmcnt(0)
	s_sub_i32 s12, s14, s11
	s_sub_i32 s22, s15, s11
	s_and_saveexec_b64 s[16:17], s[0:1]
	s_cbranch_execz .LBB110_4
; %bb.3:
	s_mul_i32 s6, s6, s8
	v_add_u32_e32 v2, s6, v4
	s_mul_i32 s7, s23, s12
	s_sub_i32 s13, s22, s12
	v_ashrrev_i32_e32 v3, 31, v2
	s_mul_i32 s13, s13, s9
	s_add_i32 s7, s7, s10
	v_lshlrev_b64 v[2:3], 2, v[2:3]
	v_mul_lo_u32 v1, s13, v4
	s_add_i32 s7, s7, s13
	v_mov_b32_e32 v5, s3
	v_add_co_u32_e32 v2, vcc, s2, v2
	v_add_u32_e32 v1, s7, v1
	v_addc_co_u32_e32 v3, vcc, v5, v3, vcc
	global_store_dword v[2:3], v1, off offset:4
.LBB110_4:
	s_or_b64 exec, exec, s[16:17]
	s_cmp_ge_i32 s14, s15
	s_cbranch_scc1 .LBB110_11
; %bb.5:
	s_load_dwordx2 s[18:19], s[4:5], 0x20
	s_load_dwordx2 s[6:7], s[4:5], 0x38
	;; [unrolled: 1-line block ×4, first 2 shown]
	s_load_dword s2, s[4:5], 0x0
	s_mul_i32 s13, s8, s12
	v_and_b32_e32 v0, 31, v0
	v_add_u32_e32 v1, s13, v4
	v_mad_u64_u32 v[2:3], s[4:5], s9, v1, v[0:1]
	s_mul_i32 s4, s9, s12
	s_sub_i32 s3, s22, s12
	v_add_u32_e32 v3, s4, v0
	v_mul_lo_u32 v6, s3, v4
	s_waitcnt lgkmcnt(0)
	s_cmp_eq_u32 s2, 0
	v_cmp_gt_i32_e64 s[2:3], s9, v0
	v_mad_u64_u32 v[8:9], s[4:5], s8, v3, v[4:5]
	v_or_b32_e32 v1, 32, v0
	s_cselect_b64 vcc, -1, 0
	s_and_b64 s[4:5], s[0:1], s[2:3]
	v_cmp_gt_i32_e64 s[2:3], s9, v1
	v_add_u32_e32 v3, 32, v3
	s_and_b64 s[2:3], s[0:1], s[2:3]
	v_mad_u64_u32 v[4:5], s[0:1], s8, v3, v[4:5]
	v_add_u32_e32 v3, s13, v6
	v_mad_u64_u32 v[6:7], s[0:1], s9, v3, v[0:1]
	s_ashr_i32 s13, s12, 31
	s_lshl_b64 s[0:1], s[12:13], 2
	s_add_u32 s18, s18, s0
	s_mov_b32 s24, 0
	s_addc_u32 s19, s19, s1
	v_cndmask_b32_e32 v3, v8, v2, vcc
	s_branch .LBB110_7
.LBB110_6:                              ;   in Loop: Header=BB110_7 Depth=1
	s_or_b64 exec, exec, s[20:21]
	s_add_i32 s12, s12, 1
	s_add_i32 s24, s24, s23
	s_add_u32 s18, s18, 4
	s_addc_u32 s19, s19, 0
	s_cmp_ge_i32 s12, s22
	v_add_u32_e32 v6, s9, v6
	s_cbranch_scc1 .LBB110_11
.LBB110_7:                              ; =>This Inner Loop Header: Depth=1
	s_load_dword s0, s[18:19], 0x0
	s_waitcnt lgkmcnt(0)
	s_sub_i32 s0, s0, s11
	s_mul_i32 s8, s0, s9
	s_add_i32 s8, s8, s10
	s_and_saveexec_b64 s[20:21], s[4:5]
	s_cbranch_execz .LBB110_9
; %bb.8:                                ;   in Loop: Header=BB110_7 Depth=1
	v_add_u32_e32 v8, s24, v3
	v_ashrrev_i32_e32 v9, 31, v8
	v_lshlrev_b64 v[8:9], 3, v[8:9]
	v_mov_b32_e32 v5, s17
	v_add_co_u32_e64 v8, s[0:1], s16, v8
	v_addc_co_u32_e64 v9, s[0:1], v5, v9, s[0:1]
	global_load_dwordx2 v[8:9], v[8:9], off
	v_ashrrev_i32_e32 v7, 31, v6
	v_lshlrev_b64 v[10:11], 2, v[6:7]
	v_mov_b32_e32 v12, s15
	v_add_co_u32_e64 v10, s[0:1], s14, v10
	v_add_u32_e32 v5, s8, v0
	v_addc_co_u32_e64 v11, s[0:1], v12, v11, s[0:1]
	global_store_dword v[10:11], v5, off
	v_lshlrev_b64 v[10:11], 3, v[6:7]
	v_mov_b32_e32 v5, s7
	v_add_co_u32_e64 v10, s[0:1], s6, v10
	v_addc_co_u32_e64 v11, s[0:1], v5, v11, s[0:1]
	s_waitcnt vmcnt(1)
	global_store_dwordx2 v[10:11], v[8:9], off
.LBB110_9:                              ;   in Loop: Header=BB110_7 Depth=1
	s_or_b64 exec, exec, s[20:21]
	s_and_saveexec_b64 s[20:21], s[2:3]
	s_cbranch_execz .LBB110_6
; %bb.10:                               ;   in Loop: Header=BB110_7 Depth=1
	v_add3_u32 v5, v2, s24, 32
	v_add_u32_e32 v7, s24, v4
	v_cndmask_b32_e32 v8, v7, v5, vcc
	v_ashrrev_i32_e32 v9, 31, v8
	v_lshlrev_b64 v[8:9], 3, v[8:9]
	v_mov_b32_e32 v5, s17
	v_add_co_u32_e64 v8, s[0:1], s16, v8
	v_addc_co_u32_e64 v9, s[0:1], v5, v9, s[0:1]
	global_load_dwordx2 v[8:9], v[8:9], off
	v_add_u32_e32 v10, 32, v6
	v_ashrrev_i32_e32 v11, 31, v10
	v_lshlrev_b64 v[12:13], 2, v[10:11]
	v_mov_b32_e32 v7, s15
	v_add_co_u32_e64 v12, s[0:1], s14, v12
	v_add_u32_e32 v5, s8, v1
	v_addc_co_u32_e64 v13, s[0:1], v7, v13, s[0:1]
	v_lshlrev_b64 v[10:11], 3, v[10:11]
	global_store_dword v[12:13], v5, off
	v_mov_b32_e32 v5, s7
	v_add_co_u32_e64 v10, s[0:1], s6, v10
	v_addc_co_u32_e64 v11, s[0:1], v5, v11, s[0:1]
	s_waitcnt vmcnt(1)
	global_store_dwordx2 v[10:11], v[8:9], off
	s_branch .LBB110_6
.LBB110_11:
	s_endpgm
	.section	.rodata,"a",@progbits
	.p2align	6, 0x0
	.amdhsa_kernel _ZN9rocsparseL37gebsr2csr_block_per_row_33_128_kernelILi1024ELi4ELi64ELi4ELi32E21rocsparse_complex_numIfEEEv20rocsparse_direction_ii21rocsparse_index_base_PKT4_PKiS9_iiS4_PS5_PiSB_
		.amdhsa_group_segment_fixed_size 0
		.amdhsa_private_segment_fixed_size 0
		.amdhsa_kernarg_size 80
		.amdhsa_user_sgpr_count 6
		.amdhsa_user_sgpr_private_segment_buffer 1
		.amdhsa_user_sgpr_dispatch_ptr 0
		.amdhsa_user_sgpr_queue_ptr 0
		.amdhsa_user_sgpr_kernarg_segment_ptr 1
		.amdhsa_user_sgpr_dispatch_id 0
		.amdhsa_user_sgpr_flat_scratch_init 0
		.amdhsa_user_sgpr_kernarg_preload_length 0
		.amdhsa_user_sgpr_kernarg_preload_offset 0
		.amdhsa_user_sgpr_private_segment_size 0
		.amdhsa_uses_dynamic_stack 0
		.amdhsa_system_sgpr_private_segment_wavefront_offset 0
		.amdhsa_system_sgpr_workgroup_id_x 1
		.amdhsa_system_sgpr_workgroup_id_y 0
		.amdhsa_system_sgpr_workgroup_id_z 0
		.amdhsa_system_sgpr_workgroup_info 0
		.amdhsa_system_vgpr_workitem_id 0
		.amdhsa_next_free_vgpr 14
		.amdhsa_next_free_sgpr 25
		.amdhsa_accum_offset 16
		.amdhsa_reserve_vcc 1
		.amdhsa_reserve_flat_scratch 0
		.amdhsa_float_round_mode_32 0
		.amdhsa_float_round_mode_16_64 0
		.amdhsa_float_denorm_mode_32 3
		.amdhsa_float_denorm_mode_16_64 3
		.amdhsa_dx10_clamp 1
		.amdhsa_ieee_mode 1
		.amdhsa_fp16_overflow 0
		.amdhsa_tg_split 0
		.amdhsa_exception_fp_ieee_invalid_op 0
		.amdhsa_exception_fp_denorm_src 0
		.amdhsa_exception_fp_ieee_div_zero 0
		.amdhsa_exception_fp_ieee_overflow 0
		.amdhsa_exception_fp_ieee_underflow 0
		.amdhsa_exception_fp_ieee_inexact 0
		.amdhsa_exception_int_div_zero 0
	.end_amdhsa_kernel
	.section	.text._ZN9rocsparseL37gebsr2csr_block_per_row_33_128_kernelILi1024ELi4ELi64ELi4ELi32E21rocsparse_complex_numIfEEEv20rocsparse_direction_ii21rocsparse_index_base_PKT4_PKiS9_iiS4_PS5_PiSB_,"axG",@progbits,_ZN9rocsparseL37gebsr2csr_block_per_row_33_128_kernelILi1024ELi4ELi64ELi4ELi32E21rocsparse_complex_numIfEEEv20rocsparse_direction_ii21rocsparse_index_base_PKT4_PKiS9_iiS4_PS5_PiSB_,comdat
.Lfunc_end110:
	.size	_ZN9rocsparseL37gebsr2csr_block_per_row_33_128_kernelILi1024ELi4ELi64ELi4ELi32E21rocsparse_complex_numIfEEEv20rocsparse_direction_ii21rocsparse_index_base_PKT4_PKiS9_iiS4_PS5_PiSB_, .Lfunc_end110-_ZN9rocsparseL37gebsr2csr_block_per_row_33_128_kernelILi1024ELi4ELi64ELi4ELi32E21rocsparse_complex_numIfEEEv20rocsparse_direction_ii21rocsparse_index_base_PKT4_PKiS9_iiS4_PS5_PiSB_
                                        ; -- End function
	.section	.AMDGPU.csdata,"",@progbits
; Kernel info:
; codeLenInByte = 752
; NumSgprs: 29
; NumVgprs: 14
; NumAgprs: 0
; TotalNumVgprs: 14
; ScratchSize: 0
; MemoryBound: 0
; FloatMode: 240
; IeeeMode: 1
; LDSByteSize: 0 bytes/workgroup (compile time only)
; SGPRBlocks: 3
; VGPRBlocks: 1
; NumSGPRsForWavesPerEU: 29
; NumVGPRsForWavesPerEU: 14
; AccumOffset: 16
; Occupancy: 8
; WaveLimiterHint : 1
; COMPUTE_PGM_RSRC2:SCRATCH_EN: 0
; COMPUTE_PGM_RSRC2:USER_SGPR: 6
; COMPUTE_PGM_RSRC2:TRAP_HANDLER: 0
; COMPUTE_PGM_RSRC2:TGID_X_EN: 1
; COMPUTE_PGM_RSRC2:TGID_Y_EN: 0
; COMPUTE_PGM_RSRC2:TGID_Z_EN: 0
; COMPUTE_PGM_RSRC2:TIDIG_COMP_CNT: 0
; COMPUTE_PGM_RSRC3_GFX90A:ACCUM_OFFSET: 3
; COMPUTE_PGM_RSRC3_GFX90A:TG_SPLIT: 0
	.section	.text._ZN9rocsparseL37gebsr2csr_block_per_row_33_128_kernelILi1024ELi4ELi128ELi4ELi32E21rocsparse_complex_numIfEEEv20rocsparse_direction_ii21rocsparse_index_base_PKT4_PKiS9_iiS4_PS5_PiSB_,"axG",@progbits,_ZN9rocsparseL37gebsr2csr_block_per_row_33_128_kernelILi1024ELi4ELi128ELi4ELi32E21rocsparse_complex_numIfEEEv20rocsparse_direction_ii21rocsparse_index_base_PKT4_PKiS9_iiS4_PS5_PiSB_,comdat
	.globl	_ZN9rocsparseL37gebsr2csr_block_per_row_33_128_kernelILi1024ELi4ELi128ELi4ELi32E21rocsparse_complex_numIfEEEv20rocsparse_direction_ii21rocsparse_index_base_PKT4_PKiS9_iiS4_PS5_PiSB_ ; -- Begin function _ZN9rocsparseL37gebsr2csr_block_per_row_33_128_kernelILi1024ELi4ELi128ELi4ELi32E21rocsparse_complex_numIfEEEv20rocsparse_direction_ii21rocsparse_index_base_PKT4_PKiS9_iiS4_PS5_PiSB_
	.p2align	8
	.type	_ZN9rocsparseL37gebsr2csr_block_per_row_33_128_kernelILi1024ELi4ELi128ELi4ELi32E21rocsparse_complex_numIfEEEv20rocsparse_direction_ii21rocsparse_index_base_PKT4_PKiS9_iiS4_PS5_PiSB_,@function
_ZN9rocsparseL37gebsr2csr_block_per_row_33_128_kernelILi1024ELi4ELi128ELi4ELi32E21rocsparse_complex_numIfEEEv20rocsparse_direction_ii21rocsparse_index_base_PKT4_PKiS9_iiS4_PS5_PiSB_: ; @_ZN9rocsparseL37gebsr2csr_block_per_row_33_128_kernelILi1024ELi4ELi128ELi4ELi32E21rocsparse_complex_numIfEEEv20rocsparse_direction_ii21rocsparse_index_base_PKT4_PKiS9_iiS4_PS5_PiSB_
; %bb.0:
	s_load_dwordx2 s[0:1], s[4:5], 0x18
	s_load_dwordx4 s[8:11], s[4:5], 0x28
	s_load_dwordx2 s[2:3], s[4:5], 0x40
	s_ashr_i32 s7, s6, 31
	s_lshl_b64 s[12:13], s[6:7], 2
	s_waitcnt lgkmcnt(0)
	s_add_u32 s0, s0, s12
	s_addc_u32 s1, s1, s13
	s_load_dwordx2 s[14:15], s[0:1], 0x0
	v_or_b32_e32 v1, s6, v0
	v_cmp_eq_u32_e32 vcc, 0, v1
	s_and_saveexec_b64 s[0:1], vcc
	s_cbranch_execz .LBB111_2
; %bb.1:
	v_mov_b32_e32 v1, 0
	v_mov_b32_e32 v2, s10
	global_store_dword v1, v2, s[2:3]
.LBB111_2:
	s_or_b64 exec, exec, s[0:1]
	s_load_dword s11, s[4:5], 0xc
	v_lshrrev_b32_e32 v1, 5, v0
	v_cmp_gt_i32_e64 s[0:1], s8, v1
	s_mul_i32 s27, s9, s8
	s_waitcnt lgkmcnt(0)
	s_sub_i32 s12, s14, s11
	s_sub_i32 s26, s15, s11
	s_and_saveexec_b64 s[16:17], s[0:1]
	s_cbranch_execz .LBB111_4
; %bb.3:
	s_mul_i32 s7, s27, s12
	s_sub_i32 s13, s26, s12
	s_mul_i32 s13, s13, s9
	s_add_i32 s7, s7, s10
	v_mul_lo_u32 v2, s13, v1
	s_add_i32 s7, s7, s13
	s_mul_i32 s6, s6, s8
	v_add_u32_e32 v4, s7, v2
	v_add_u32_e32 v2, s6, v1
	v_ashrrev_i32_e32 v3, 31, v2
	v_lshlrev_b64 v[2:3], 2, v[2:3]
	v_mov_b32_e32 v5, s3
	v_add_co_u32_e32 v2, vcc, s2, v2
	v_addc_co_u32_e32 v3, vcc, v5, v3, vcc
	global_store_dword v[2:3], v4, off offset:4
.LBB111_4:
	s_or_b64 exec, exec, s[16:17]
	s_cmp_ge_i32 s14, s15
	s_cbranch_scc1 .LBB111_15
; %bb.5:
	s_load_dwordx2 s[22:23], s[4:5], 0x20
	s_load_dwordx2 s[6:7], s[4:5], 0x38
	;; [unrolled: 1-line block ×3, first 2 shown]
	s_load_dword s2, s[4:5], 0x0
	s_load_dwordx2 s[16:17], s[4:5], 0x48
	v_and_b32_e32 v0, 31, v0
	s_sub_i32 s3, s26, s12
	v_mul_lo_u32 v10, s3, v1
	s_waitcnt lgkmcnt(0)
	s_cmp_eq_u32 s2, 0
	v_cmp_gt_i32_e64 s[2:3], s9, v0
	v_or_b32_e32 v2, 32, v0
	s_cselect_b64 vcc, -1, 0
	s_and_b64 s[4:5], s[0:1], s[2:3]
	v_cmp_gt_i32_e64 s[2:3], s9, v2
	v_or_b32_e32 v3, 64, v0
	s_and_b64 s[18:19], s[0:1], s[2:3]
	v_cmp_gt_i32_e64 s[2:3], s9, v3
	v_or_b32_e32 v4, 0x60, v0
	s_and_b64 s[20:21], s[0:1], s[2:3]
	v_cmp_gt_i32_e64 s[2:3], s9, v4
	s_and_b64 s[2:3], s[0:1], s[2:3]
	s_mul_i32 s0, s8, s12
	s_mul_i32 s1, s9, s12
	s_ashr_i32 s13, s12, 31
	v_add_u32_e32 v5, s0, v1
	v_add_u32_e32 v9, s1, v0
	;; [unrolled: 1-line block ×3, first 2 shown]
	s_lshl_b64 s[0:1], s[12:13], 2
	v_add_u32_e32 v6, 0x60, v9
	v_add_u32_e32 v7, 64, v9
	;; [unrolled: 1-line block ×3, first 2 shown]
	s_add_u32 s22, s22, s0
	s_movk_i32 s28, 0x60
	v_mul_lo_u32 v5, s9, v5
	v_mul_lo_u32 v6, s8, v6
	;; [unrolled: 1-line block ×6, first 2 shown]
	s_addc_u32 s23, s23, s1
	s_branch .LBB111_7
.LBB111_6:                              ;   in Loop: Header=BB111_7 Depth=1
	s_or_b64 exec, exec, s[24:25]
	s_add_i32 s12, s12, 1
	s_add_u32 s22, s22, 4
	s_addc_u32 s23, s23, 0
	v_add_u32_e32 v5, s27, v5
	v_add_u32_e32 v1, s27, v1
	s_cmp_ge_i32 s12, s26
	v_add_u32_e32 v10, s9, v10
	s_cbranch_scc1 .LBB111_15
.LBB111_7:                              ; =>This Inner Loop Header: Depth=1
	s_load_dword s0, s[22:23], 0x0
	s_waitcnt lgkmcnt(0)
	s_sub_i32 s0, s0, s11
	s_mul_i32 s8, s0, s9
	s_add_i32 s8, s8, s10
	s_and_saveexec_b64 s[24:25], s[4:5]
	s_cbranch_execnz .LBB111_11
; %bb.8:                                ;   in Loop: Header=BB111_7 Depth=1
	s_or_b64 exec, exec, s[24:25]
	s_and_saveexec_b64 s[24:25], s[18:19]
	s_cbranch_execnz .LBB111_12
.LBB111_9:                              ;   in Loop: Header=BB111_7 Depth=1
	s_or_b64 exec, exec, s[24:25]
	s_and_saveexec_b64 s[24:25], s[20:21]
	s_cbranch_execnz .LBB111_13
.LBB111_10:                             ;   in Loop: Header=BB111_7 Depth=1
	s_or_b64 exec, exec, s[24:25]
	s_and_saveexec_b64 s[24:25], s[2:3]
	s_cbranch_execz .LBB111_6
	s_branch .LBB111_14
.LBB111_11:                             ;   in Loop: Header=BB111_7 Depth=1
	v_add_u32_e32 v11, v0, v5
	v_add_u32_e32 v12, v9, v1
	v_cndmask_b32_e32 v12, v12, v11, vcc
	v_ashrrev_i32_e32 v13, 31, v12
	v_lshlrev_b64 v[12:13], 3, v[12:13]
	v_mov_b32_e32 v11, s15
	v_add_co_u32_e64 v12, s[0:1], s14, v12
	v_addc_co_u32_e64 v13, s[0:1], v11, v13, s[0:1]
	global_load_dwordx2 v[12:13], v[12:13], off
	v_add_u32_e32 v14, v0, v10
	v_ashrrev_i32_e32 v15, 31, v14
	v_lshlrev_b64 v[16:17], 2, v[14:15]
	v_mov_b32_e32 v18, s17
	v_add_co_u32_e64 v16, s[0:1], s16, v16
	v_add_u32_e32 v11, s8, v0
	v_addc_co_u32_e64 v17, s[0:1], v18, v17, s[0:1]
	v_lshlrev_b64 v[14:15], 3, v[14:15]
	global_store_dword v[16:17], v11, off
	v_mov_b32_e32 v11, s7
	v_add_co_u32_e64 v14, s[0:1], s6, v14
	v_addc_co_u32_e64 v15, s[0:1], v11, v15, s[0:1]
	s_waitcnt vmcnt(1)
	global_store_dwordx2 v[14:15], v[12:13], off
	s_or_b64 exec, exec, s[24:25]
	s_and_saveexec_b64 s[24:25], s[18:19]
	s_cbranch_execz .LBB111_9
.LBB111_12:                             ;   in Loop: Header=BB111_7 Depth=1
	v_add3_u32 v11, v0, v5, 32
	v_add_u32_e32 v12, v8, v1
	v_cndmask_b32_e32 v12, v12, v11, vcc
	v_ashrrev_i32_e32 v13, 31, v12
	v_lshlrev_b64 v[12:13], 3, v[12:13]
	v_mov_b32_e32 v11, s15
	v_add_co_u32_e64 v12, s[0:1], s14, v12
	v_addc_co_u32_e64 v13, s[0:1], v11, v13, s[0:1]
	global_load_dwordx2 v[12:13], v[12:13], off
	v_add3_u32 v14, v0, v10, 32
	v_ashrrev_i32_e32 v15, 31, v14
	v_lshlrev_b64 v[16:17], 2, v[14:15]
	v_mov_b32_e32 v18, s17
	v_add_co_u32_e64 v16, s[0:1], s16, v16
	v_add_u32_e32 v11, s8, v2
	v_addc_co_u32_e64 v17, s[0:1], v18, v17, s[0:1]
	v_lshlrev_b64 v[14:15], 3, v[14:15]
	global_store_dword v[16:17], v11, off
	v_mov_b32_e32 v11, s7
	v_add_co_u32_e64 v14, s[0:1], s6, v14
	v_addc_co_u32_e64 v15, s[0:1], v11, v15, s[0:1]
	s_waitcnt vmcnt(1)
	global_store_dwordx2 v[14:15], v[12:13], off
	s_or_b64 exec, exec, s[24:25]
	s_and_saveexec_b64 s[24:25], s[20:21]
	s_cbranch_execz .LBB111_10
.LBB111_13:                             ;   in Loop: Header=BB111_7 Depth=1
	v_add3_u32 v11, v0, v5, 64
	v_add_u32_e32 v12, v7, v1
	v_cndmask_b32_e32 v12, v12, v11, vcc
	v_ashrrev_i32_e32 v13, 31, v12
	v_lshlrev_b64 v[12:13], 3, v[12:13]
	v_mov_b32_e32 v11, s15
	v_add_co_u32_e64 v12, s[0:1], s14, v12
	v_addc_co_u32_e64 v13, s[0:1], v11, v13, s[0:1]
	global_load_dwordx2 v[12:13], v[12:13], off
	v_add3_u32 v14, v0, v10, 64
	v_ashrrev_i32_e32 v15, 31, v14
	v_lshlrev_b64 v[16:17], 2, v[14:15]
	v_mov_b32_e32 v18, s17
	v_add_co_u32_e64 v16, s[0:1], s16, v16
	v_add_u32_e32 v11, s8, v3
	v_addc_co_u32_e64 v17, s[0:1], v18, v17, s[0:1]
	v_lshlrev_b64 v[14:15], 3, v[14:15]
	global_store_dword v[16:17], v11, off
	v_mov_b32_e32 v11, s7
	v_add_co_u32_e64 v14, s[0:1], s6, v14
	v_addc_co_u32_e64 v15, s[0:1], v11, v15, s[0:1]
	s_waitcnt vmcnt(1)
	global_store_dwordx2 v[14:15], v[12:13], off
	s_or_b64 exec, exec, s[24:25]
	s_and_saveexec_b64 s[24:25], s[2:3]
	s_cbranch_execz .LBB111_6
.LBB111_14:                             ;   in Loop: Header=BB111_7 Depth=1
	v_add3_u32 v11, v0, v5, s28
	v_add_u32_e32 v12, v6, v1
	v_cndmask_b32_e32 v12, v12, v11, vcc
	v_ashrrev_i32_e32 v13, 31, v12
	v_lshlrev_b64 v[12:13], 3, v[12:13]
	v_mov_b32_e32 v11, s15
	v_add_co_u32_e64 v12, s[0:1], s14, v12
	v_addc_co_u32_e64 v13, s[0:1], v11, v13, s[0:1]
	global_load_dwordx2 v[12:13], v[12:13], off
	v_add3_u32 v14, v0, v10, s28
	v_ashrrev_i32_e32 v15, 31, v14
	v_lshlrev_b64 v[16:17], 2, v[14:15]
	v_mov_b32_e32 v18, s17
	v_add_co_u32_e64 v16, s[0:1], s16, v16
	v_add_u32_e32 v11, s8, v4
	v_addc_co_u32_e64 v17, s[0:1], v18, v17, s[0:1]
	v_lshlrev_b64 v[14:15], 3, v[14:15]
	global_store_dword v[16:17], v11, off
	v_mov_b32_e32 v11, s7
	v_add_co_u32_e64 v14, s[0:1], s6, v14
	v_addc_co_u32_e64 v15, s[0:1], v11, v15, s[0:1]
	s_waitcnt vmcnt(1)
	global_store_dwordx2 v[14:15], v[12:13], off
	s_branch .LBB111_6
.LBB111_15:
	s_endpgm
	.section	.rodata,"a",@progbits
	.p2align	6, 0x0
	.amdhsa_kernel _ZN9rocsparseL37gebsr2csr_block_per_row_33_128_kernelILi1024ELi4ELi128ELi4ELi32E21rocsparse_complex_numIfEEEv20rocsparse_direction_ii21rocsparse_index_base_PKT4_PKiS9_iiS4_PS5_PiSB_
		.amdhsa_group_segment_fixed_size 0
		.amdhsa_private_segment_fixed_size 0
		.amdhsa_kernarg_size 80
		.amdhsa_user_sgpr_count 6
		.amdhsa_user_sgpr_private_segment_buffer 1
		.amdhsa_user_sgpr_dispatch_ptr 0
		.amdhsa_user_sgpr_queue_ptr 0
		.amdhsa_user_sgpr_kernarg_segment_ptr 1
		.amdhsa_user_sgpr_dispatch_id 0
		.amdhsa_user_sgpr_flat_scratch_init 0
		.amdhsa_user_sgpr_kernarg_preload_length 0
		.amdhsa_user_sgpr_kernarg_preload_offset 0
		.amdhsa_user_sgpr_private_segment_size 0
		.amdhsa_uses_dynamic_stack 0
		.amdhsa_system_sgpr_private_segment_wavefront_offset 0
		.amdhsa_system_sgpr_workgroup_id_x 1
		.amdhsa_system_sgpr_workgroup_id_y 0
		.amdhsa_system_sgpr_workgroup_id_z 0
		.amdhsa_system_sgpr_workgroup_info 0
		.amdhsa_system_vgpr_workitem_id 0
		.amdhsa_next_free_vgpr 19
		.amdhsa_next_free_sgpr 29
		.amdhsa_accum_offset 20
		.amdhsa_reserve_vcc 1
		.amdhsa_reserve_flat_scratch 0
		.amdhsa_float_round_mode_32 0
		.amdhsa_float_round_mode_16_64 0
		.amdhsa_float_denorm_mode_32 3
		.amdhsa_float_denorm_mode_16_64 3
		.amdhsa_dx10_clamp 1
		.amdhsa_ieee_mode 1
		.amdhsa_fp16_overflow 0
		.amdhsa_tg_split 0
		.amdhsa_exception_fp_ieee_invalid_op 0
		.amdhsa_exception_fp_denorm_src 0
		.amdhsa_exception_fp_ieee_div_zero 0
		.amdhsa_exception_fp_ieee_overflow 0
		.amdhsa_exception_fp_ieee_underflow 0
		.amdhsa_exception_fp_ieee_inexact 0
		.amdhsa_exception_int_div_zero 0
	.end_amdhsa_kernel
	.section	.text._ZN9rocsparseL37gebsr2csr_block_per_row_33_128_kernelILi1024ELi4ELi128ELi4ELi32E21rocsparse_complex_numIfEEEv20rocsparse_direction_ii21rocsparse_index_base_PKT4_PKiS9_iiS4_PS5_PiSB_,"axG",@progbits,_ZN9rocsparseL37gebsr2csr_block_per_row_33_128_kernelILi1024ELi4ELi128ELi4ELi32E21rocsparse_complex_numIfEEEv20rocsparse_direction_ii21rocsparse_index_base_PKT4_PKiS9_iiS4_PS5_PiSB_,comdat
.Lfunc_end111:
	.size	_ZN9rocsparseL37gebsr2csr_block_per_row_33_128_kernelILi1024ELi4ELi128ELi4ELi32E21rocsparse_complex_numIfEEEv20rocsparse_direction_ii21rocsparse_index_base_PKT4_PKiS9_iiS4_PS5_PiSB_, .Lfunc_end111-_ZN9rocsparseL37gebsr2csr_block_per_row_33_128_kernelILi1024ELi4ELi128ELi4ELi32E21rocsparse_complex_numIfEEEv20rocsparse_direction_ii21rocsparse_index_base_PKT4_PKiS9_iiS4_PS5_PiSB_
                                        ; -- End function
	.section	.AMDGPU.csdata,"",@progbits
; Kernel info:
; codeLenInByte = 1192
; NumSgprs: 33
; NumVgprs: 19
; NumAgprs: 0
; TotalNumVgprs: 19
; ScratchSize: 0
; MemoryBound: 0
; FloatMode: 240
; IeeeMode: 1
; LDSByteSize: 0 bytes/workgroup (compile time only)
; SGPRBlocks: 4
; VGPRBlocks: 2
; NumSGPRsForWavesPerEU: 33
; NumVGPRsForWavesPerEU: 19
; AccumOffset: 20
; Occupancy: 8
; WaveLimiterHint : 1
; COMPUTE_PGM_RSRC2:SCRATCH_EN: 0
; COMPUTE_PGM_RSRC2:USER_SGPR: 6
; COMPUTE_PGM_RSRC2:TRAP_HANDLER: 0
; COMPUTE_PGM_RSRC2:TGID_X_EN: 1
; COMPUTE_PGM_RSRC2:TGID_Y_EN: 0
; COMPUTE_PGM_RSRC2:TGID_Z_EN: 0
; COMPUTE_PGM_RSRC2:TIDIG_COMP_CNT: 0
; COMPUTE_PGM_RSRC3_GFX90A:ACCUM_OFFSET: 4
; COMPUTE_PGM_RSRC3_GFX90A:TG_SPLIT: 0
	.section	.text._ZN9rocsparseL35gebsr2csr_block_per_row_1_32_kernelILi1024ELi8ELi2E21rocsparse_complex_numIfEEEv20rocsparse_direction_ii21rocsparse_index_base_PKT2_PKiS9_iiS4_PS5_PiSB_,"axG",@progbits,_ZN9rocsparseL35gebsr2csr_block_per_row_1_32_kernelILi1024ELi8ELi2E21rocsparse_complex_numIfEEEv20rocsparse_direction_ii21rocsparse_index_base_PKT2_PKiS9_iiS4_PS5_PiSB_,comdat
	.globl	_ZN9rocsparseL35gebsr2csr_block_per_row_1_32_kernelILi1024ELi8ELi2E21rocsparse_complex_numIfEEEv20rocsparse_direction_ii21rocsparse_index_base_PKT2_PKiS9_iiS4_PS5_PiSB_ ; -- Begin function _ZN9rocsparseL35gebsr2csr_block_per_row_1_32_kernelILi1024ELi8ELi2E21rocsparse_complex_numIfEEEv20rocsparse_direction_ii21rocsparse_index_base_PKT2_PKiS9_iiS4_PS5_PiSB_
	.p2align	8
	.type	_ZN9rocsparseL35gebsr2csr_block_per_row_1_32_kernelILi1024ELi8ELi2E21rocsparse_complex_numIfEEEv20rocsparse_direction_ii21rocsparse_index_base_PKT2_PKiS9_iiS4_PS5_PiSB_,@function
_ZN9rocsparseL35gebsr2csr_block_per_row_1_32_kernelILi1024ELi8ELi2E21rocsparse_complex_numIfEEEv20rocsparse_direction_ii21rocsparse_index_base_PKT2_PKiS9_iiS4_PS5_PiSB_: ; @_ZN9rocsparseL35gebsr2csr_block_per_row_1_32_kernelILi1024ELi8ELi2E21rocsparse_complex_numIfEEEv20rocsparse_direction_ii21rocsparse_index_base_PKT2_PKiS9_iiS4_PS5_PiSB_
; %bb.0:
	s_load_dwordx2 s[0:1], s[4:5], 0x18
	s_load_dwordx4 s[8:11], s[4:5], 0x28
	s_load_dwordx2 s[2:3], s[4:5], 0x40
	s_ashr_i32 s7, s6, 31
	s_lshl_b64 s[12:13], s[6:7], 2
	s_waitcnt lgkmcnt(0)
	s_add_u32 s12, s0, s12
	v_or_b32_e32 v1, s6, v0
	s_addc_u32 s13, s1, s13
	v_cmp_eq_u32_e32 vcc, 0, v1
	s_and_saveexec_b64 s[0:1], vcc
	s_cbranch_execz .LBB112_2
; %bb.1:
	v_mov_b32_e32 v1, 0
	v_mov_b32_e32 v2, s10
	global_store_dword v1, v2, s[2:3]
.LBB112_2:
	s_or_b64 exec, exec, s[0:1]
	v_and_b32_e32 v6, 1, v0
	v_bfe_u32 v8, v0, 1, 3
	v_cmp_gt_i32_e32 vcc, s8, v8
	v_cmp_gt_i32_e64 s[0:1], s9, v6
	s_and_b64 s[0:1], vcc, s[0:1]
	s_and_saveexec_b64 s[14:15], s[0:1]
	s_cbranch_execz .LBB112_6
; %bb.3:
	s_load_dwordx2 s[14:15], s[12:13], 0x0
	s_load_dword s11, s[4:5], 0xc
	s_mul_i32 s6, s6, s8
	v_add_u32_e32 v2, s6, v8
	s_mul_i32 s1, s9, s8
	v_ashrrev_i32_e32 v3, 31, v2
	s_waitcnt lgkmcnt(0)
	s_sub_i32 s0, s14, s11
	s_sub_i32 s14, s15, s11
	;; [unrolled: 1-line block ×3, first 2 shown]
	s_mul_i32 s12, s15, s9
	v_lshrrev_b32_e32 v1, 4, v0
	s_mul_i32 s7, s0, s1
	v_mul_lo_u32 v0, s12, v8
	s_add_i32 s12, s12, s10
	v_lshlrev_b64 v[2:3], 2, v[2:3]
	s_add_i32 s12, s12, s7
	v_mov_b32_e32 v4, s3
	v_add_co_u32_e32 v2, vcc, s2, v2
	v_add_u32_e32 v0, s12, v0
	v_addc_co_u32_e32 v3, vcc, v4, v3, vcc
	global_store_dword v[2:3], v0, off offset:4
	v_add_u32_e32 v0, s0, v1
	v_cmp_gt_i32_e32 vcc, s14, v0
	s_and_b64 exec, exec, vcc
	s_cbranch_execz .LBB112_6
; %bb.4:
	s_load_dwordx2 s[16:17], s[4:5], 0x20
	s_load_dwordx2 s[2:3], s[4:5], 0x38
	s_load_dword s18, s[4:5], 0x0
	s_load_dwordx2 s[6:7], s[4:5], 0x10
	s_load_dwordx2 s[12:13], s[4:5], 0x48
	v_mad_u64_u32 v[4:5], s[4:5], v6, s8, v[8:9]
	s_waitcnt lgkmcnt(0)
	s_cmp_eq_u32 s18, 0
	v_mad_u64_u32 v[10:11], s[4:5], v8, s9, v[6:7]
	s_cselect_b64 vcc, -1, 0
	s_mul_i32 s0, s8, s0
	v_mul_lo_u32 v3, s15, v8
	v_cndmask_b32_e32 v4, v4, v10, vcc
	v_add3_u32 v1, v1, s0, v3
	v_add_u32_e32 v2, s10, v6
	v_mad_u64_u32 v[4:5], s[4:5], s1, v0, v[4:5]
	s_lshl_b32 s10, s1, 6
	v_mad_u64_u32 v[6:7], s[0:1], s9, v1, v[6:7]
	v_ashrrev_i32_e32 v1, 31, v0
	v_lshlrev_b64 v[8:9], 2, v[0:1]
	v_mov_b32_e32 v1, s17
	v_add_co_u32_e32 v8, vcc, s16, v8
	s_lshl_b32 s8, s9, 6
	v_addc_co_u32_e32 v9, vcc, v1, v9, vcc
	s_mov_b64 s[4:5], 0
	v_mov_b32_e32 v1, s13
	v_mov_b32_e32 v3, s7
	;; [unrolled: 1-line block ×3, first 2 shown]
.LBB112_5:                              ; =>This Inner Loop Header: Depth=1
	v_ashrrev_i32_e32 v5, 31, v4
	global_load_dword v11, v[8:9], off
	v_lshlrev_b64 v[12:13], 3, v[4:5]
	v_add_co_u32_e32 v12, vcc, s6, v12
	v_addc_co_u32_e32 v13, vcc, v3, v13, vcc
	global_load_dwordx2 v[12:13], v[12:13], off
	v_ashrrev_i32_e32 v7, 31, v6
	v_lshlrev_b64 v[14:15], 2, v[6:7]
	v_add_co_u32_e32 v8, vcc, 0x100, v8
	v_add_co_u32_e64 v14, s[0:1], s12, v14
	v_add_u32_e32 v0, 64, v0
	v_lshlrev_b64 v[16:17], 3, v[6:7]
	v_addc_co_u32_e32 v9, vcc, 0, v9, vcc
	v_addc_co_u32_e64 v15, s[0:1], v1, v15, s[0:1]
	v_cmp_le_i32_e32 vcc, s14, v0
	v_add_co_u32_e64 v16, s[0:1], s2, v16
	v_add_u32_e32 v4, s10, v4
	v_add_u32_e32 v6, s8, v6
	v_addc_co_u32_e64 v17, s[0:1], v10, v17, s[0:1]
	s_or_b64 s[4:5], vcc, s[4:5]
	s_waitcnt vmcnt(1)
	v_subrev_u32_e32 v5, s11, v11
	v_mad_u64_u32 v[18:19], s[0:1], v5, s9, v[2:3]
	global_store_dword v[14:15], v18, off
	s_waitcnt vmcnt(1)
	global_store_dwordx2 v[16:17], v[12:13], off
	s_andn2_b64 exec, exec, s[4:5]
	s_cbranch_execnz .LBB112_5
.LBB112_6:
	s_endpgm
	.section	.rodata,"a",@progbits
	.p2align	6, 0x0
	.amdhsa_kernel _ZN9rocsparseL35gebsr2csr_block_per_row_1_32_kernelILi1024ELi8ELi2E21rocsparse_complex_numIfEEEv20rocsparse_direction_ii21rocsparse_index_base_PKT2_PKiS9_iiS4_PS5_PiSB_
		.amdhsa_group_segment_fixed_size 0
		.amdhsa_private_segment_fixed_size 0
		.amdhsa_kernarg_size 80
		.amdhsa_user_sgpr_count 6
		.amdhsa_user_sgpr_private_segment_buffer 1
		.amdhsa_user_sgpr_dispatch_ptr 0
		.amdhsa_user_sgpr_queue_ptr 0
		.amdhsa_user_sgpr_kernarg_segment_ptr 1
		.amdhsa_user_sgpr_dispatch_id 0
		.amdhsa_user_sgpr_flat_scratch_init 0
		.amdhsa_user_sgpr_kernarg_preload_length 0
		.amdhsa_user_sgpr_kernarg_preload_offset 0
		.amdhsa_user_sgpr_private_segment_size 0
		.amdhsa_uses_dynamic_stack 0
		.amdhsa_system_sgpr_private_segment_wavefront_offset 0
		.amdhsa_system_sgpr_workgroup_id_x 1
		.amdhsa_system_sgpr_workgroup_id_y 0
		.amdhsa_system_sgpr_workgroup_id_z 0
		.amdhsa_system_sgpr_workgroup_info 0
		.amdhsa_system_vgpr_workitem_id 0
		.amdhsa_next_free_vgpr 20
		.amdhsa_next_free_sgpr 19
		.amdhsa_accum_offset 20
		.amdhsa_reserve_vcc 1
		.amdhsa_reserve_flat_scratch 0
		.amdhsa_float_round_mode_32 0
		.amdhsa_float_round_mode_16_64 0
		.amdhsa_float_denorm_mode_32 3
		.amdhsa_float_denorm_mode_16_64 3
		.amdhsa_dx10_clamp 1
		.amdhsa_ieee_mode 1
		.amdhsa_fp16_overflow 0
		.amdhsa_tg_split 0
		.amdhsa_exception_fp_ieee_invalid_op 0
		.amdhsa_exception_fp_denorm_src 0
		.amdhsa_exception_fp_ieee_div_zero 0
		.amdhsa_exception_fp_ieee_overflow 0
		.amdhsa_exception_fp_ieee_underflow 0
		.amdhsa_exception_fp_ieee_inexact 0
		.amdhsa_exception_int_div_zero 0
	.end_amdhsa_kernel
	.section	.text._ZN9rocsparseL35gebsr2csr_block_per_row_1_32_kernelILi1024ELi8ELi2E21rocsparse_complex_numIfEEEv20rocsparse_direction_ii21rocsparse_index_base_PKT2_PKiS9_iiS4_PS5_PiSB_,"axG",@progbits,_ZN9rocsparseL35gebsr2csr_block_per_row_1_32_kernelILi1024ELi8ELi2E21rocsparse_complex_numIfEEEv20rocsparse_direction_ii21rocsparse_index_base_PKT2_PKiS9_iiS4_PS5_PiSB_,comdat
.Lfunc_end112:
	.size	_ZN9rocsparseL35gebsr2csr_block_per_row_1_32_kernelILi1024ELi8ELi2E21rocsparse_complex_numIfEEEv20rocsparse_direction_ii21rocsparse_index_base_PKT2_PKiS9_iiS4_PS5_PiSB_, .Lfunc_end112-_ZN9rocsparseL35gebsr2csr_block_per_row_1_32_kernelILi1024ELi8ELi2E21rocsparse_complex_numIfEEEv20rocsparse_direction_ii21rocsparse_index_base_PKT2_PKiS9_iiS4_PS5_PiSB_
                                        ; -- End function
	.section	.AMDGPU.csdata,"",@progbits
; Kernel info:
; codeLenInByte = 568
; NumSgprs: 23
; NumVgprs: 20
; NumAgprs: 0
; TotalNumVgprs: 20
; ScratchSize: 0
; MemoryBound: 0
; FloatMode: 240
; IeeeMode: 1
; LDSByteSize: 0 bytes/workgroup (compile time only)
; SGPRBlocks: 2
; VGPRBlocks: 2
; NumSGPRsForWavesPerEU: 23
; NumVGPRsForWavesPerEU: 20
; AccumOffset: 20
; Occupancy: 8
; WaveLimiterHint : 0
; COMPUTE_PGM_RSRC2:SCRATCH_EN: 0
; COMPUTE_PGM_RSRC2:USER_SGPR: 6
; COMPUTE_PGM_RSRC2:TRAP_HANDLER: 0
; COMPUTE_PGM_RSRC2:TGID_X_EN: 1
; COMPUTE_PGM_RSRC2:TGID_Y_EN: 0
; COMPUTE_PGM_RSRC2:TGID_Z_EN: 0
; COMPUTE_PGM_RSRC2:TIDIG_COMP_CNT: 0
; COMPUTE_PGM_RSRC3_GFX90A:ACCUM_OFFSET: 4
; COMPUTE_PGM_RSRC3_GFX90A:TG_SPLIT: 0
	.section	.text._ZN9rocsparseL35gebsr2csr_block_per_row_1_32_kernelILi1024ELi8ELi4E21rocsparse_complex_numIfEEEv20rocsparse_direction_ii21rocsparse_index_base_PKT2_PKiS9_iiS4_PS5_PiSB_,"axG",@progbits,_ZN9rocsparseL35gebsr2csr_block_per_row_1_32_kernelILi1024ELi8ELi4E21rocsparse_complex_numIfEEEv20rocsparse_direction_ii21rocsparse_index_base_PKT2_PKiS9_iiS4_PS5_PiSB_,comdat
	.globl	_ZN9rocsparseL35gebsr2csr_block_per_row_1_32_kernelILi1024ELi8ELi4E21rocsparse_complex_numIfEEEv20rocsparse_direction_ii21rocsparse_index_base_PKT2_PKiS9_iiS4_PS5_PiSB_ ; -- Begin function _ZN9rocsparseL35gebsr2csr_block_per_row_1_32_kernelILi1024ELi8ELi4E21rocsparse_complex_numIfEEEv20rocsparse_direction_ii21rocsparse_index_base_PKT2_PKiS9_iiS4_PS5_PiSB_
	.p2align	8
	.type	_ZN9rocsparseL35gebsr2csr_block_per_row_1_32_kernelILi1024ELi8ELi4E21rocsparse_complex_numIfEEEv20rocsparse_direction_ii21rocsparse_index_base_PKT2_PKiS9_iiS4_PS5_PiSB_,@function
_ZN9rocsparseL35gebsr2csr_block_per_row_1_32_kernelILi1024ELi8ELi4E21rocsparse_complex_numIfEEEv20rocsparse_direction_ii21rocsparse_index_base_PKT2_PKiS9_iiS4_PS5_PiSB_: ; @_ZN9rocsparseL35gebsr2csr_block_per_row_1_32_kernelILi1024ELi8ELi4E21rocsparse_complex_numIfEEEv20rocsparse_direction_ii21rocsparse_index_base_PKT2_PKiS9_iiS4_PS5_PiSB_
; %bb.0:
	s_load_dwordx2 s[0:1], s[4:5], 0x18
	s_load_dwordx4 s[8:11], s[4:5], 0x28
	s_load_dwordx2 s[2:3], s[4:5], 0x40
	s_ashr_i32 s7, s6, 31
	s_lshl_b64 s[12:13], s[6:7], 2
	s_waitcnt lgkmcnt(0)
	s_add_u32 s12, s0, s12
	v_or_b32_e32 v1, s6, v0
	s_addc_u32 s13, s1, s13
	v_cmp_eq_u32_e32 vcc, 0, v1
	s_and_saveexec_b64 s[0:1], vcc
	s_cbranch_execz .LBB113_2
; %bb.1:
	v_mov_b32_e32 v1, 0
	v_mov_b32_e32 v2, s10
	global_store_dword v1, v2, s[2:3]
.LBB113_2:
	s_or_b64 exec, exec, s[0:1]
	v_and_b32_e32 v6, 3, v0
	v_bfe_u32 v8, v0, 2, 3
	v_cmp_gt_i32_e32 vcc, s8, v8
	v_cmp_gt_i32_e64 s[0:1], s9, v6
	s_and_b64 s[0:1], vcc, s[0:1]
	s_and_saveexec_b64 s[14:15], s[0:1]
	s_cbranch_execz .LBB113_6
; %bb.3:
	s_load_dwordx2 s[14:15], s[12:13], 0x0
	s_load_dword s11, s[4:5], 0xc
	s_mul_i32 s6, s6, s8
	v_add_u32_e32 v2, s6, v8
	s_mul_i32 s1, s9, s8
	v_ashrrev_i32_e32 v3, 31, v2
	s_waitcnt lgkmcnt(0)
	s_sub_i32 s0, s14, s11
	s_sub_i32 s14, s15, s11
	;; [unrolled: 1-line block ×3, first 2 shown]
	s_mul_i32 s12, s15, s9
	v_lshrrev_b32_e32 v1, 5, v0
	s_mul_i32 s7, s0, s1
	v_mul_lo_u32 v0, s12, v8
	s_add_i32 s12, s12, s10
	v_lshlrev_b64 v[2:3], 2, v[2:3]
	s_add_i32 s12, s12, s7
	v_mov_b32_e32 v4, s3
	v_add_co_u32_e32 v2, vcc, s2, v2
	v_add_u32_e32 v0, s12, v0
	v_addc_co_u32_e32 v3, vcc, v4, v3, vcc
	global_store_dword v[2:3], v0, off offset:4
	v_add_u32_e32 v0, s0, v1
	v_cmp_gt_i32_e32 vcc, s14, v0
	s_and_b64 exec, exec, vcc
	s_cbranch_execz .LBB113_6
; %bb.4:
	s_load_dwordx2 s[16:17], s[4:5], 0x20
	s_load_dwordx2 s[2:3], s[4:5], 0x38
	s_load_dword s18, s[4:5], 0x0
	s_load_dwordx2 s[6:7], s[4:5], 0x10
	s_load_dwordx2 s[12:13], s[4:5], 0x48
	v_mad_u64_u32 v[4:5], s[4:5], v6, s8, v[8:9]
	s_waitcnt lgkmcnt(0)
	s_cmp_eq_u32 s18, 0
	v_mad_u64_u32 v[10:11], s[4:5], v8, s9, v[6:7]
	s_cselect_b64 vcc, -1, 0
	s_mul_i32 s0, s8, s0
	v_mul_lo_u32 v3, s15, v8
	v_cndmask_b32_e32 v4, v4, v10, vcc
	v_add3_u32 v1, v1, s0, v3
	v_add_u32_e32 v2, s10, v6
	v_mad_u64_u32 v[4:5], s[4:5], s1, v0, v[4:5]
	s_lshl_b32 s10, s1, 5
	v_mad_u64_u32 v[6:7], s[0:1], s9, v1, v[6:7]
	v_ashrrev_i32_e32 v1, 31, v0
	v_lshlrev_b64 v[8:9], 2, v[0:1]
	v_mov_b32_e32 v1, s17
	v_add_co_u32_e32 v8, vcc, s16, v8
	s_lshl_b32 s8, s9, 5
	v_addc_co_u32_e32 v9, vcc, v1, v9, vcc
	s_mov_b64 s[4:5], 0
	v_mov_b32_e32 v1, s13
	v_mov_b32_e32 v3, s7
	;; [unrolled: 1-line block ×3, first 2 shown]
.LBB113_5:                              ; =>This Inner Loop Header: Depth=1
	v_ashrrev_i32_e32 v5, 31, v4
	global_load_dword v11, v[8:9], off
	v_lshlrev_b64 v[12:13], 3, v[4:5]
	v_add_co_u32_e32 v12, vcc, s6, v12
	v_addc_co_u32_e32 v13, vcc, v3, v13, vcc
	global_load_dwordx2 v[12:13], v[12:13], off
	v_ashrrev_i32_e32 v7, 31, v6
	v_lshlrev_b64 v[14:15], 2, v[6:7]
	v_add_co_u32_e32 v8, vcc, 0x80, v8
	v_add_co_u32_e64 v14, s[0:1], s12, v14
	v_add_u32_e32 v0, 32, v0
	v_lshlrev_b64 v[16:17], 3, v[6:7]
	v_addc_co_u32_e32 v9, vcc, 0, v9, vcc
	v_addc_co_u32_e64 v15, s[0:1], v1, v15, s[0:1]
	v_cmp_le_i32_e32 vcc, s14, v0
	v_add_co_u32_e64 v16, s[0:1], s2, v16
	v_add_u32_e32 v4, s10, v4
	v_add_u32_e32 v6, s8, v6
	v_addc_co_u32_e64 v17, s[0:1], v10, v17, s[0:1]
	s_or_b64 s[4:5], vcc, s[4:5]
	s_waitcnt vmcnt(1)
	v_subrev_u32_e32 v5, s11, v11
	v_mad_u64_u32 v[18:19], s[0:1], v5, s9, v[2:3]
	global_store_dword v[14:15], v18, off
	s_waitcnt vmcnt(1)
	global_store_dwordx2 v[16:17], v[12:13], off
	s_andn2_b64 exec, exec, s[4:5]
	s_cbranch_execnz .LBB113_5
.LBB113_6:
	s_endpgm
	.section	.rodata,"a",@progbits
	.p2align	6, 0x0
	.amdhsa_kernel _ZN9rocsparseL35gebsr2csr_block_per_row_1_32_kernelILi1024ELi8ELi4E21rocsparse_complex_numIfEEEv20rocsparse_direction_ii21rocsparse_index_base_PKT2_PKiS9_iiS4_PS5_PiSB_
		.amdhsa_group_segment_fixed_size 0
		.amdhsa_private_segment_fixed_size 0
		.amdhsa_kernarg_size 80
		.amdhsa_user_sgpr_count 6
		.amdhsa_user_sgpr_private_segment_buffer 1
		.amdhsa_user_sgpr_dispatch_ptr 0
		.amdhsa_user_sgpr_queue_ptr 0
		.amdhsa_user_sgpr_kernarg_segment_ptr 1
		.amdhsa_user_sgpr_dispatch_id 0
		.amdhsa_user_sgpr_flat_scratch_init 0
		.amdhsa_user_sgpr_kernarg_preload_length 0
		.amdhsa_user_sgpr_kernarg_preload_offset 0
		.amdhsa_user_sgpr_private_segment_size 0
		.amdhsa_uses_dynamic_stack 0
		.amdhsa_system_sgpr_private_segment_wavefront_offset 0
		.amdhsa_system_sgpr_workgroup_id_x 1
		.amdhsa_system_sgpr_workgroup_id_y 0
		.amdhsa_system_sgpr_workgroup_id_z 0
		.amdhsa_system_sgpr_workgroup_info 0
		.amdhsa_system_vgpr_workitem_id 0
		.amdhsa_next_free_vgpr 20
		.amdhsa_next_free_sgpr 19
		.amdhsa_accum_offset 20
		.amdhsa_reserve_vcc 1
		.amdhsa_reserve_flat_scratch 0
		.amdhsa_float_round_mode_32 0
		.amdhsa_float_round_mode_16_64 0
		.amdhsa_float_denorm_mode_32 3
		.amdhsa_float_denorm_mode_16_64 3
		.amdhsa_dx10_clamp 1
		.amdhsa_ieee_mode 1
		.amdhsa_fp16_overflow 0
		.amdhsa_tg_split 0
		.amdhsa_exception_fp_ieee_invalid_op 0
		.amdhsa_exception_fp_denorm_src 0
		.amdhsa_exception_fp_ieee_div_zero 0
		.amdhsa_exception_fp_ieee_overflow 0
		.amdhsa_exception_fp_ieee_underflow 0
		.amdhsa_exception_fp_ieee_inexact 0
		.amdhsa_exception_int_div_zero 0
	.end_amdhsa_kernel
	.section	.text._ZN9rocsparseL35gebsr2csr_block_per_row_1_32_kernelILi1024ELi8ELi4E21rocsparse_complex_numIfEEEv20rocsparse_direction_ii21rocsparse_index_base_PKT2_PKiS9_iiS4_PS5_PiSB_,"axG",@progbits,_ZN9rocsparseL35gebsr2csr_block_per_row_1_32_kernelILi1024ELi8ELi4E21rocsparse_complex_numIfEEEv20rocsparse_direction_ii21rocsparse_index_base_PKT2_PKiS9_iiS4_PS5_PiSB_,comdat
.Lfunc_end113:
	.size	_ZN9rocsparseL35gebsr2csr_block_per_row_1_32_kernelILi1024ELi8ELi4E21rocsparse_complex_numIfEEEv20rocsparse_direction_ii21rocsparse_index_base_PKT2_PKiS9_iiS4_PS5_PiSB_, .Lfunc_end113-_ZN9rocsparseL35gebsr2csr_block_per_row_1_32_kernelILi1024ELi8ELi4E21rocsparse_complex_numIfEEEv20rocsparse_direction_ii21rocsparse_index_base_PKT2_PKiS9_iiS4_PS5_PiSB_
                                        ; -- End function
	.section	.AMDGPU.csdata,"",@progbits
; Kernel info:
; codeLenInByte = 568
; NumSgprs: 23
; NumVgprs: 20
; NumAgprs: 0
; TotalNumVgprs: 20
; ScratchSize: 0
; MemoryBound: 0
; FloatMode: 240
; IeeeMode: 1
; LDSByteSize: 0 bytes/workgroup (compile time only)
; SGPRBlocks: 2
; VGPRBlocks: 2
; NumSGPRsForWavesPerEU: 23
; NumVGPRsForWavesPerEU: 20
; AccumOffset: 20
; Occupancy: 8
; WaveLimiterHint : 0
; COMPUTE_PGM_RSRC2:SCRATCH_EN: 0
; COMPUTE_PGM_RSRC2:USER_SGPR: 6
; COMPUTE_PGM_RSRC2:TRAP_HANDLER: 0
; COMPUTE_PGM_RSRC2:TGID_X_EN: 1
; COMPUTE_PGM_RSRC2:TGID_Y_EN: 0
; COMPUTE_PGM_RSRC2:TGID_Z_EN: 0
; COMPUTE_PGM_RSRC2:TIDIG_COMP_CNT: 0
; COMPUTE_PGM_RSRC3_GFX90A:ACCUM_OFFSET: 4
; COMPUTE_PGM_RSRC3_GFX90A:TG_SPLIT: 0
	.section	.text._ZN9rocsparseL35gebsr2csr_block_per_row_1_32_kernelILi1024ELi8ELi8E21rocsparse_complex_numIfEEEv20rocsparse_direction_ii21rocsparse_index_base_PKT2_PKiS9_iiS4_PS5_PiSB_,"axG",@progbits,_ZN9rocsparseL35gebsr2csr_block_per_row_1_32_kernelILi1024ELi8ELi8E21rocsparse_complex_numIfEEEv20rocsparse_direction_ii21rocsparse_index_base_PKT2_PKiS9_iiS4_PS5_PiSB_,comdat
	.globl	_ZN9rocsparseL35gebsr2csr_block_per_row_1_32_kernelILi1024ELi8ELi8E21rocsparse_complex_numIfEEEv20rocsparse_direction_ii21rocsparse_index_base_PKT2_PKiS9_iiS4_PS5_PiSB_ ; -- Begin function _ZN9rocsparseL35gebsr2csr_block_per_row_1_32_kernelILi1024ELi8ELi8E21rocsparse_complex_numIfEEEv20rocsparse_direction_ii21rocsparse_index_base_PKT2_PKiS9_iiS4_PS5_PiSB_
	.p2align	8
	.type	_ZN9rocsparseL35gebsr2csr_block_per_row_1_32_kernelILi1024ELi8ELi8E21rocsparse_complex_numIfEEEv20rocsparse_direction_ii21rocsparse_index_base_PKT2_PKiS9_iiS4_PS5_PiSB_,@function
_ZN9rocsparseL35gebsr2csr_block_per_row_1_32_kernelILi1024ELi8ELi8E21rocsparse_complex_numIfEEEv20rocsparse_direction_ii21rocsparse_index_base_PKT2_PKiS9_iiS4_PS5_PiSB_: ; @_ZN9rocsparseL35gebsr2csr_block_per_row_1_32_kernelILi1024ELi8ELi8E21rocsparse_complex_numIfEEEv20rocsparse_direction_ii21rocsparse_index_base_PKT2_PKiS9_iiS4_PS5_PiSB_
; %bb.0:
	s_load_dwordx2 s[0:1], s[4:5], 0x18
	s_load_dwordx4 s[8:11], s[4:5], 0x28
	s_load_dwordx2 s[2:3], s[4:5], 0x40
	s_ashr_i32 s7, s6, 31
	s_lshl_b64 s[12:13], s[6:7], 2
	s_waitcnt lgkmcnt(0)
	s_add_u32 s12, s0, s12
	v_or_b32_e32 v1, s6, v0
	s_addc_u32 s13, s1, s13
	v_cmp_eq_u32_e32 vcc, 0, v1
	s_and_saveexec_b64 s[0:1], vcc
	s_cbranch_execz .LBB114_2
; %bb.1:
	v_mov_b32_e32 v1, 0
	v_mov_b32_e32 v2, s10
	global_store_dword v1, v2, s[2:3]
.LBB114_2:
	s_or_b64 exec, exec, s[0:1]
	v_and_b32_e32 v6, 7, v0
	v_bfe_u32 v8, v0, 3, 3
	v_cmp_gt_i32_e32 vcc, s8, v8
	v_cmp_gt_i32_e64 s[0:1], s9, v6
	s_and_b64 s[0:1], vcc, s[0:1]
	s_and_saveexec_b64 s[14:15], s[0:1]
	s_cbranch_execz .LBB114_6
; %bb.3:
	s_load_dwordx2 s[14:15], s[12:13], 0x0
	s_load_dword s11, s[4:5], 0xc
	s_mul_i32 s6, s6, s8
	v_add_u32_e32 v2, s6, v8
	s_mul_i32 s1, s9, s8
	v_ashrrev_i32_e32 v3, 31, v2
	s_waitcnt lgkmcnt(0)
	s_sub_i32 s0, s14, s11
	s_sub_i32 s14, s15, s11
	;; [unrolled: 1-line block ×3, first 2 shown]
	s_mul_i32 s12, s15, s9
	v_lshrrev_b32_e32 v1, 6, v0
	s_mul_i32 s7, s0, s1
	v_mul_lo_u32 v0, s12, v8
	s_add_i32 s12, s12, s10
	v_lshlrev_b64 v[2:3], 2, v[2:3]
	s_add_i32 s12, s12, s7
	v_mov_b32_e32 v4, s3
	v_add_co_u32_e32 v2, vcc, s2, v2
	v_add_u32_e32 v0, s12, v0
	v_addc_co_u32_e32 v3, vcc, v4, v3, vcc
	global_store_dword v[2:3], v0, off offset:4
	v_add_u32_e32 v0, s0, v1
	v_cmp_gt_i32_e32 vcc, s14, v0
	s_and_b64 exec, exec, vcc
	s_cbranch_execz .LBB114_6
; %bb.4:
	s_load_dwordx2 s[16:17], s[4:5], 0x20
	s_load_dwordx2 s[2:3], s[4:5], 0x38
	s_load_dword s18, s[4:5], 0x0
	s_load_dwordx2 s[6:7], s[4:5], 0x10
	s_load_dwordx2 s[12:13], s[4:5], 0x48
	v_mad_u64_u32 v[4:5], s[4:5], v6, s8, v[8:9]
	s_waitcnt lgkmcnt(0)
	s_cmp_eq_u32 s18, 0
	v_mad_u64_u32 v[10:11], s[4:5], v8, s9, v[6:7]
	s_cselect_b64 vcc, -1, 0
	s_mul_i32 s0, s8, s0
	v_mul_lo_u32 v3, s15, v8
	v_cndmask_b32_e32 v4, v4, v10, vcc
	v_add3_u32 v1, v1, s0, v3
	v_add_u32_e32 v2, s10, v6
	v_mad_u64_u32 v[4:5], s[4:5], s1, v0, v[4:5]
	s_lshl_b32 s10, s1, 4
	v_mad_u64_u32 v[6:7], s[0:1], s9, v1, v[6:7]
	v_ashrrev_i32_e32 v1, 31, v0
	v_lshlrev_b64 v[8:9], 2, v[0:1]
	v_mov_b32_e32 v1, s17
	v_add_co_u32_e32 v8, vcc, s16, v8
	s_lshl_b32 s8, s9, 4
	v_addc_co_u32_e32 v9, vcc, v1, v9, vcc
	s_mov_b64 s[4:5], 0
	v_mov_b32_e32 v1, s13
	v_mov_b32_e32 v3, s7
	;; [unrolled: 1-line block ×3, first 2 shown]
.LBB114_5:                              ; =>This Inner Loop Header: Depth=1
	v_ashrrev_i32_e32 v5, 31, v4
	global_load_dword v11, v[8:9], off
	v_lshlrev_b64 v[12:13], 3, v[4:5]
	v_add_co_u32_e32 v12, vcc, s6, v12
	v_addc_co_u32_e32 v13, vcc, v3, v13, vcc
	global_load_dwordx2 v[12:13], v[12:13], off
	v_ashrrev_i32_e32 v7, 31, v6
	v_lshlrev_b64 v[14:15], 2, v[6:7]
	v_add_co_u32_e32 v8, vcc, 64, v8
	v_add_co_u32_e64 v14, s[0:1], s12, v14
	v_add_u32_e32 v0, 16, v0
	v_addc_co_u32_e32 v9, vcc, 0, v9, vcc
	v_lshlrev_b64 v[16:17], 3, v[6:7]
	v_addc_co_u32_e64 v15, s[0:1], v1, v15, s[0:1]
	v_cmp_le_i32_e32 vcc, s14, v0
	v_add_co_u32_e64 v16, s[0:1], s2, v16
	v_add_u32_e32 v4, s10, v4
	v_add_u32_e32 v6, s8, v6
	v_addc_co_u32_e64 v17, s[0:1], v10, v17, s[0:1]
	s_or_b64 s[4:5], vcc, s[4:5]
	s_waitcnt vmcnt(1)
	v_subrev_u32_e32 v5, s11, v11
	v_mad_u64_u32 v[18:19], s[0:1], v5, s9, v[2:3]
	global_store_dword v[14:15], v18, off
	s_waitcnt vmcnt(1)
	global_store_dwordx2 v[16:17], v[12:13], off
	s_andn2_b64 exec, exec, s[4:5]
	s_cbranch_execnz .LBB114_5
.LBB114_6:
	s_endpgm
	.section	.rodata,"a",@progbits
	.p2align	6, 0x0
	.amdhsa_kernel _ZN9rocsparseL35gebsr2csr_block_per_row_1_32_kernelILi1024ELi8ELi8E21rocsparse_complex_numIfEEEv20rocsparse_direction_ii21rocsparse_index_base_PKT2_PKiS9_iiS4_PS5_PiSB_
		.amdhsa_group_segment_fixed_size 0
		.amdhsa_private_segment_fixed_size 0
		.amdhsa_kernarg_size 80
		.amdhsa_user_sgpr_count 6
		.amdhsa_user_sgpr_private_segment_buffer 1
		.amdhsa_user_sgpr_dispatch_ptr 0
		.amdhsa_user_sgpr_queue_ptr 0
		.amdhsa_user_sgpr_kernarg_segment_ptr 1
		.amdhsa_user_sgpr_dispatch_id 0
		.amdhsa_user_sgpr_flat_scratch_init 0
		.amdhsa_user_sgpr_kernarg_preload_length 0
		.amdhsa_user_sgpr_kernarg_preload_offset 0
		.amdhsa_user_sgpr_private_segment_size 0
		.amdhsa_uses_dynamic_stack 0
		.amdhsa_system_sgpr_private_segment_wavefront_offset 0
		.amdhsa_system_sgpr_workgroup_id_x 1
		.amdhsa_system_sgpr_workgroup_id_y 0
		.amdhsa_system_sgpr_workgroup_id_z 0
		.amdhsa_system_sgpr_workgroup_info 0
		.amdhsa_system_vgpr_workitem_id 0
		.amdhsa_next_free_vgpr 20
		.amdhsa_next_free_sgpr 19
		.amdhsa_accum_offset 20
		.amdhsa_reserve_vcc 1
		.amdhsa_reserve_flat_scratch 0
		.amdhsa_float_round_mode_32 0
		.amdhsa_float_round_mode_16_64 0
		.amdhsa_float_denorm_mode_32 3
		.amdhsa_float_denorm_mode_16_64 3
		.amdhsa_dx10_clamp 1
		.amdhsa_ieee_mode 1
		.amdhsa_fp16_overflow 0
		.amdhsa_tg_split 0
		.amdhsa_exception_fp_ieee_invalid_op 0
		.amdhsa_exception_fp_denorm_src 0
		.amdhsa_exception_fp_ieee_div_zero 0
		.amdhsa_exception_fp_ieee_overflow 0
		.amdhsa_exception_fp_ieee_underflow 0
		.amdhsa_exception_fp_ieee_inexact 0
		.amdhsa_exception_int_div_zero 0
	.end_amdhsa_kernel
	.section	.text._ZN9rocsparseL35gebsr2csr_block_per_row_1_32_kernelILi1024ELi8ELi8E21rocsparse_complex_numIfEEEv20rocsparse_direction_ii21rocsparse_index_base_PKT2_PKiS9_iiS4_PS5_PiSB_,"axG",@progbits,_ZN9rocsparseL35gebsr2csr_block_per_row_1_32_kernelILi1024ELi8ELi8E21rocsparse_complex_numIfEEEv20rocsparse_direction_ii21rocsparse_index_base_PKT2_PKiS9_iiS4_PS5_PiSB_,comdat
.Lfunc_end114:
	.size	_ZN9rocsparseL35gebsr2csr_block_per_row_1_32_kernelILi1024ELi8ELi8E21rocsparse_complex_numIfEEEv20rocsparse_direction_ii21rocsparse_index_base_PKT2_PKiS9_iiS4_PS5_PiSB_, .Lfunc_end114-_ZN9rocsparseL35gebsr2csr_block_per_row_1_32_kernelILi1024ELi8ELi8E21rocsparse_complex_numIfEEEv20rocsparse_direction_ii21rocsparse_index_base_PKT2_PKiS9_iiS4_PS5_PiSB_
                                        ; -- End function
	.section	.AMDGPU.csdata,"",@progbits
; Kernel info:
; codeLenInByte = 564
; NumSgprs: 23
; NumVgprs: 20
; NumAgprs: 0
; TotalNumVgprs: 20
; ScratchSize: 0
; MemoryBound: 0
; FloatMode: 240
; IeeeMode: 1
; LDSByteSize: 0 bytes/workgroup (compile time only)
; SGPRBlocks: 2
; VGPRBlocks: 2
; NumSGPRsForWavesPerEU: 23
; NumVGPRsForWavesPerEU: 20
; AccumOffset: 20
; Occupancy: 8
; WaveLimiterHint : 0
; COMPUTE_PGM_RSRC2:SCRATCH_EN: 0
; COMPUTE_PGM_RSRC2:USER_SGPR: 6
; COMPUTE_PGM_RSRC2:TRAP_HANDLER: 0
; COMPUTE_PGM_RSRC2:TGID_X_EN: 1
; COMPUTE_PGM_RSRC2:TGID_Y_EN: 0
; COMPUTE_PGM_RSRC2:TGID_Z_EN: 0
; COMPUTE_PGM_RSRC2:TIDIG_COMP_CNT: 0
; COMPUTE_PGM_RSRC3_GFX90A:ACCUM_OFFSET: 4
; COMPUTE_PGM_RSRC3_GFX90A:TG_SPLIT: 0
	.section	.text._ZN9rocsparseL35gebsr2csr_block_per_row_1_32_kernelILi1024ELi8ELi16E21rocsparse_complex_numIfEEEv20rocsparse_direction_ii21rocsparse_index_base_PKT2_PKiS9_iiS4_PS5_PiSB_,"axG",@progbits,_ZN9rocsparseL35gebsr2csr_block_per_row_1_32_kernelILi1024ELi8ELi16E21rocsparse_complex_numIfEEEv20rocsparse_direction_ii21rocsparse_index_base_PKT2_PKiS9_iiS4_PS5_PiSB_,comdat
	.globl	_ZN9rocsparseL35gebsr2csr_block_per_row_1_32_kernelILi1024ELi8ELi16E21rocsparse_complex_numIfEEEv20rocsparse_direction_ii21rocsparse_index_base_PKT2_PKiS9_iiS4_PS5_PiSB_ ; -- Begin function _ZN9rocsparseL35gebsr2csr_block_per_row_1_32_kernelILi1024ELi8ELi16E21rocsparse_complex_numIfEEEv20rocsparse_direction_ii21rocsparse_index_base_PKT2_PKiS9_iiS4_PS5_PiSB_
	.p2align	8
	.type	_ZN9rocsparseL35gebsr2csr_block_per_row_1_32_kernelILi1024ELi8ELi16E21rocsparse_complex_numIfEEEv20rocsparse_direction_ii21rocsparse_index_base_PKT2_PKiS9_iiS4_PS5_PiSB_,@function
_ZN9rocsparseL35gebsr2csr_block_per_row_1_32_kernelILi1024ELi8ELi16E21rocsparse_complex_numIfEEEv20rocsparse_direction_ii21rocsparse_index_base_PKT2_PKiS9_iiS4_PS5_PiSB_: ; @_ZN9rocsparseL35gebsr2csr_block_per_row_1_32_kernelILi1024ELi8ELi16E21rocsparse_complex_numIfEEEv20rocsparse_direction_ii21rocsparse_index_base_PKT2_PKiS9_iiS4_PS5_PiSB_
; %bb.0:
	s_load_dwordx2 s[0:1], s[4:5], 0x18
	s_load_dwordx4 s[8:11], s[4:5], 0x28
	s_load_dwordx2 s[2:3], s[4:5], 0x40
	s_ashr_i32 s7, s6, 31
	s_lshl_b64 s[12:13], s[6:7], 2
	s_waitcnt lgkmcnt(0)
	s_add_u32 s12, s0, s12
	v_or_b32_e32 v1, s6, v0
	s_addc_u32 s13, s1, s13
	v_cmp_eq_u32_e32 vcc, 0, v1
	s_and_saveexec_b64 s[0:1], vcc
	s_cbranch_execz .LBB115_2
; %bb.1:
	v_mov_b32_e32 v1, 0
	v_mov_b32_e32 v2, s10
	global_store_dword v1, v2, s[2:3]
.LBB115_2:
	s_or_b64 exec, exec, s[0:1]
	v_and_b32_e32 v6, 15, v0
	v_bfe_u32 v8, v0, 4, 3
	v_cmp_gt_i32_e32 vcc, s8, v8
	v_cmp_gt_i32_e64 s[0:1], s9, v6
	s_and_b64 s[0:1], vcc, s[0:1]
	s_and_saveexec_b64 s[14:15], s[0:1]
	s_cbranch_execz .LBB115_6
; %bb.3:
	s_load_dwordx2 s[14:15], s[12:13], 0x0
	s_load_dword s11, s[4:5], 0xc
	s_mul_i32 s6, s6, s8
	v_add_u32_e32 v2, s6, v8
	s_mul_i32 s1, s9, s8
	v_ashrrev_i32_e32 v3, 31, v2
	s_waitcnt lgkmcnt(0)
	s_sub_i32 s0, s14, s11
	s_sub_i32 s14, s15, s11
	;; [unrolled: 1-line block ×3, first 2 shown]
	s_mul_i32 s12, s15, s9
	v_lshrrev_b32_e32 v1, 7, v0
	s_mul_i32 s7, s0, s1
	v_mul_lo_u32 v0, s12, v8
	s_add_i32 s12, s12, s10
	v_lshlrev_b64 v[2:3], 2, v[2:3]
	s_add_i32 s12, s12, s7
	v_mov_b32_e32 v4, s3
	v_add_co_u32_e32 v2, vcc, s2, v2
	v_add_u32_e32 v0, s12, v0
	v_addc_co_u32_e32 v3, vcc, v4, v3, vcc
	global_store_dword v[2:3], v0, off offset:4
	v_add_u32_e32 v0, s0, v1
	v_cmp_gt_i32_e32 vcc, s14, v0
	s_and_b64 exec, exec, vcc
	s_cbranch_execz .LBB115_6
; %bb.4:
	s_load_dwordx2 s[16:17], s[4:5], 0x20
	s_load_dwordx2 s[2:3], s[4:5], 0x38
	s_load_dword s18, s[4:5], 0x0
	s_load_dwordx2 s[6:7], s[4:5], 0x10
	s_load_dwordx2 s[12:13], s[4:5], 0x48
	v_mad_u64_u32 v[4:5], s[4:5], v6, s8, v[8:9]
	s_waitcnt lgkmcnt(0)
	s_cmp_eq_u32 s18, 0
	v_mad_u64_u32 v[10:11], s[4:5], v8, s9, v[6:7]
	s_cselect_b64 vcc, -1, 0
	s_mul_i32 s0, s8, s0
	v_mul_lo_u32 v3, s15, v8
	v_cndmask_b32_e32 v4, v4, v10, vcc
	v_add3_u32 v1, v1, s0, v3
	v_add_u32_e32 v2, s10, v6
	v_mad_u64_u32 v[4:5], s[4:5], s1, v0, v[4:5]
	s_lshl_b32 s10, s1, 3
	v_mad_u64_u32 v[6:7], s[0:1], s9, v1, v[6:7]
	v_ashrrev_i32_e32 v1, 31, v0
	v_lshlrev_b64 v[8:9], 2, v[0:1]
	v_mov_b32_e32 v1, s17
	v_add_co_u32_e32 v8, vcc, s16, v8
	s_lshl_b32 s8, s9, 3
	v_addc_co_u32_e32 v9, vcc, v1, v9, vcc
	s_mov_b64 s[4:5], 0
	v_mov_b32_e32 v1, s13
	v_mov_b32_e32 v3, s7
	;; [unrolled: 1-line block ×3, first 2 shown]
.LBB115_5:                              ; =>This Inner Loop Header: Depth=1
	v_ashrrev_i32_e32 v5, 31, v4
	global_load_dword v11, v[8:9], off
	v_lshlrev_b64 v[12:13], 3, v[4:5]
	v_add_co_u32_e32 v12, vcc, s6, v12
	v_addc_co_u32_e32 v13, vcc, v3, v13, vcc
	global_load_dwordx2 v[12:13], v[12:13], off
	v_ashrrev_i32_e32 v7, 31, v6
	v_lshlrev_b64 v[14:15], 2, v[6:7]
	v_add_co_u32_e32 v8, vcc, 32, v8
	v_add_co_u32_e64 v14, s[0:1], s12, v14
	v_add_u32_e32 v0, 8, v0
	v_addc_co_u32_e32 v9, vcc, 0, v9, vcc
	v_lshlrev_b64 v[16:17], 3, v[6:7]
	v_addc_co_u32_e64 v15, s[0:1], v1, v15, s[0:1]
	v_cmp_le_i32_e32 vcc, s14, v0
	v_add_co_u32_e64 v16, s[0:1], s2, v16
	v_add_u32_e32 v4, s10, v4
	v_add_u32_e32 v6, s8, v6
	v_addc_co_u32_e64 v17, s[0:1], v10, v17, s[0:1]
	s_or_b64 s[4:5], vcc, s[4:5]
	s_waitcnt vmcnt(1)
	v_subrev_u32_e32 v5, s11, v11
	v_mad_u64_u32 v[18:19], s[0:1], v5, s9, v[2:3]
	global_store_dword v[14:15], v18, off
	s_waitcnt vmcnt(1)
	global_store_dwordx2 v[16:17], v[12:13], off
	s_andn2_b64 exec, exec, s[4:5]
	s_cbranch_execnz .LBB115_5
.LBB115_6:
	s_endpgm
	.section	.rodata,"a",@progbits
	.p2align	6, 0x0
	.amdhsa_kernel _ZN9rocsparseL35gebsr2csr_block_per_row_1_32_kernelILi1024ELi8ELi16E21rocsparse_complex_numIfEEEv20rocsparse_direction_ii21rocsparse_index_base_PKT2_PKiS9_iiS4_PS5_PiSB_
		.amdhsa_group_segment_fixed_size 0
		.amdhsa_private_segment_fixed_size 0
		.amdhsa_kernarg_size 80
		.amdhsa_user_sgpr_count 6
		.amdhsa_user_sgpr_private_segment_buffer 1
		.amdhsa_user_sgpr_dispatch_ptr 0
		.amdhsa_user_sgpr_queue_ptr 0
		.amdhsa_user_sgpr_kernarg_segment_ptr 1
		.amdhsa_user_sgpr_dispatch_id 0
		.amdhsa_user_sgpr_flat_scratch_init 0
		.amdhsa_user_sgpr_kernarg_preload_length 0
		.amdhsa_user_sgpr_kernarg_preload_offset 0
		.amdhsa_user_sgpr_private_segment_size 0
		.amdhsa_uses_dynamic_stack 0
		.amdhsa_system_sgpr_private_segment_wavefront_offset 0
		.amdhsa_system_sgpr_workgroup_id_x 1
		.amdhsa_system_sgpr_workgroup_id_y 0
		.amdhsa_system_sgpr_workgroup_id_z 0
		.amdhsa_system_sgpr_workgroup_info 0
		.amdhsa_system_vgpr_workitem_id 0
		.amdhsa_next_free_vgpr 20
		.amdhsa_next_free_sgpr 19
		.amdhsa_accum_offset 20
		.amdhsa_reserve_vcc 1
		.amdhsa_reserve_flat_scratch 0
		.amdhsa_float_round_mode_32 0
		.amdhsa_float_round_mode_16_64 0
		.amdhsa_float_denorm_mode_32 3
		.amdhsa_float_denorm_mode_16_64 3
		.amdhsa_dx10_clamp 1
		.amdhsa_ieee_mode 1
		.amdhsa_fp16_overflow 0
		.amdhsa_tg_split 0
		.amdhsa_exception_fp_ieee_invalid_op 0
		.amdhsa_exception_fp_denorm_src 0
		.amdhsa_exception_fp_ieee_div_zero 0
		.amdhsa_exception_fp_ieee_overflow 0
		.amdhsa_exception_fp_ieee_underflow 0
		.amdhsa_exception_fp_ieee_inexact 0
		.amdhsa_exception_int_div_zero 0
	.end_amdhsa_kernel
	.section	.text._ZN9rocsparseL35gebsr2csr_block_per_row_1_32_kernelILi1024ELi8ELi16E21rocsparse_complex_numIfEEEv20rocsparse_direction_ii21rocsparse_index_base_PKT2_PKiS9_iiS4_PS5_PiSB_,"axG",@progbits,_ZN9rocsparseL35gebsr2csr_block_per_row_1_32_kernelILi1024ELi8ELi16E21rocsparse_complex_numIfEEEv20rocsparse_direction_ii21rocsparse_index_base_PKT2_PKiS9_iiS4_PS5_PiSB_,comdat
.Lfunc_end115:
	.size	_ZN9rocsparseL35gebsr2csr_block_per_row_1_32_kernelILi1024ELi8ELi16E21rocsparse_complex_numIfEEEv20rocsparse_direction_ii21rocsparse_index_base_PKT2_PKiS9_iiS4_PS5_PiSB_, .Lfunc_end115-_ZN9rocsparseL35gebsr2csr_block_per_row_1_32_kernelILi1024ELi8ELi16E21rocsparse_complex_numIfEEEv20rocsparse_direction_ii21rocsparse_index_base_PKT2_PKiS9_iiS4_PS5_PiSB_
                                        ; -- End function
	.section	.AMDGPU.csdata,"",@progbits
; Kernel info:
; codeLenInByte = 564
; NumSgprs: 23
; NumVgprs: 20
; NumAgprs: 0
; TotalNumVgprs: 20
; ScratchSize: 0
; MemoryBound: 0
; FloatMode: 240
; IeeeMode: 1
; LDSByteSize: 0 bytes/workgroup (compile time only)
; SGPRBlocks: 2
; VGPRBlocks: 2
; NumSGPRsForWavesPerEU: 23
; NumVGPRsForWavesPerEU: 20
; AccumOffset: 20
; Occupancy: 8
; WaveLimiterHint : 0
; COMPUTE_PGM_RSRC2:SCRATCH_EN: 0
; COMPUTE_PGM_RSRC2:USER_SGPR: 6
; COMPUTE_PGM_RSRC2:TRAP_HANDLER: 0
; COMPUTE_PGM_RSRC2:TGID_X_EN: 1
; COMPUTE_PGM_RSRC2:TGID_Y_EN: 0
; COMPUTE_PGM_RSRC2:TGID_Z_EN: 0
; COMPUTE_PGM_RSRC2:TIDIG_COMP_CNT: 0
; COMPUTE_PGM_RSRC3_GFX90A:ACCUM_OFFSET: 4
; COMPUTE_PGM_RSRC3_GFX90A:TG_SPLIT: 0
	.section	.text._ZN9rocsparseL35gebsr2csr_block_per_row_1_32_kernelILi1024ELi8ELi32E21rocsparse_complex_numIfEEEv20rocsparse_direction_ii21rocsparse_index_base_PKT2_PKiS9_iiS4_PS5_PiSB_,"axG",@progbits,_ZN9rocsparseL35gebsr2csr_block_per_row_1_32_kernelILi1024ELi8ELi32E21rocsparse_complex_numIfEEEv20rocsparse_direction_ii21rocsparse_index_base_PKT2_PKiS9_iiS4_PS5_PiSB_,comdat
	.globl	_ZN9rocsparseL35gebsr2csr_block_per_row_1_32_kernelILi1024ELi8ELi32E21rocsparse_complex_numIfEEEv20rocsparse_direction_ii21rocsparse_index_base_PKT2_PKiS9_iiS4_PS5_PiSB_ ; -- Begin function _ZN9rocsparseL35gebsr2csr_block_per_row_1_32_kernelILi1024ELi8ELi32E21rocsparse_complex_numIfEEEv20rocsparse_direction_ii21rocsparse_index_base_PKT2_PKiS9_iiS4_PS5_PiSB_
	.p2align	8
	.type	_ZN9rocsparseL35gebsr2csr_block_per_row_1_32_kernelILi1024ELi8ELi32E21rocsparse_complex_numIfEEEv20rocsparse_direction_ii21rocsparse_index_base_PKT2_PKiS9_iiS4_PS5_PiSB_,@function
_ZN9rocsparseL35gebsr2csr_block_per_row_1_32_kernelILi1024ELi8ELi32E21rocsparse_complex_numIfEEEv20rocsparse_direction_ii21rocsparse_index_base_PKT2_PKiS9_iiS4_PS5_PiSB_: ; @_ZN9rocsparseL35gebsr2csr_block_per_row_1_32_kernelILi1024ELi8ELi32E21rocsparse_complex_numIfEEEv20rocsparse_direction_ii21rocsparse_index_base_PKT2_PKiS9_iiS4_PS5_PiSB_
; %bb.0:
	s_load_dwordx2 s[0:1], s[4:5], 0x18
	s_load_dwordx4 s[8:11], s[4:5], 0x28
	s_load_dwordx2 s[2:3], s[4:5], 0x40
	s_ashr_i32 s7, s6, 31
	s_lshl_b64 s[12:13], s[6:7], 2
	s_waitcnt lgkmcnt(0)
	s_add_u32 s12, s0, s12
	v_or_b32_e32 v1, s6, v0
	s_addc_u32 s13, s1, s13
	v_cmp_eq_u32_e32 vcc, 0, v1
	s_and_saveexec_b64 s[0:1], vcc
	s_cbranch_execz .LBB116_2
; %bb.1:
	v_mov_b32_e32 v1, 0
	v_mov_b32_e32 v2, s10
	global_store_dword v1, v2, s[2:3]
.LBB116_2:
	s_or_b64 exec, exec, s[0:1]
	v_and_b32_e32 v6, 31, v0
	v_bfe_u32 v8, v0, 5, 3
	v_cmp_gt_i32_e32 vcc, s8, v8
	v_cmp_gt_i32_e64 s[0:1], s9, v6
	s_and_b64 s[0:1], vcc, s[0:1]
	s_and_saveexec_b64 s[14:15], s[0:1]
	s_cbranch_execz .LBB116_6
; %bb.3:
	s_load_dwordx2 s[14:15], s[12:13], 0x0
	s_load_dword s11, s[4:5], 0xc
	s_mul_i32 s6, s6, s8
	v_add_u32_e32 v2, s6, v8
	s_mul_i32 s1, s9, s8
	v_ashrrev_i32_e32 v3, 31, v2
	s_waitcnt lgkmcnt(0)
	s_sub_i32 s0, s14, s11
	s_sub_i32 s14, s15, s11
	;; [unrolled: 1-line block ×3, first 2 shown]
	s_mul_i32 s12, s15, s9
	v_lshrrev_b32_e32 v1, 8, v0
	s_mul_i32 s7, s0, s1
	v_mul_lo_u32 v0, s12, v8
	s_add_i32 s12, s12, s10
	v_lshlrev_b64 v[2:3], 2, v[2:3]
	s_add_i32 s12, s12, s7
	v_mov_b32_e32 v4, s3
	v_add_co_u32_e32 v2, vcc, s2, v2
	v_add_u32_e32 v0, s12, v0
	v_addc_co_u32_e32 v3, vcc, v4, v3, vcc
	global_store_dword v[2:3], v0, off offset:4
	v_add_u32_e32 v0, s0, v1
	v_cmp_gt_i32_e32 vcc, s14, v0
	s_and_b64 exec, exec, vcc
	s_cbranch_execz .LBB116_6
; %bb.4:
	s_load_dwordx2 s[16:17], s[4:5], 0x20
	s_load_dwordx2 s[2:3], s[4:5], 0x38
	s_load_dword s18, s[4:5], 0x0
	s_load_dwordx2 s[6:7], s[4:5], 0x10
	s_load_dwordx2 s[12:13], s[4:5], 0x48
	v_mad_u64_u32 v[4:5], s[4:5], v6, s8, v[8:9]
	s_waitcnt lgkmcnt(0)
	s_cmp_eq_u32 s18, 0
	v_mad_u64_u32 v[10:11], s[4:5], v8, s9, v[6:7]
	s_cselect_b64 vcc, -1, 0
	s_mul_i32 s0, s8, s0
	v_mul_lo_u32 v3, s15, v8
	v_cndmask_b32_e32 v4, v4, v10, vcc
	v_add3_u32 v1, v1, s0, v3
	v_add_u32_e32 v2, s10, v6
	v_mad_u64_u32 v[4:5], s[4:5], s1, v0, v[4:5]
	s_lshl_b32 s10, s1, 2
	v_mad_u64_u32 v[6:7], s[0:1], s9, v1, v[6:7]
	v_ashrrev_i32_e32 v1, 31, v0
	v_lshlrev_b64 v[8:9], 2, v[0:1]
	v_mov_b32_e32 v1, s17
	v_add_co_u32_e32 v8, vcc, s16, v8
	s_lshl_b32 s8, s9, 2
	v_addc_co_u32_e32 v9, vcc, v1, v9, vcc
	s_mov_b64 s[4:5], 0
	v_mov_b32_e32 v1, s13
	v_mov_b32_e32 v3, s7
	;; [unrolled: 1-line block ×3, first 2 shown]
.LBB116_5:                              ; =>This Inner Loop Header: Depth=1
	v_ashrrev_i32_e32 v5, 31, v4
	global_load_dword v11, v[8:9], off
	v_lshlrev_b64 v[12:13], 3, v[4:5]
	v_add_co_u32_e32 v12, vcc, s6, v12
	v_addc_co_u32_e32 v13, vcc, v3, v13, vcc
	global_load_dwordx2 v[12:13], v[12:13], off
	v_ashrrev_i32_e32 v7, 31, v6
	v_lshlrev_b64 v[14:15], 2, v[6:7]
	v_add_co_u32_e32 v8, vcc, 16, v8
	v_add_co_u32_e64 v14, s[0:1], s12, v14
	v_add_u32_e32 v0, 4, v0
	v_addc_co_u32_e32 v9, vcc, 0, v9, vcc
	v_lshlrev_b64 v[16:17], 3, v[6:7]
	v_addc_co_u32_e64 v15, s[0:1], v1, v15, s[0:1]
	v_cmp_le_i32_e32 vcc, s14, v0
	v_add_co_u32_e64 v16, s[0:1], s2, v16
	v_add_u32_e32 v4, s10, v4
	v_add_u32_e32 v6, s8, v6
	v_addc_co_u32_e64 v17, s[0:1], v10, v17, s[0:1]
	s_or_b64 s[4:5], vcc, s[4:5]
	s_waitcnt vmcnt(1)
	v_subrev_u32_e32 v5, s11, v11
	v_mad_u64_u32 v[18:19], s[0:1], v5, s9, v[2:3]
	global_store_dword v[14:15], v18, off
	s_waitcnt vmcnt(1)
	global_store_dwordx2 v[16:17], v[12:13], off
	s_andn2_b64 exec, exec, s[4:5]
	s_cbranch_execnz .LBB116_5
.LBB116_6:
	s_endpgm
	.section	.rodata,"a",@progbits
	.p2align	6, 0x0
	.amdhsa_kernel _ZN9rocsparseL35gebsr2csr_block_per_row_1_32_kernelILi1024ELi8ELi32E21rocsparse_complex_numIfEEEv20rocsparse_direction_ii21rocsparse_index_base_PKT2_PKiS9_iiS4_PS5_PiSB_
		.amdhsa_group_segment_fixed_size 0
		.amdhsa_private_segment_fixed_size 0
		.amdhsa_kernarg_size 80
		.amdhsa_user_sgpr_count 6
		.amdhsa_user_sgpr_private_segment_buffer 1
		.amdhsa_user_sgpr_dispatch_ptr 0
		.amdhsa_user_sgpr_queue_ptr 0
		.amdhsa_user_sgpr_kernarg_segment_ptr 1
		.amdhsa_user_sgpr_dispatch_id 0
		.amdhsa_user_sgpr_flat_scratch_init 0
		.amdhsa_user_sgpr_kernarg_preload_length 0
		.amdhsa_user_sgpr_kernarg_preload_offset 0
		.amdhsa_user_sgpr_private_segment_size 0
		.amdhsa_uses_dynamic_stack 0
		.amdhsa_system_sgpr_private_segment_wavefront_offset 0
		.amdhsa_system_sgpr_workgroup_id_x 1
		.amdhsa_system_sgpr_workgroup_id_y 0
		.amdhsa_system_sgpr_workgroup_id_z 0
		.amdhsa_system_sgpr_workgroup_info 0
		.amdhsa_system_vgpr_workitem_id 0
		.amdhsa_next_free_vgpr 20
		.amdhsa_next_free_sgpr 19
		.amdhsa_accum_offset 20
		.amdhsa_reserve_vcc 1
		.amdhsa_reserve_flat_scratch 0
		.amdhsa_float_round_mode_32 0
		.amdhsa_float_round_mode_16_64 0
		.amdhsa_float_denorm_mode_32 3
		.amdhsa_float_denorm_mode_16_64 3
		.amdhsa_dx10_clamp 1
		.amdhsa_ieee_mode 1
		.amdhsa_fp16_overflow 0
		.amdhsa_tg_split 0
		.amdhsa_exception_fp_ieee_invalid_op 0
		.amdhsa_exception_fp_denorm_src 0
		.amdhsa_exception_fp_ieee_div_zero 0
		.amdhsa_exception_fp_ieee_overflow 0
		.amdhsa_exception_fp_ieee_underflow 0
		.amdhsa_exception_fp_ieee_inexact 0
		.amdhsa_exception_int_div_zero 0
	.end_amdhsa_kernel
	.section	.text._ZN9rocsparseL35gebsr2csr_block_per_row_1_32_kernelILi1024ELi8ELi32E21rocsparse_complex_numIfEEEv20rocsparse_direction_ii21rocsparse_index_base_PKT2_PKiS9_iiS4_PS5_PiSB_,"axG",@progbits,_ZN9rocsparseL35gebsr2csr_block_per_row_1_32_kernelILi1024ELi8ELi32E21rocsparse_complex_numIfEEEv20rocsparse_direction_ii21rocsparse_index_base_PKT2_PKiS9_iiS4_PS5_PiSB_,comdat
.Lfunc_end116:
	.size	_ZN9rocsparseL35gebsr2csr_block_per_row_1_32_kernelILi1024ELi8ELi32E21rocsparse_complex_numIfEEEv20rocsparse_direction_ii21rocsparse_index_base_PKT2_PKiS9_iiS4_PS5_PiSB_, .Lfunc_end116-_ZN9rocsparseL35gebsr2csr_block_per_row_1_32_kernelILi1024ELi8ELi32E21rocsparse_complex_numIfEEEv20rocsparse_direction_ii21rocsparse_index_base_PKT2_PKiS9_iiS4_PS5_PiSB_
                                        ; -- End function
	.section	.AMDGPU.csdata,"",@progbits
; Kernel info:
; codeLenInByte = 564
; NumSgprs: 23
; NumVgprs: 20
; NumAgprs: 0
; TotalNumVgprs: 20
; ScratchSize: 0
; MemoryBound: 0
; FloatMode: 240
; IeeeMode: 1
; LDSByteSize: 0 bytes/workgroup (compile time only)
; SGPRBlocks: 2
; VGPRBlocks: 2
; NumSGPRsForWavesPerEU: 23
; NumVGPRsForWavesPerEU: 20
; AccumOffset: 20
; Occupancy: 8
; WaveLimiterHint : 0
; COMPUTE_PGM_RSRC2:SCRATCH_EN: 0
; COMPUTE_PGM_RSRC2:USER_SGPR: 6
; COMPUTE_PGM_RSRC2:TRAP_HANDLER: 0
; COMPUTE_PGM_RSRC2:TGID_X_EN: 1
; COMPUTE_PGM_RSRC2:TGID_Y_EN: 0
; COMPUTE_PGM_RSRC2:TGID_Z_EN: 0
; COMPUTE_PGM_RSRC2:TIDIG_COMP_CNT: 0
; COMPUTE_PGM_RSRC3_GFX90A:ACCUM_OFFSET: 4
; COMPUTE_PGM_RSRC3_GFX90A:TG_SPLIT: 0
	.section	.text._ZN9rocsparseL37gebsr2csr_block_per_row_33_128_kernelILi1024ELi8ELi64ELi8ELi32E21rocsparse_complex_numIfEEEv20rocsparse_direction_ii21rocsparse_index_base_PKT4_PKiS9_iiS4_PS5_PiSB_,"axG",@progbits,_ZN9rocsparseL37gebsr2csr_block_per_row_33_128_kernelILi1024ELi8ELi64ELi8ELi32E21rocsparse_complex_numIfEEEv20rocsparse_direction_ii21rocsparse_index_base_PKT4_PKiS9_iiS4_PS5_PiSB_,comdat
	.globl	_ZN9rocsparseL37gebsr2csr_block_per_row_33_128_kernelILi1024ELi8ELi64ELi8ELi32E21rocsparse_complex_numIfEEEv20rocsparse_direction_ii21rocsparse_index_base_PKT4_PKiS9_iiS4_PS5_PiSB_ ; -- Begin function _ZN9rocsparseL37gebsr2csr_block_per_row_33_128_kernelILi1024ELi8ELi64ELi8ELi32E21rocsparse_complex_numIfEEEv20rocsparse_direction_ii21rocsparse_index_base_PKT4_PKiS9_iiS4_PS5_PiSB_
	.p2align	8
	.type	_ZN9rocsparseL37gebsr2csr_block_per_row_33_128_kernelILi1024ELi8ELi64ELi8ELi32E21rocsparse_complex_numIfEEEv20rocsparse_direction_ii21rocsparse_index_base_PKT4_PKiS9_iiS4_PS5_PiSB_,@function
_ZN9rocsparseL37gebsr2csr_block_per_row_33_128_kernelILi1024ELi8ELi64ELi8ELi32E21rocsparse_complex_numIfEEEv20rocsparse_direction_ii21rocsparse_index_base_PKT4_PKiS9_iiS4_PS5_PiSB_: ; @_ZN9rocsparseL37gebsr2csr_block_per_row_33_128_kernelILi1024ELi8ELi64ELi8ELi32E21rocsparse_complex_numIfEEEv20rocsparse_direction_ii21rocsparse_index_base_PKT4_PKiS9_iiS4_PS5_PiSB_
; %bb.0:
	s_load_dwordx2 s[0:1], s[4:5], 0x18
	s_load_dwordx4 s[8:11], s[4:5], 0x28
	s_load_dwordx2 s[2:3], s[4:5], 0x40
	s_ashr_i32 s7, s6, 31
	s_lshl_b64 s[12:13], s[6:7], 2
	s_waitcnt lgkmcnt(0)
	s_add_u32 s0, s0, s12
	s_addc_u32 s1, s1, s13
	s_load_dwordx2 s[14:15], s[0:1], 0x0
	v_or_b32_e32 v1, s6, v0
	v_cmp_eq_u32_e32 vcc, 0, v1
	s_and_saveexec_b64 s[0:1], vcc
	s_cbranch_execz .LBB117_2
; %bb.1:
	v_mov_b32_e32 v1, 0
	v_mov_b32_e32 v2, s10
	global_store_dword v1, v2, s[2:3]
.LBB117_2:
	s_or_b64 exec, exec, s[0:1]
	s_load_dword s11, s[4:5], 0xc
	v_lshrrev_b32_e32 v4, 5, v0
	v_cmp_gt_i32_e64 s[0:1], s8, v4
	s_mul_i32 s23, s9, s8
	s_waitcnt lgkmcnt(0)
	s_sub_i32 s12, s14, s11
	s_sub_i32 s22, s15, s11
	s_and_saveexec_b64 s[16:17], s[0:1]
	s_cbranch_execz .LBB117_4
; %bb.3:
	s_mul_i32 s6, s6, s8
	v_add_u32_e32 v2, s6, v4
	s_mul_i32 s7, s23, s12
	s_sub_i32 s13, s22, s12
	v_ashrrev_i32_e32 v3, 31, v2
	s_mul_i32 s13, s13, s9
	s_add_i32 s7, s7, s10
	v_lshlrev_b64 v[2:3], 2, v[2:3]
	v_mul_lo_u32 v1, s13, v4
	s_add_i32 s7, s7, s13
	v_mov_b32_e32 v5, s3
	v_add_co_u32_e32 v2, vcc, s2, v2
	v_add_u32_e32 v1, s7, v1
	v_addc_co_u32_e32 v3, vcc, v5, v3, vcc
	global_store_dword v[2:3], v1, off offset:4
.LBB117_4:
	s_or_b64 exec, exec, s[16:17]
	s_cmp_ge_i32 s14, s15
	s_cbranch_scc1 .LBB117_11
; %bb.5:
	s_load_dwordx2 s[18:19], s[4:5], 0x20
	s_load_dwordx2 s[6:7], s[4:5], 0x38
	;; [unrolled: 1-line block ×4, first 2 shown]
	s_load_dword s2, s[4:5], 0x0
	s_mul_i32 s13, s8, s12
	v_and_b32_e32 v0, 31, v0
	v_add_u32_e32 v1, s13, v4
	v_mad_u64_u32 v[2:3], s[4:5], s9, v1, v[0:1]
	s_mul_i32 s4, s9, s12
	s_sub_i32 s3, s22, s12
	v_add_u32_e32 v3, s4, v0
	v_mul_lo_u32 v6, s3, v4
	s_waitcnt lgkmcnt(0)
	s_cmp_eq_u32 s2, 0
	v_cmp_gt_i32_e64 s[2:3], s9, v0
	v_mad_u64_u32 v[8:9], s[4:5], s8, v3, v[4:5]
	v_or_b32_e32 v1, 32, v0
	s_cselect_b64 vcc, -1, 0
	s_and_b64 s[4:5], s[0:1], s[2:3]
	v_cmp_gt_i32_e64 s[2:3], s9, v1
	v_add_u32_e32 v3, 32, v3
	s_and_b64 s[2:3], s[0:1], s[2:3]
	v_mad_u64_u32 v[4:5], s[0:1], s8, v3, v[4:5]
	v_add_u32_e32 v3, s13, v6
	v_mad_u64_u32 v[6:7], s[0:1], s9, v3, v[0:1]
	s_ashr_i32 s13, s12, 31
	s_lshl_b64 s[0:1], s[12:13], 2
	s_add_u32 s18, s18, s0
	s_mov_b32 s24, 0
	s_addc_u32 s19, s19, s1
	v_cndmask_b32_e32 v3, v8, v2, vcc
	s_branch .LBB117_7
.LBB117_6:                              ;   in Loop: Header=BB117_7 Depth=1
	s_or_b64 exec, exec, s[20:21]
	s_add_i32 s12, s12, 1
	s_add_i32 s24, s24, s23
	s_add_u32 s18, s18, 4
	s_addc_u32 s19, s19, 0
	s_cmp_ge_i32 s12, s22
	v_add_u32_e32 v6, s9, v6
	s_cbranch_scc1 .LBB117_11
.LBB117_7:                              ; =>This Inner Loop Header: Depth=1
	s_load_dword s0, s[18:19], 0x0
	s_waitcnt lgkmcnt(0)
	s_sub_i32 s0, s0, s11
	s_mul_i32 s8, s0, s9
	s_add_i32 s8, s8, s10
	s_and_saveexec_b64 s[20:21], s[4:5]
	s_cbranch_execz .LBB117_9
; %bb.8:                                ;   in Loop: Header=BB117_7 Depth=1
	v_add_u32_e32 v8, s24, v3
	v_ashrrev_i32_e32 v9, 31, v8
	v_lshlrev_b64 v[8:9], 3, v[8:9]
	v_mov_b32_e32 v5, s17
	v_add_co_u32_e64 v8, s[0:1], s16, v8
	v_addc_co_u32_e64 v9, s[0:1], v5, v9, s[0:1]
	global_load_dwordx2 v[8:9], v[8:9], off
	v_ashrrev_i32_e32 v7, 31, v6
	v_lshlrev_b64 v[10:11], 2, v[6:7]
	v_mov_b32_e32 v12, s15
	v_add_co_u32_e64 v10, s[0:1], s14, v10
	v_add_u32_e32 v5, s8, v0
	v_addc_co_u32_e64 v11, s[0:1], v12, v11, s[0:1]
	global_store_dword v[10:11], v5, off
	v_lshlrev_b64 v[10:11], 3, v[6:7]
	v_mov_b32_e32 v5, s7
	v_add_co_u32_e64 v10, s[0:1], s6, v10
	v_addc_co_u32_e64 v11, s[0:1], v5, v11, s[0:1]
	s_waitcnt vmcnt(1)
	global_store_dwordx2 v[10:11], v[8:9], off
.LBB117_9:                              ;   in Loop: Header=BB117_7 Depth=1
	s_or_b64 exec, exec, s[20:21]
	s_and_saveexec_b64 s[20:21], s[2:3]
	s_cbranch_execz .LBB117_6
; %bb.10:                               ;   in Loop: Header=BB117_7 Depth=1
	v_add3_u32 v5, v2, s24, 32
	v_add_u32_e32 v7, s24, v4
	v_cndmask_b32_e32 v8, v7, v5, vcc
	v_ashrrev_i32_e32 v9, 31, v8
	v_lshlrev_b64 v[8:9], 3, v[8:9]
	v_mov_b32_e32 v5, s17
	v_add_co_u32_e64 v8, s[0:1], s16, v8
	v_addc_co_u32_e64 v9, s[0:1], v5, v9, s[0:1]
	global_load_dwordx2 v[8:9], v[8:9], off
	v_add_u32_e32 v10, 32, v6
	v_ashrrev_i32_e32 v11, 31, v10
	v_lshlrev_b64 v[12:13], 2, v[10:11]
	v_mov_b32_e32 v7, s15
	v_add_co_u32_e64 v12, s[0:1], s14, v12
	v_add_u32_e32 v5, s8, v1
	v_addc_co_u32_e64 v13, s[0:1], v7, v13, s[0:1]
	v_lshlrev_b64 v[10:11], 3, v[10:11]
	global_store_dword v[12:13], v5, off
	v_mov_b32_e32 v5, s7
	v_add_co_u32_e64 v10, s[0:1], s6, v10
	v_addc_co_u32_e64 v11, s[0:1], v5, v11, s[0:1]
	s_waitcnt vmcnt(1)
	global_store_dwordx2 v[10:11], v[8:9], off
	s_branch .LBB117_6
.LBB117_11:
	s_endpgm
	.section	.rodata,"a",@progbits
	.p2align	6, 0x0
	.amdhsa_kernel _ZN9rocsparseL37gebsr2csr_block_per_row_33_128_kernelILi1024ELi8ELi64ELi8ELi32E21rocsparse_complex_numIfEEEv20rocsparse_direction_ii21rocsparse_index_base_PKT4_PKiS9_iiS4_PS5_PiSB_
		.amdhsa_group_segment_fixed_size 0
		.amdhsa_private_segment_fixed_size 0
		.amdhsa_kernarg_size 80
		.amdhsa_user_sgpr_count 6
		.amdhsa_user_sgpr_private_segment_buffer 1
		.amdhsa_user_sgpr_dispatch_ptr 0
		.amdhsa_user_sgpr_queue_ptr 0
		.amdhsa_user_sgpr_kernarg_segment_ptr 1
		.amdhsa_user_sgpr_dispatch_id 0
		.amdhsa_user_sgpr_flat_scratch_init 0
		.amdhsa_user_sgpr_kernarg_preload_length 0
		.amdhsa_user_sgpr_kernarg_preload_offset 0
		.amdhsa_user_sgpr_private_segment_size 0
		.amdhsa_uses_dynamic_stack 0
		.amdhsa_system_sgpr_private_segment_wavefront_offset 0
		.amdhsa_system_sgpr_workgroup_id_x 1
		.amdhsa_system_sgpr_workgroup_id_y 0
		.amdhsa_system_sgpr_workgroup_id_z 0
		.amdhsa_system_sgpr_workgroup_info 0
		.amdhsa_system_vgpr_workitem_id 0
		.amdhsa_next_free_vgpr 14
		.amdhsa_next_free_sgpr 25
		.amdhsa_accum_offset 16
		.amdhsa_reserve_vcc 1
		.amdhsa_reserve_flat_scratch 0
		.amdhsa_float_round_mode_32 0
		.amdhsa_float_round_mode_16_64 0
		.amdhsa_float_denorm_mode_32 3
		.amdhsa_float_denorm_mode_16_64 3
		.amdhsa_dx10_clamp 1
		.amdhsa_ieee_mode 1
		.amdhsa_fp16_overflow 0
		.amdhsa_tg_split 0
		.amdhsa_exception_fp_ieee_invalid_op 0
		.amdhsa_exception_fp_denorm_src 0
		.amdhsa_exception_fp_ieee_div_zero 0
		.amdhsa_exception_fp_ieee_overflow 0
		.amdhsa_exception_fp_ieee_underflow 0
		.amdhsa_exception_fp_ieee_inexact 0
		.amdhsa_exception_int_div_zero 0
	.end_amdhsa_kernel
	.section	.text._ZN9rocsparseL37gebsr2csr_block_per_row_33_128_kernelILi1024ELi8ELi64ELi8ELi32E21rocsparse_complex_numIfEEEv20rocsparse_direction_ii21rocsparse_index_base_PKT4_PKiS9_iiS4_PS5_PiSB_,"axG",@progbits,_ZN9rocsparseL37gebsr2csr_block_per_row_33_128_kernelILi1024ELi8ELi64ELi8ELi32E21rocsparse_complex_numIfEEEv20rocsparse_direction_ii21rocsparse_index_base_PKT4_PKiS9_iiS4_PS5_PiSB_,comdat
.Lfunc_end117:
	.size	_ZN9rocsparseL37gebsr2csr_block_per_row_33_128_kernelILi1024ELi8ELi64ELi8ELi32E21rocsparse_complex_numIfEEEv20rocsparse_direction_ii21rocsparse_index_base_PKT4_PKiS9_iiS4_PS5_PiSB_, .Lfunc_end117-_ZN9rocsparseL37gebsr2csr_block_per_row_33_128_kernelILi1024ELi8ELi64ELi8ELi32E21rocsparse_complex_numIfEEEv20rocsparse_direction_ii21rocsparse_index_base_PKT4_PKiS9_iiS4_PS5_PiSB_
                                        ; -- End function
	.section	.AMDGPU.csdata,"",@progbits
; Kernel info:
; codeLenInByte = 752
; NumSgprs: 29
; NumVgprs: 14
; NumAgprs: 0
; TotalNumVgprs: 14
; ScratchSize: 0
; MemoryBound: 0
; FloatMode: 240
; IeeeMode: 1
; LDSByteSize: 0 bytes/workgroup (compile time only)
; SGPRBlocks: 3
; VGPRBlocks: 1
; NumSGPRsForWavesPerEU: 29
; NumVGPRsForWavesPerEU: 14
; AccumOffset: 16
; Occupancy: 8
; WaveLimiterHint : 1
; COMPUTE_PGM_RSRC2:SCRATCH_EN: 0
; COMPUTE_PGM_RSRC2:USER_SGPR: 6
; COMPUTE_PGM_RSRC2:TRAP_HANDLER: 0
; COMPUTE_PGM_RSRC2:TGID_X_EN: 1
; COMPUTE_PGM_RSRC2:TGID_Y_EN: 0
; COMPUTE_PGM_RSRC2:TGID_Z_EN: 0
; COMPUTE_PGM_RSRC2:TIDIG_COMP_CNT: 0
; COMPUTE_PGM_RSRC3_GFX90A:ACCUM_OFFSET: 3
; COMPUTE_PGM_RSRC3_GFX90A:TG_SPLIT: 0
	.section	.text._ZN9rocsparseL37gebsr2csr_block_per_row_33_128_kernelILi1024ELi8ELi128ELi8ELi32E21rocsparse_complex_numIfEEEv20rocsparse_direction_ii21rocsparse_index_base_PKT4_PKiS9_iiS4_PS5_PiSB_,"axG",@progbits,_ZN9rocsparseL37gebsr2csr_block_per_row_33_128_kernelILi1024ELi8ELi128ELi8ELi32E21rocsparse_complex_numIfEEEv20rocsparse_direction_ii21rocsparse_index_base_PKT4_PKiS9_iiS4_PS5_PiSB_,comdat
	.globl	_ZN9rocsparseL37gebsr2csr_block_per_row_33_128_kernelILi1024ELi8ELi128ELi8ELi32E21rocsparse_complex_numIfEEEv20rocsparse_direction_ii21rocsparse_index_base_PKT4_PKiS9_iiS4_PS5_PiSB_ ; -- Begin function _ZN9rocsparseL37gebsr2csr_block_per_row_33_128_kernelILi1024ELi8ELi128ELi8ELi32E21rocsparse_complex_numIfEEEv20rocsparse_direction_ii21rocsparse_index_base_PKT4_PKiS9_iiS4_PS5_PiSB_
	.p2align	8
	.type	_ZN9rocsparseL37gebsr2csr_block_per_row_33_128_kernelILi1024ELi8ELi128ELi8ELi32E21rocsparse_complex_numIfEEEv20rocsparse_direction_ii21rocsparse_index_base_PKT4_PKiS9_iiS4_PS5_PiSB_,@function
_ZN9rocsparseL37gebsr2csr_block_per_row_33_128_kernelILi1024ELi8ELi128ELi8ELi32E21rocsparse_complex_numIfEEEv20rocsparse_direction_ii21rocsparse_index_base_PKT4_PKiS9_iiS4_PS5_PiSB_: ; @_ZN9rocsparseL37gebsr2csr_block_per_row_33_128_kernelILi1024ELi8ELi128ELi8ELi32E21rocsparse_complex_numIfEEEv20rocsparse_direction_ii21rocsparse_index_base_PKT4_PKiS9_iiS4_PS5_PiSB_
; %bb.0:
	s_load_dwordx2 s[0:1], s[4:5], 0x18
	s_load_dwordx4 s[8:11], s[4:5], 0x28
	s_load_dwordx2 s[2:3], s[4:5], 0x40
	s_ashr_i32 s7, s6, 31
	s_lshl_b64 s[12:13], s[6:7], 2
	s_waitcnt lgkmcnt(0)
	s_add_u32 s0, s0, s12
	s_addc_u32 s1, s1, s13
	s_load_dwordx2 s[14:15], s[0:1], 0x0
	v_or_b32_e32 v1, s6, v0
	v_cmp_eq_u32_e32 vcc, 0, v1
	s_and_saveexec_b64 s[0:1], vcc
	s_cbranch_execz .LBB118_2
; %bb.1:
	v_mov_b32_e32 v1, 0
	v_mov_b32_e32 v2, s10
	global_store_dword v1, v2, s[2:3]
.LBB118_2:
	s_or_b64 exec, exec, s[0:1]
	s_load_dword s11, s[4:5], 0xc
	v_lshrrev_b32_e32 v1, 5, v0
	v_cmp_gt_i32_e64 s[0:1], s8, v1
	s_mul_i32 s27, s9, s8
	s_waitcnt lgkmcnt(0)
	s_sub_i32 s12, s14, s11
	s_sub_i32 s26, s15, s11
	s_and_saveexec_b64 s[16:17], s[0:1]
	s_cbranch_execz .LBB118_4
; %bb.3:
	s_mul_i32 s7, s27, s12
	s_sub_i32 s13, s26, s12
	s_mul_i32 s13, s13, s9
	s_add_i32 s7, s7, s10
	v_mul_lo_u32 v2, s13, v1
	s_add_i32 s7, s7, s13
	s_mul_i32 s6, s6, s8
	v_add_u32_e32 v4, s7, v2
	v_add_u32_e32 v2, s6, v1
	v_ashrrev_i32_e32 v3, 31, v2
	v_lshlrev_b64 v[2:3], 2, v[2:3]
	v_mov_b32_e32 v5, s3
	v_add_co_u32_e32 v2, vcc, s2, v2
	v_addc_co_u32_e32 v3, vcc, v5, v3, vcc
	global_store_dword v[2:3], v4, off offset:4
.LBB118_4:
	s_or_b64 exec, exec, s[16:17]
	s_cmp_ge_i32 s14, s15
	s_cbranch_scc1 .LBB118_15
; %bb.5:
	s_load_dwordx2 s[22:23], s[4:5], 0x20
	s_load_dwordx2 s[6:7], s[4:5], 0x38
	;; [unrolled: 1-line block ×3, first 2 shown]
	s_load_dword s2, s[4:5], 0x0
	s_load_dwordx2 s[16:17], s[4:5], 0x48
	v_and_b32_e32 v0, 31, v0
	s_sub_i32 s3, s26, s12
	v_mul_lo_u32 v10, s3, v1
	s_waitcnt lgkmcnt(0)
	s_cmp_eq_u32 s2, 0
	v_cmp_gt_i32_e64 s[2:3], s9, v0
	v_or_b32_e32 v2, 32, v0
	s_cselect_b64 vcc, -1, 0
	s_and_b64 s[4:5], s[0:1], s[2:3]
	v_cmp_gt_i32_e64 s[2:3], s9, v2
	v_or_b32_e32 v3, 64, v0
	s_and_b64 s[18:19], s[0:1], s[2:3]
	v_cmp_gt_i32_e64 s[2:3], s9, v3
	v_or_b32_e32 v4, 0x60, v0
	s_and_b64 s[20:21], s[0:1], s[2:3]
	v_cmp_gt_i32_e64 s[2:3], s9, v4
	s_and_b64 s[2:3], s[0:1], s[2:3]
	s_mul_i32 s0, s8, s12
	s_mul_i32 s1, s9, s12
	s_ashr_i32 s13, s12, 31
	v_add_u32_e32 v5, s0, v1
	v_add_u32_e32 v9, s1, v0
	;; [unrolled: 1-line block ×3, first 2 shown]
	s_lshl_b64 s[0:1], s[12:13], 2
	v_add_u32_e32 v6, 0x60, v9
	v_add_u32_e32 v7, 64, v9
	;; [unrolled: 1-line block ×3, first 2 shown]
	s_add_u32 s22, s22, s0
	s_movk_i32 s28, 0x60
	v_mul_lo_u32 v5, s9, v5
	v_mul_lo_u32 v6, s8, v6
	;; [unrolled: 1-line block ×6, first 2 shown]
	s_addc_u32 s23, s23, s1
	s_branch .LBB118_7
.LBB118_6:                              ;   in Loop: Header=BB118_7 Depth=1
	s_or_b64 exec, exec, s[24:25]
	s_add_i32 s12, s12, 1
	s_add_u32 s22, s22, 4
	s_addc_u32 s23, s23, 0
	v_add_u32_e32 v5, s27, v5
	v_add_u32_e32 v1, s27, v1
	s_cmp_ge_i32 s12, s26
	v_add_u32_e32 v10, s9, v10
	s_cbranch_scc1 .LBB118_15
.LBB118_7:                              ; =>This Inner Loop Header: Depth=1
	s_load_dword s0, s[22:23], 0x0
	s_waitcnt lgkmcnt(0)
	s_sub_i32 s0, s0, s11
	s_mul_i32 s8, s0, s9
	s_add_i32 s8, s8, s10
	s_and_saveexec_b64 s[24:25], s[4:5]
	s_cbranch_execnz .LBB118_11
; %bb.8:                                ;   in Loop: Header=BB118_7 Depth=1
	s_or_b64 exec, exec, s[24:25]
	s_and_saveexec_b64 s[24:25], s[18:19]
	s_cbranch_execnz .LBB118_12
.LBB118_9:                              ;   in Loop: Header=BB118_7 Depth=1
	s_or_b64 exec, exec, s[24:25]
	s_and_saveexec_b64 s[24:25], s[20:21]
	s_cbranch_execnz .LBB118_13
.LBB118_10:                             ;   in Loop: Header=BB118_7 Depth=1
	s_or_b64 exec, exec, s[24:25]
	s_and_saveexec_b64 s[24:25], s[2:3]
	s_cbranch_execz .LBB118_6
	s_branch .LBB118_14
.LBB118_11:                             ;   in Loop: Header=BB118_7 Depth=1
	v_add_u32_e32 v11, v0, v5
	v_add_u32_e32 v12, v9, v1
	v_cndmask_b32_e32 v12, v12, v11, vcc
	v_ashrrev_i32_e32 v13, 31, v12
	v_lshlrev_b64 v[12:13], 3, v[12:13]
	v_mov_b32_e32 v11, s15
	v_add_co_u32_e64 v12, s[0:1], s14, v12
	v_addc_co_u32_e64 v13, s[0:1], v11, v13, s[0:1]
	global_load_dwordx2 v[12:13], v[12:13], off
	v_add_u32_e32 v14, v0, v10
	v_ashrrev_i32_e32 v15, 31, v14
	v_lshlrev_b64 v[16:17], 2, v[14:15]
	v_mov_b32_e32 v18, s17
	v_add_co_u32_e64 v16, s[0:1], s16, v16
	v_add_u32_e32 v11, s8, v0
	v_addc_co_u32_e64 v17, s[0:1], v18, v17, s[0:1]
	v_lshlrev_b64 v[14:15], 3, v[14:15]
	global_store_dword v[16:17], v11, off
	v_mov_b32_e32 v11, s7
	v_add_co_u32_e64 v14, s[0:1], s6, v14
	v_addc_co_u32_e64 v15, s[0:1], v11, v15, s[0:1]
	s_waitcnt vmcnt(1)
	global_store_dwordx2 v[14:15], v[12:13], off
	s_or_b64 exec, exec, s[24:25]
	s_and_saveexec_b64 s[24:25], s[18:19]
	s_cbranch_execz .LBB118_9
.LBB118_12:                             ;   in Loop: Header=BB118_7 Depth=1
	v_add3_u32 v11, v0, v5, 32
	v_add_u32_e32 v12, v8, v1
	v_cndmask_b32_e32 v12, v12, v11, vcc
	v_ashrrev_i32_e32 v13, 31, v12
	v_lshlrev_b64 v[12:13], 3, v[12:13]
	v_mov_b32_e32 v11, s15
	v_add_co_u32_e64 v12, s[0:1], s14, v12
	v_addc_co_u32_e64 v13, s[0:1], v11, v13, s[0:1]
	global_load_dwordx2 v[12:13], v[12:13], off
	v_add3_u32 v14, v0, v10, 32
	v_ashrrev_i32_e32 v15, 31, v14
	v_lshlrev_b64 v[16:17], 2, v[14:15]
	v_mov_b32_e32 v18, s17
	v_add_co_u32_e64 v16, s[0:1], s16, v16
	v_add_u32_e32 v11, s8, v2
	v_addc_co_u32_e64 v17, s[0:1], v18, v17, s[0:1]
	v_lshlrev_b64 v[14:15], 3, v[14:15]
	global_store_dword v[16:17], v11, off
	v_mov_b32_e32 v11, s7
	v_add_co_u32_e64 v14, s[0:1], s6, v14
	v_addc_co_u32_e64 v15, s[0:1], v11, v15, s[0:1]
	s_waitcnt vmcnt(1)
	global_store_dwordx2 v[14:15], v[12:13], off
	s_or_b64 exec, exec, s[24:25]
	s_and_saveexec_b64 s[24:25], s[20:21]
	s_cbranch_execz .LBB118_10
.LBB118_13:                             ;   in Loop: Header=BB118_7 Depth=1
	v_add3_u32 v11, v0, v5, 64
	v_add_u32_e32 v12, v7, v1
	v_cndmask_b32_e32 v12, v12, v11, vcc
	v_ashrrev_i32_e32 v13, 31, v12
	v_lshlrev_b64 v[12:13], 3, v[12:13]
	v_mov_b32_e32 v11, s15
	v_add_co_u32_e64 v12, s[0:1], s14, v12
	v_addc_co_u32_e64 v13, s[0:1], v11, v13, s[0:1]
	global_load_dwordx2 v[12:13], v[12:13], off
	v_add3_u32 v14, v0, v10, 64
	v_ashrrev_i32_e32 v15, 31, v14
	v_lshlrev_b64 v[16:17], 2, v[14:15]
	v_mov_b32_e32 v18, s17
	v_add_co_u32_e64 v16, s[0:1], s16, v16
	v_add_u32_e32 v11, s8, v3
	v_addc_co_u32_e64 v17, s[0:1], v18, v17, s[0:1]
	v_lshlrev_b64 v[14:15], 3, v[14:15]
	global_store_dword v[16:17], v11, off
	v_mov_b32_e32 v11, s7
	v_add_co_u32_e64 v14, s[0:1], s6, v14
	v_addc_co_u32_e64 v15, s[0:1], v11, v15, s[0:1]
	s_waitcnt vmcnt(1)
	global_store_dwordx2 v[14:15], v[12:13], off
	s_or_b64 exec, exec, s[24:25]
	s_and_saveexec_b64 s[24:25], s[2:3]
	s_cbranch_execz .LBB118_6
.LBB118_14:                             ;   in Loop: Header=BB118_7 Depth=1
	v_add3_u32 v11, v0, v5, s28
	v_add_u32_e32 v12, v6, v1
	v_cndmask_b32_e32 v12, v12, v11, vcc
	v_ashrrev_i32_e32 v13, 31, v12
	v_lshlrev_b64 v[12:13], 3, v[12:13]
	v_mov_b32_e32 v11, s15
	v_add_co_u32_e64 v12, s[0:1], s14, v12
	v_addc_co_u32_e64 v13, s[0:1], v11, v13, s[0:1]
	global_load_dwordx2 v[12:13], v[12:13], off
	v_add3_u32 v14, v0, v10, s28
	v_ashrrev_i32_e32 v15, 31, v14
	v_lshlrev_b64 v[16:17], 2, v[14:15]
	v_mov_b32_e32 v18, s17
	v_add_co_u32_e64 v16, s[0:1], s16, v16
	v_add_u32_e32 v11, s8, v4
	v_addc_co_u32_e64 v17, s[0:1], v18, v17, s[0:1]
	v_lshlrev_b64 v[14:15], 3, v[14:15]
	global_store_dword v[16:17], v11, off
	v_mov_b32_e32 v11, s7
	v_add_co_u32_e64 v14, s[0:1], s6, v14
	v_addc_co_u32_e64 v15, s[0:1], v11, v15, s[0:1]
	s_waitcnt vmcnt(1)
	global_store_dwordx2 v[14:15], v[12:13], off
	s_branch .LBB118_6
.LBB118_15:
	s_endpgm
	.section	.rodata,"a",@progbits
	.p2align	6, 0x0
	.amdhsa_kernel _ZN9rocsparseL37gebsr2csr_block_per_row_33_128_kernelILi1024ELi8ELi128ELi8ELi32E21rocsparse_complex_numIfEEEv20rocsparse_direction_ii21rocsparse_index_base_PKT4_PKiS9_iiS4_PS5_PiSB_
		.amdhsa_group_segment_fixed_size 0
		.amdhsa_private_segment_fixed_size 0
		.amdhsa_kernarg_size 80
		.amdhsa_user_sgpr_count 6
		.amdhsa_user_sgpr_private_segment_buffer 1
		.amdhsa_user_sgpr_dispatch_ptr 0
		.amdhsa_user_sgpr_queue_ptr 0
		.amdhsa_user_sgpr_kernarg_segment_ptr 1
		.amdhsa_user_sgpr_dispatch_id 0
		.amdhsa_user_sgpr_flat_scratch_init 0
		.amdhsa_user_sgpr_kernarg_preload_length 0
		.amdhsa_user_sgpr_kernarg_preload_offset 0
		.amdhsa_user_sgpr_private_segment_size 0
		.amdhsa_uses_dynamic_stack 0
		.amdhsa_system_sgpr_private_segment_wavefront_offset 0
		.amdhsa_system_sgpr_workgroup_id_x 1
		.amdhsa_system_sgpr_workgroup_id_y 0
		.amdhsa_system_sgpr_workgroup_id_z 0
		.amdhsa_system_sgpr_workgroup_info 0
		.amdhsa_system_vgpr_workitem_id 0
		.amdhsa_next_free_vgpr 19
		.amdhsa_next_free_sgpr 29
		.amdhsa_accum_offset 20
		.amdhsa_reserve_vcc 1
		.amdhsa_reserve_flat_scratch 0
		.amdhsa_float_round_mode_32 0
		.amdhsa_float_round_mode_16_64 0
		.amdhsa_float_denorm_mode_32 3
		.amdhsa_float_denorm_mode_16_64 3
		.amdhsa_dx10_clamp 1
		.amdhsa_ieee_mode 1
		.amdhsa_fp16_overflow 0
		.amdhsa_tg_split 0
		.amdhsa_exception_fp_ieee_invalid_op 0
		.amdhsa_exception_fp_denorm_src 0
		.amdhsa_exception_fp_ieee_div_zero 0
		.amdhsa_exception_fp_ieee_overflow 0
		.amdhsa_exception_fp_ieee_underflow 0
		.amdhsa_exception_fp_ieee_inexact 0
		.amdhsa_exception_int_div_zero 0
	.end_amdhsa_kernel
	.section	.text._ZN9rocsparseL37gebsr2csr_block_per_row_33_128_kernelILi1024ELi8ELi128ELi8ELi32E21rocsparse_complex_numIfEEEv20rocsparse_direction_ii21rocsparse_index_base_PKT4_PKiS9_iiS4_PS5_PiSB_,"axG",@progbits,_ZN9rocsparseL37gebsr2csr_block_per_row_33_128_kernelILi1024ELi8ELi128ELi8ELi32E21rocsparse_complex_numIfEEEv20rocsparse_direction_ii21rocsparse_index_base_PKT4_PKiS9_iiS4_PS5_PiSB_,comdat
.Lfunc_end118:
	.size	_ZN9rocsparseL37gebsr2csr_block_per_row_33_128_kernelILi1024ELi8ELi128ELi8ELi32E21rocsparse_complex_numIfEEEv20rocsparse_direction_ii21rocsparse_index_base_PKT4_PKiS9_iiS4_PS5_PiSB_, .Lfunc_end118-_ZN9rocsparseL37gebsr2csr_block_per_row_33_128_kernelILi1024ELi8ELi128ELi8ELi32E21rocsparse_complex_numIfEEEv20rocsparse_direction_ii21rocsparse_index_base_PKT4_PKiS9_iiS4_PS5_PiSB_
                                        ; -- End function
	.section	.AMDGPU.csdata,"",@progbits
; Kernel info:
; codeLenInByte = 1192
; NumSgprs: 33
; NumVgprs: 19
; NumAgprs: 0
; TotalNumVgprs: 19
; ScratchSize: 0
; MemoryBound: 0
; FloatMode: 240
; IeeeMode: 1
; LDSByteSize: 0 bytes/workgroup (compile time only)
; SGPRBlocks: 4
; VGPRBlocks: 2
; NumSGPRsForWavesPerEU: 33
; NumVGPRsForWavesPerEU: 19
; AccumOffset: 20
; Occupancy: 8
; WaveLimiterHint : 1
; COMPUTE_PGM_RSRC2:SCRATCH_EN: 0
; COMPUTE_PGM_RSRC2:USER_SGPR: 6
; COMPUTE_PGM_RSRC2:TRAP_HANDLER: 0
; COMPUTE_PGM_RSRC2:TGID_X_EN: 1
; COMPUTE_PGM_RSRC2:TGID_Y_EN: 0
; COMPUTE_PGM_RSRC2:TGID_Z_EN: 0
; COMPUTE_PGM_RSRC2:TIDIG_COMP_CNT: 0
; COMPUTE_PGM_RSRC3_GFX90A:ACCUM_OFFSET: 4
; COMPUTE_PGM_RSRC3_GFX90A:TG_SPLIT: 0
	.section	.text._ZN9rocsparseL35gebsr2csr_block_per_row_1_32_kernelILi1024ELi16ELi2E21rocsparse_complex_numIfEEEv20rocsparse_direction_ii21rocsparse_index_base_PKT2_PKiS9_iiS4_PS5_PiSB_,"axG",@progbits,_ZN9rocsparseL35gebsr2csr_block_per_row_1_32_kernelILi1024ELi16ELi2E21rocsparse_complex_numIfEEEv20rocsparse_direction_ii21rocsparse_index_base_PKT2_PKiS9_iiS4_PS5_PiSB_,comdat
	.globl	_ZN9rocsparseL35gebsr2csr_block_per_row_1_32_kernelILi1024ELi16ELi2E21rocsparse_complex_numIfEEEv20rocsparse_direction_ii21rocsparse_index_base_PKT2_PKiS9_iiS4_PS5_PiSB_ ; -- Begin function _ZN9rocsparseL35gebsr2csr_block_per_row_1_32_kernelILi1024ELi16ELi2E21rocsparse_complex_numIfEEEv20rocsparse_direction_ii21rocsparse_index_base_PKT2_PKiS9_iiS4_PS5_PiSB_
	.p2align	8
	.type	_ZN9rocsparseL35gebsr2csr_block_per_row_1_32_kernelILi1024ELi16ELi2E21rocsparse_complex_numIfEEEv20rocsparse_direction_ii21rocsparse_index_base_PKT2_PKiS9_iiS4_PS5_PiSB_,@function
_ZN9rocsparseL35gebsr2csr_block_per_row_1_32_kernelILi1024ELi16ELi2E21rocsparse_complex_numIfEEEv20rocsparse_direction_ii21rocsparse_index_base_PKT2_PKiS9_iiS4_PS5_PiSB_: ; @_ZN9rocsparseL35gebsr2csr_block_per_row_1_32_kernelILi1024ELi16ELi2E21rocsparse_complex_numIfEEEv20rocsparse_direction_ii21rocsparse_index_base_PKT2_PKiS9_iiS4_PS5_PiSB_
; %bb.0:
	s_load_dwordx2 s[0:1], s[4:5], 0x18
	s_load_dwordx4 s[8:11], s[4:5], 0x28
	s_load_dwordx2 s[2:3], s[4:5], 0x40
	s_ashr_i32 s7, s6, 31
	s_lshl_b64 s[12:13], s[6:7], 2
	s_waitcnt lgkmcnt(0)
	s_add_u32 s12, s0, s12
	v_or_b32_e32 v1, s6, v0
	s_addc_u32 s13, s1, s13
	v_cmp_eq_u32_e32 vcc, 0, v1
	s_and_saveexec_b64 s[0:1], vcc
	s_cbranch_execz .LBB119_2
; %bb.1:
	v_mov_b32_e32 v1, 0
	v_mov_b32_e32 v2, s10
	global_store_dword v1, v2, s[2:3]
.LBB119_2:
	s_or_b64 exec, exec, s[0:1]
	v_and_b32_e32 v6, 1, v0
	v_bfe_u32 v8, v0, 1, 4
	v_cmp_gt_i32_e32 vcc, s8, v8
	v_cmp_gt_i32_e64 s[0:1], s9, v6
	s_and_b64 s[0:1], vcc, s[0:1]
	s_and_saveexec_b64 s[14:15], s[0:1]
	s_cbranch_execz .LBB119_6
; %bb.3:
	s_load_dwordx2 s[14:15], s[12:13], 0x0
	s_load_dword s11, s[4:5], 0xc
	s_mul_i32 s6, s6, s8
	v_add_u32_e32 v2, s6, v8
	s_mul_i32 s1, s9, s8
	v_ashrrev_i32_e32 v3, 31, v2
	s_waitcnt lgkmcnt(0)
	s_sub_i32 s0, s14, s11
	s_sub_i32 s14, s15, s11
	;; [unrolled: 1-line block ×3, first 2 shown]
	s_mul_i32 s12, s15, s9
	v_lshrrev_b32_e32 v1, 5, v0
	s_mul_i32 s7, s0, s1
	v_mul_lo_u32 v0, s12, v8
	s_add_i32 s12, s12, s10
	v_lshlrev_b64 v[2:3], 2, v[2:3]
	s_add_i32 s12, s12, s7
	v_mov_b32_e32 v4, s3
	v_add_co_u32_e32 v2, vcc, s2, v2
	v_add_u32_e32 v0, s12, v0
	v_addc_co_u32_e32 v3, vcc, v4, v3, vcc
	global_store_dword v[2:3], v0, off offset:4
	v_add_u32_e32 v0, s0, v1
	v_cmp_gt_i32_e32 vcc, s14, v0
	s_and_b64 exec, exec, vcc
	s_cbranch_execz .LBB119_6
; %bb.4:
	s_load_dwordx2 s[16:17], s[4:5], 0x20
	s_load_dwordx2 s[2:3], s[4:5], 0x38
	s_load_dword s18, s[4:5], 0x0
	s_load_dwordx2 s[6:7], s[4:5], 0x10
	s_load_dwordx2 s[12:13], s[4:5], 0x48
	v_mad_u64_u32 v[4:5], s[4:5], v6, s8, v[8:9]
	s_waitcnt lgkmcnt(0)
	s_cmp_eq_u32 s18, 0
	v_mad_u64_u32 v[10:11], s[4:5], v8, s9, v[6:7]
	s_cselect_b64 vcc, -1, 0
	s_mul_i32 s0, s8, s0
	v_mul_lo_u32 v3, s15, v8
	v_cndmask_b32_e32 v4, v4, v10, vcc
	v_add3_u32 v1, v1, s0, v3
	v_add_u32_e32 v2, s10, v6
	v_mad_u64_u32 v[4:5], s[4:5], s1, v0, v[4:5]
	s_lshl_b32 s10, s1, 5
	v_mad_u64_u32 v[6:7], s[0:1], s9, v1, v[6:7]
	v_ashrrev_i32_e32 v1, 31, v0
	v_lshlrev_b64 v[8:9], 2, v[0:1]
	v_mov_b32_e32 v1, s17
	v_add_co_u32_e32 v8, vcc, s16, v8
	s_lshl_b32 s8, s9, 5
	v_addc_co_u32_e32 v9, vcc, v1, v9, vcc
	s_mov_b64 s[4:5], 0
	v_mov_b32_e32 v1, s13
	v_mov_b32_e32 v3, s7
	;; [unrolled: 1-line block ×3, first 2 shown]
.LBB119_5:                              ; =>This Inner Loop Header: Depth=1
	v_ashrrev_i32_e32 v5, 31, v4
	global_load_dword v11, v[8:9], off
	v_lshlrev_b64 v[12:13], 3, v[4:5]
	v_add_co_u32_e32 v12, vcc, s6, v12
	v_addc_co_u32_e32 v13, vcc, v3, v13, vcc
	global_load_dwordx2 v[12:13], v[12:13], off
	v_ashrrev_i32_e32 v7, 31, v6
	v_lshlrev_b64 v[14:15], 2, v[6:7]
	v_add_co_u32_e32 v8, vcc, 0x80, v8
	v_add_co_u32_e64 v14, s[0:1], s12, v14
	v_add_u32_e32 v0, 32, v0
	v_lshlrev_b64 v[16:17], 3, v[6:7]
	v_addc_co_u32_e32 v9, vcc, 0, v9, vcc
	v_addc_co_u32_e64 v15, s[0:1], v1, v15, s[0:1]
	v_cmp_le_i32_e32 vcc, s14, v0
	v_add_co_u32_e64 v16, s[0:1], s2, v16
	v_add_u32_e32 v4, s10, v4
	v_add_u32_e32 v6, s8, v6
	v_addc_co_u32_e64 v17, s[0:1], v10, v17, s[0:1]
	s_or_b64 s[4:5], vcc, s[4:5]
	s_waitcnt vmcnt(1)
	v_subrev_u32_e32 v5, s11, v11
	v_mad_u64_u32 v[18:19], s[0:1], v5, s9, v[2:3]
	global_store_dword v[14:15], v18, off
	s_waitcnt vmcnt(1)
	global_store_dwordx2 v[16:17], v[12:13], off
	s_andn2_b64 exec, exec, s[4:5]
	s_cbranch_execnz .LBB119_5
.LBB119_6:
	s_endpgm
	.section	.rodata,"a",@progbits
	.p2align	6, 0x0
	.amdhsa_kernel _ZN9rocsparseL35gebsr2csr_block_per_row_1_32_kernelILi1024ELi16ELi2E21rocsparse_complex_numIfEEEv20rocsparse_direction_ii21rocsparse_index_base_PKT2_PKiS9_iiS4_PS5_PiSB_
		.amdhsa_group_segment_fixed_size 0
		.amdhsa_private_segment_fixed_size 0
		.amdhsa_kernarg_size 80
		.amdhsa_user_sgpr_count 6
		.amdhsa_user_sgpr_private_segment_buffer 1
		.amdhsa_user_sgpr_dispatch_ptr 0
		.amdhsa_user_sgpr_queue_ptr 0
		.amdhsa_user_sgpr_kernarg_segment_ptr 1
		.amdhsa_user_sgpr_dispatch_id 0
		.amdhsa_user_sgpr_flat_scratch_init 0
		.amdhsa_user_sgpr_kernarg_preload_length 0
		.amdhsa_user_sgpr_kernarg_preload_offset 0
		.amdhsa_user_sgpr_private_segment_size 0
		.amdhsa_uses_dynamic_stack 0
		.amdhsa_system_sgpr_private_segment_wavefront_offset 0
		.amdhsa_system_sgpr_workgroup_id_x 1
		.amdhsa_system_sgpr_workgroup_id_y 0
		.amdhsa_system_sgpr_workgroup_id_z 0
		.amdhsa_system_sgpr_workgroup_info 0
		.amdhsa_system_vgpr_workitem_id 0
		.amdhsa_next_free_vgpr 20
		.amdhsa_next_free_sgpr 19
		.amdhsa_accum_offset 20
		.amdhsa_reserve_vcc 1
		.amdhsa_reserve_flat_scratch 0
		.amdhsa_float_round_mode_32 0
		.amdhsa_float_round_mode_16_64 0
		.amdhsa_float_denorm_mode_32 3
		.amdhsa_float_denorm_mode_16_64 3
		.amdhsa_dx10_clamp 1
		.amdhsa_ieee_mode 1
		.amdhsa_fp16_overflow 0
		.amdhsa_tg_split 0
		.amdhsa_exception_fp_ieee_invalid_op 0
		.amdhsa_exception_fp_denorm_src 0
		.amdhsa_exception_fp_ieee_div_zero 0
		.amdhsa_exception_fp_ieee_overflow 0
		.amdhsa_exception_fp_ieee_underflow 0
		.amdhsa_exception_fp_ieee_inexact 0
		.amdhsa_exception_int_div_zero 0
	.end_amdhsa_kernel
	.section	.text._ZN9rocsparseL35gebsr2csr_block_per_row_1_32_kernelILi1024ELi16ELi2E21rocsparse_complex_numIfEEEv20rocsparse_direction_ii21rocsparse_index_base_PKT2_PKiS9_iiS4_PS5_PiSB_,"axG",@progbits,_ZN9rocsparseL35gebsr2csr_block_per_row_1_32_kernelILi1024ELi16ELi2E21rocsparse_complex_numIfEEEv20rocsparse_direction_ii21rocsparse_index_base_PKT2_PKiS9_iiS4_PS5_PiSB_,comdat
.Lfunc_end119:
	.size	_ZN9rocsparseL35gebsr2csr_block_per_row_1_32_kernelILi1024ELi16ELi2E21rocsparse_complex_numIfEEEv20rocsparse_direction_ii21rocsparse_index_base_PKT2_PKiS9_iiS4_PS5_PiSB_, .Lfunc_end119-_ZN9rocsparseL35gebsr2csr_block_per_row_1_32_kernelILi1024ELi16ELi2E21rocsparse_complex_numIfEEEv20rocsparse_direction_ii21rocsparse_index_base_PKT2_PKiS9_iiS4_PS5_PiSB_
                                        ; -- End function
	.section	.AMDGPU.csdata,"",@progbits
; Kernel info:
; codeLenInByte = 568
; NumSgprs: 23
; NumVgprs: 20
; NumAgprs: 0
; TotalNumVgprs: 20
; ScratchSize: 0
; MemoryBound: 0
; FloatMode: 240
; IeeeMode: 1
; LDSByteSize: 0 bytes/workgroup (compile time only)
; SGPRBlocks: 2
; VGPRBlocks: 2
; NumSGPRsForWavesPerEU: 23
; NumVGPRsForWavesPerEU: 20
; AccumOffset: 20
; Occupancy: 8
; WaveLimiterHint : 0
; COMPUTE_PGM_RSRC2:SCRATCH_EN: 0
; COMPUTE_PGM_RSRC2:USER_SGPR: 6
; COMPUTE_PGM_RSRC2:TRAP_HANDLER: 0
; COMPUTE_PGM_RSRC2:TGID_X_EN: 1
; COMPUTE_PGM_RSRC2:TGID_Y_EN: 0
; COMPUTE_PGM_RSRC2:TGID_Z_EN: 0
; COMPUTE_PGM_RSRC2:TIDIG_COMP_CNT: 0
; COMPUTE_PGM_RSRC3_GFX90A:ACCUM_OFFSET: 4
; COMPUTE_PGM_RSRC3_GFX90A:TG_SPLIT: 0
	.section	.text._ZN9rocsparseL35gebsr2csr_block_per_row_1_32_kernelILi1024ELi16ELi4E21rocsparse_complex_numIfEEEv20rocsparse_direction_ii21rocsparse_index_base_PKT2_PKiS9_iiS4_PS5_PiSB_,"axG",@progbits,_ZN9rocsparseL35gebsr2csr_block_per_row_1_32_kernelILi1024ELi16ELi4E21rocsparse_complex_numIfEEEv20rocsparse_direction_ii21rocsparse_index_base_PKT2_PKiS9_iiS4_PS5_PiSB_,comdat
	.globl	_ZN9rocsparseL35gebsr2csr_block_per_row_1_32_kernelILi1024ELi16ELi4E21rocsparse_complex_numIfEEEv20rocsparse_direction_ii21rocsparse_index_base_PKT2_PKiS9_iiS4_PS5_PiSB_ ; -- Begin function _ZN9rocsparseL35gebsr2csr_block_per_row_1_32_kernelILi1024ELi16ELi4E21rocsparse_complex_numIfEEEv20rocsparse_direction_ii21rocsparse_index_base_PKT2_PKiS9_iiS4_PS5_PiSB_
	.p2align	8
	.type	_ZN9rocsparseL35gebsr2csr_block_per_row_1_32_kernelILi1024ELi16ELi4E21rocsparse_complex_numIfEEEv20rocsparse_direction_ii21rocsparse_index_base_PKT2_PKiS9_iiS4_PS5_PiSB_,@function
_ZN9rocsparseL35gebsr2csr_block_per_row_1_32_kernelILi1024ELi16ELi4E21rocsparse_complex_numIfEEEv20rocsparse_direction_ii21rocsparse_index_base_PKT2_PKiS9_iiS4_PS5_PiSB_: ; @_ZN9rocsparseL35gebsr2csr_block_per_row_1_32_kernelILi1024ELi16ELi4E21rocsparse_complex_numIfEEEv20rocsparse_direction_ii21rocsparse_index_base_PKT2_PKiS9_iiS4_PS5_PiSB_
; %bb.0:
	s_load_dwordx2 s[0:1], s[4:5], 0x18
	s_load_dwordx4 s[8:11], s[4:5], 0x28
	s_load_dwordx2 s[2:3], s[4:5], 0x40
	s_ashr_i32 s7, s6, 31
	s_lshl_b64 s[12:13], s[6:7], 2
	s_waitcnt lgkmcnt(0)
	s_add_u32 s12, s0, s12
	v_or_b32_e32 v1, s6, v0
	s_addc_u32 s13, s1, s13
	v_cmp_eq_u32_e32 vcc, 0, v1
	s_and_saveexec_b64 s[0:1], vcc
	s_cbranch_execz .LBB120_2
; %bb.1:
	v_mov_b32_e32 v1, 0
	v_mov_b32_e32 v2, s10
	global_store_dword v1, v2, s[2:3]
.LBB120_2:
	s_or_b64 exec, exec, s[0:1]
	v_and_b32_e32 v6, 3, v0
	v_bfe_u32 v8, v0, 2, 4
	v_cmp_gt_i32_e32 vcc, s8, v8
	v_cmp_gt_i32_e64 s[0:1], s9, v6
	s_and_b64 s[0:1], vcc, s[0:1]
	s_and_saveexec_b64 s[14:15], s[0:1]
	s_cbranch_execz .LBB120_6
; %bb.3:
	s_load_dwordx2 s[14:15], s[12:13], 0x0
	s_load_dword s11, s[4:5], 0xc
	s_mul_i32 s6, s6, s8
	v_add_u32_e32 v2, s6, v8
	s_mul_i32 s1, s9, s8
	v_ashrrev_i32_e32 v3, 31, v2
	s_waitcnt lgkmcnt(0)
	s_sub_i32 s0, s14, s11
	s_sub_i32 s14, s15, s11
	;; [unrolled: 1-line block ×3, first 2 shown]
	s_mul_i32 s12, s15, s9
	v_lshrrev_b32_e32 v1, 6, v0
	s_mul_i32 s7, s0, s1
	v_mul_lo_u32 v0, s12, v8
	s_add_i32 s12, s12, s10
	v_lshlrev_b64 v[2:3], 2, v[2:3]
	s_add_i32 s12, s12, s7
	v_mov_b32_e32 v4, s3
	v_add_co_u32_e32 v2, vcc, s2, v2
	v_add_u32_e32 v0, s12, v0
	v_addc_co_u32_e32 v3, vcc, v4, v3, vcc
	global_store_dword v[2:3], v0, off offset:4
	v_add_u32_e32 v0, s0, v1
	v_cmp_gt_i32_e32 vcc, s14, v0
	s_and_b64 exec, exec, vcc
	s_cbranch_execz .LBB120_6
; %bb.4:
	s_load_dwordx2 s[16:17], s[4:5], 0x20
	s_load_dwordx2 s[2:3], s[4:5], 0x38
	s_load_dword s18, s[4:5], 0x0
	s_load_dwordx2 s[6:7], s[4:5], 0x10
	s_load_dwordx2 s[12:13], s[4:5], 0x48
	v_mad_u64_u32 v[4:5], s[4:5], v6, s8, v[8:9]
	s_waitcnt lgkmcnt(0)
	s_cmp_eq_u32 s18, 0
	v_mad_u64_u32 v[10:11], s[4:5], v8, s9, v[6:7]
	s_cselect_b64 vcc, -1, 0
	s_mul_i32 s0, s8, s0
	v_mul_lo_u32 v3, s15, v8
	v_cndmask_b32_e32 v4, v4, v10, vcc
	v_add3_u32 v1, v1, s0, v3
	v_add_u32_e32 v2, s10, v6
	v_mad_u64_u32 v[4:5], s[4:5], s1, v0, v[4:5]
	s_lshl_b32 s10, s1, 4
	v_mad_u64_u32 v[6:7], s[0:1], s9, v1, v[6:7]
	v_ashrrev_i32_e32 v1, 31, v0
	v_lshlrev_b64 v[8:9], 2, v[0:1]
	v_mov_b32_e32 v1, s17
	v_add_co_u32_e32 v8, vcc, s16, v8
	s_lshl_b32 s8, s9, 4
	v_addc_co_u32_e32 v9, vcc, v1, v9, vcc
	s_mov_b64 s[4:5], 0
	v_mov_b32_e32 v1, s13
	v_mov_b32_e32 v3, s7
	;; [unrolled: 1-line block ×3, first 2 shown]
.LBB120_5:                              ; =>This Inner Loop Header: Depth=1
	v_ashrrev_i32_e32 v5, 31, v4
	global_load_dword v11, v[8:9], off
	v_lshlrev_b64 v[12:13], 3, v[4:5]
	v_add_co_u32_e32 v12, vcc, s6, v12
	v_addc_co_u32_e32 v13, vcc, v3, v13, vcc
	global_load_dwordx2 v[12:13], v[12:13], off
	v_ashrrev_i32_e32 v7, 31, v6
	v_lshlrev_b64 v[14:15], 2, v[6:7]
	v_add_co_u32_e32 v8, vcc, 64, v8
	v_add_co_u32_e64 v14, s[0:1], s12, v14
	v_add_u32_e32 v0, 16, v0
	v_addc_co_u32_e32 v9, vcc, 0, v9, vcc
	v_lshlrev_b64 v[16:17], 3, v[6:7]
	v_addc_co_u32_e64 v15, s[0:1], v1, v15, s[0:1]
	v_cmp_le_i32_e32 vcc, s14, v0
	v_add_co_u32_e64 v16, s[0:1], s2, v16
	v_add_u32_e32 v4, s10, v4
	v_add_u32_e32 v6, s8, v6
	v_addc_co_u32_e64 v17, s[0:1], v10, v17, s[0:1]
	s_or_b64 s[4:5], vcc, s[4:5]
	s_waitcnt vmcnt(1)
	v_subrev_u32_e32 v5, s11, v11
	v_mad_u64_u32 v[18:19], s[0:1], v5, s9, v[2:3]
	global_store_dword v[14:15], v18, off
	s_waitcnt vmcnt(1)
	global_store_dwordx2 v[16:17], v[12:13], off
	s_andn2_b64 exec, exec, s[4:5]
	s_cbranch_execnz .LBB120_5
.LBB120_6:
	s_endpgm
	.section	.rodata,"a",@progbits
	.p2align	6, 0x0
	.amdhsa_kernel _ZN9rocsparseL35gebsr2csr_block_per_row_1_32_kernelILi1024ELi16ELi4E21rocsparse_complex_numIfEEEv20rocsparse_direction_ii21rocsparse_index_base_PKT2_PKiS9_iiS4_PS5_PiSB_
		.amdhsa_group_segment_fixed_size 0
		.amdhsa_private_segment_fixed_size 0
		.amdhsa_kernarg_size 80
		.amdhsa_user_sgpr_count 6
		.amdhsa_user_sgpr_private_segment_buffer 1
		.amdhsa_user_sgpr_dispatch_ptr 0
		.amdhsa_user_sgpr_queue_ptr 0
		.amdhsa_user_sgpr_kernarg_segment_ptr 1
		.amdhsa_user_sgpr_dispatch_id 0
		.amdhsa_user_sgpr_flat_scratch_init 0
		.amdhsa_user_sgpr_kernarg_preload_length 0
		.amdhsa_user_sgpr_kernarg_preload_offset 0
		.amdhsa_user_sgpr_private_segment_size 0
		.amdhsa_uses_dynamic_stack 0
		.amdhsa_system_sgpr_private_segment_wavefront_offset 0
		.amdhsa_system_sgpr_workgroup_id_x 1
		.amdhsa_system_sgpr_workgroup_id_y 0
		.amdhsa_system_sgpr_workgroup_id_z 0
		.amdhsa_system_sgpr_workgroup_info 0
		.amdhsa_system_vgpr_workitem_id 0
		.amdhsa_next_free_vgpr 20
		.amdhsa_next_free_sgpr 19
		.amdhsa_accum_offset 20
		.amdhsa_reserve_vcc 1
		.amdhsa_reserve_flat_scratch 0
		.amdhsa_float_round_mode_32 0
		.amdhsa_float_round_mode_16_64 0
		.amdhsa_float_denorm_mode_32 3
		.amdhsa_float_denorm_mode_16_64 3
		.amdhsa_dx10_clamp 1
		.amdhsa_ieee_mode 1
		.amdhsa_fp16_overflow 0
		.amdhsa_tg_split 0
		.amdhsa_exception_fp_ieee_invalid_op 0
		.amdhsa_exception_fp_denorm_src 0
		.amdhsa_exception_fp_ieee_div_zero 0
		.amdhsa_exception_fp_ieee_overflow 0
		.amdhsa_exception_fp_ieee_underflow 0
		.amdhsa_exception_fp_ieee_inexact 0
		.amdhsa_exception_int_div_zero 0
	.end_amdhsa_kernel
	.section	.text._ZN9rocsparseL35gebsr2csr_block_per_row_1_32_kernelILi1024ELi16ELi4E21rocsparse_complex_numIfEEEv20rocsparse_direction_ii21rocsparse_index_base_PKT2_PKiS9_iiS4_PS5_PiSB_,"axG",@progbits,_ZN9rocsparseL35gebsr2csr_block_per_row_1_32_kernelILi1024ELi16ELi4E21rocsparse_complex_numIfEEEv20rocsparse_direction_ii21rocsparse_index_base_PKT2_PKiS9_iiS4_PS5_PiSB_,comdat
.Lfunc_end120:
	.size	_ZN9rocsparseL35gebsr2csr_block_per_row_1_32_kernelILi1024ELi16ELi4E21rocsparse_complex_numIfEEEv20rocsparse_direction_ii21rocsparse_index_base_PKT2_PKiS9_iiS4_PS5_PiSB_, .Lfunc_end120-_ZN9rocsparseL35gebsr2csr_block_per_row_1_32_kernelILi1024ELi16ELi4E21rocsparse_complex_numIfEEEv20rocsparse_direction_ii21rocsparse_index_base_PKT2_PKiS9_iiS4_PS5_PiSB_
                                        ; -- End function
	.section	.AMDGPU.csdata,"",@progbits
; Kernel info:
; codeLenInByte = 564
; NumSgprs: 23
; NumVgprs: 20
; NumAgprs: 0
; TotalNumVgprs: 20
; ScratchSize: 0
; MemoryBound: 0
; FloatMode: 240
; IeeeMode: 1
; LDSByteSize: 0 bytes/workgroup (compile time only)
; SGPRBlocks: 2
; VGPRBlocks: 2
; NumSGPRsForWavesPerEU: 23
; NumVGPRsForWavesPerEU: 20
; AccumOffset: 20
; Occupancy: 8
; WaveLimiterHint : 0
; COMPUTE_PGM_RSRC2:SCRATCH_EN: 0
; COMPUTE_PGM_RSRC2:USER_SGPR: 6
; COMPUTE_PGM_RSRC2:TRAP_HANDLER: 0
; COMPUTE_PGM_RSRC2:TGID_X_EN: 1
; COMPUTE_PGM_RSRC2:TGID_Y_EN: 0
; COMPUTE_PGM_RSRC2:TGID_Z_EN: 0
; COMPUTE_PGM_RSRC2:TIDIG_COMP_CNT: 0
; COMPUTE_PGM_RSRC3_GFX90A:ACCUM_OFFSET: 4
; COMPUTE_PGM_RSRC3_GFX90A:TG_SPLIT: 0
	.section	.text._ZN9rocsparseL35gebsr2csr_block_per_row_1_32_kernelILi1024ELi16ELi8E21rocsparse_complex_numIfEEEv20rocsparse_direction_ii21rocsparse_index_base_PKT2_PKiS9_iiS4_PS5_PiSB_,"axG",@progbits,_ZN9rocsparseL35gebsr2csr_block_per_row_1_32_kernelILi1024ELi16ELi8E21rocsparse_complex_numIfEEEv20rocsparse_direction_ii21rocsparse_index_base_PKT2_PKiS9_iiS4_PS5_PiSB_,comdat
	.globl	_ZN9rocsparseL35gebsr2csr_block_per_row_1_32_kernelILi1024ELi16ELi8E21rocsparse_complex_numIfEEEv20rocsparse_direction_ii21rocsparse_index_base_PKT2_PKiS9_iiS4_PS5_PiSB_ ; -- Begin function _ZN9rocsparseL35gebsr2csr_block_per_row_1_32_kernelILi1024ELi16ELi8E21rocsparse_complex_numIfEEEv20rocsparse_direction_ii21rocsparse_index_base_PKT2_PKiS9_iiS4_PS5_PiSB_
	.p2align	8
	.type	_ZN9rocsparseL35gebsr2csr_block_per_row_1_32_kernelILi1024ELi16ELi8E21rocsparse_complex_numIfEEEv20rocsparse_direction_ii21rocsparse_index_base_PKT2_PKiS9_iiS4_PS5_PiSB_,@function
_ZN9rocsparseL35gebsr2csr_block_per_row_1_32_kernelILi1024ELi16ELi8E21rocsparse_complex_numIfEEEv20rocsparse_direction_ii21rocsparse_index_base_PKT2_PKiS9_iiS4_PS5_PiSB_: ; @_ZN9rocsparseL35gebsr2csr_block_per_row_1_32_kernelILi1024ELi16ELi8E21rocsparse_complex_numIfEEEv20rocsparse_direction_ii21rocsparse_index_base_PKT2_PKiS9_iiS4_PS5_PiSB_
; %bb.0:
	s_load_dwordx2 s[0:1], s[4:5], 0x18
	s_load_dwordx4 s[8:11], s[4:5], 0x28
	s_load_dwordx2 s[2:3], s[4:5], 0x40
	s_ashr_i32 s7, s6, 31
	s_lshl_b64 s[12:13], s[6:7], 2
	s_waitcnt lgkmcnt(0)
	s_add_u32 s12, s0, s12
	v_or_b32_e32 v1, s6, v0
	s_addc_u32 s13, s1, s13
	v_cmp_eq_u32_e32 vcc, 0, v1
	s_and_saveexec_b64 s[0:1], vcc
	s_cbranch_execz .LBB121_2
; %bb.1:
	v_mov_b32_e32 v1, 0
	v_mov_b32_e32 v2, s10
	global_store_dword v1, v2, s[2:3]
.LBB121_2:
	s_or_b64 exec, exec, s[0:1]
	v_and_b32_e32 v6, 7, v0
	v_bfe_u32 v8, v0, 3, 4
	v_cmp_gt_i32_e32 vcc, s8, v8
	v_cmp_gt_i32_e64 s[0:1], s9, v6
	s_and_b64 s[0:1], vcc, s[0:1]
	s_and_saveexec_b64 s[14:15], s[0:1]
	s_cbranch_execz .LBB121_6
; %bb.3:
	s_load_dwordx2 s[14:15], s[12:13], 0x0
	s_load_dword s11, s[4:5], 0xc
	s_mul_i32 s6, s6, s8
	v_add_u32_e32 v2, s6, v8
	s_mul_i32 s1, s9, s8
	v_ashrrev_i32_e32 v3, 31, v2
	s_waitcnt lgkmcnt(0)
	s_sub_i32 s0, s14, s11
	s_sub_i32 s14, s15, s11
	;; [unrolled: 1-line block ×3, first 2 shown]
	s_mul_i32 s12, s15, s9
	v_lshrrev_b32_e32 v1, 7, v0
	s_mul_i32 s7, s0, s1
	v_mul_lo_u32 v0, s12, v8
	s_add_i32 s12, s12, s10
	v_lshlrev_b64 v[2:3], 2, v[2:3]
	s_add_i32 s12, s12, s7
	v_mov_b32_e32 v4, s3
	v_add_co_u32_e32 v2, vcc, s2, v2
	v_add_u32_e32 v0, s12, v0
	v_addc_co_u32_e32 v3, vcc, v4, v3, vcc
	global_store_dword v[2:3], v0, off offset:4
	v_add_u32_e32 v0, s0, v1
	v_cmp_gt_i32_e32 vcc, s14, v0
	s_and_b64 exec, exec, vcc
	s_cbranch_execz .LBB121_6
; %bb.4:
	s_load_dwordx2 s[16:17], s[4:5], 0x20
	s_load_dwordx2 s[2:3], s[4:5], 0x38
	s_load_dword s18, s[4:5], 0x0
	s_load_dwordx2 s[6:7], s[4:5], 0x10
	s_load_dwordx2 s[12:13], s[4:5], 0x48
	v_mad_u64_u32 v[4:5], s[4:5], v6, s8, v[8:9]
	s_waitcnt lgkmcnt(0)
	s_cmp_eq_u32 s18, 0
	v_mad_u64_u32 v[10:11], s[4:5], v8, s9, v[6:7]
	s_cselect_b64 vcc, -1, 0
	s_mul_i32 s0, s8, s0
	v_mul_lo_u32 v3, s15, v8
	v_cndmask_b32_e32 v4, v4, v10, vcc
	v_add3_u32 v1, v1, s0, v3
	v_add_u32_e32 v2, s10, v6
	v_mad_u64_u32 v[4:5], s[4:5], s1, v0, v[4:5]
	s_lshl_b32 s10, s1, 3
	v_mad_u64_u32 v[6:7], s[0:1], s9, v1, v[6:7]
	v_ashrrev_i32_e32 v1, 31, v0
	v_lshlrev_b64 v[8:9], 2, v[0:1]
	v_mov_b32_e32 v1, s17
	v_add_co_u32_e32 v8, vcc, s16, v8
	s_lshl_b32 s8, s9, 3
	v_addc_co_u32_e32 v9, vcc, v1, v9, vcc
	s_mov_b64 s[4:5], 0
	v_mov_b32_e32 v1, s13
	v_mov_b32_e32 v3, s7
	;; [unrolled: 1-line block ×3, first 2 shown]
.LBB121_5:                              ; =>This Inner Loop Header: Depth=1
	v_ashrrev_i32_e32 v5, 31, v4
	global_load_dword v11, v[8:9], off
	v_lshlrev_b64 v[12:13], 3, v[4:5]
	v_add_co_u32_e32 v12, vcc, s6, v12
	v_addc_co_u32_e32 v13, vcc, v3, v13, vcc
	global_load_dwordx2 v[12:13], v[12:13], off
	v_ashrrev_i32_e32 v7, 31, v6
	v_lshlrev_b64 v[14:15], 2, v[6:7]
	v_add_co_u32_e32 v8, vcc, 32, v8
	v_add_co_u32_e64 v14, s[0:1], s12, v14
	v_add_u32_e32 v0, 8, v0
	v_addc_co_u32_e32 v9, vcc, 0, v9, vcc
	v_lshlrev_b64 v[16:17], 3, v[6:7]
	v_addc_co_u32_e64 v15, s[0:1], v1, v15, s[0:1]
	v_cmp_le_i32_e32 vcc, s14, v0
	v_add_co_u32_e64 v16, s[0:1], s2, v16
	v_add_u32_e32 v4, s10, v4
	v_add_u32_e32 v6, s8, v6
	v_addc_co_u32_e64 v17, s[0:1], v10, v17, s[0:1]
	s_or_b64 s[4:5], vcc, s[4:5]
	s_waitcnt vmcnt(1)
	v_subrev_u32_e32 v5, s11, v11
	v_mad_u64_u32 v[18:19], s[0:1], v5, s9, v[2:3]
	global_store_dword v[14:15], v18, off
	s_waitcnt vmcnt(1)
	global_store_dwordx2 v[16:17], v[12:13], off
	s_andn2_b64 exec, exec, s[4:5]
	s_cbranch_execnz .LBB121_5
.LBB121_6:
	s_endpgm
	.section	.rodata,"a",@progbits
	.p2align	6, 0x0
	.amdhsa_kernel _ZN9rocsparseL35gebsr2csr_block_per_row_1_32_kernelILi1024ELi16ELi8E21rocsparse_complex_numIfEEEv20rocsparse_direction_ii21rocsparse_index_base_PKT2_PKiS9_iiS4_PS5_PiSB_
		.amdhsa_group_segment_fixed_size 0
		.amdhsa_private_segment_fixed_size 0
		.amdhsa_kernarg_size 80
		.amdhsa_user_sgpr_count 6
		.amdhsa_user_sgpr_private_segment_buffer 1
		.amdhsa_user_sgpr_dispatch_ptr 0
		.amdhsa_user_sgpr_queue_ptr 0
		.amdhsa_user_sgpr_kernarg_segment_ptr 1
		.amdhsa_user_sgpr_dispatch_id 0
		.amdhsa_user_sgpr_flat_scratch_init 0
		.amdhsa_user_sgpr_kernarg_preload_length 0
		.amdhsa_user_sgpr_kernarg_preload_offset 0
		.amdhsa_user_sgpr_private_segment_size 0
		.amdhsa_uses_dynamic_stack 0
		.amdhsa_system_sgpr_private_segment_wavefront_offset 0
		.amdhsa_system_sgpr_workgroup_id_x 1
		.amdhsa_system_sgpr_workgroup_id_y 0
		.amdhsa_system_sgpr_workgroup_id_z 0
		.amdhsa_system_sgpr_workgroup_info 0
		.amdhsa_system_vgpr_workitem_id 0
		.amdhsa_next_free_vgpr 20
		.amdhsa_next_free_sgpr 19
		.amdhsa_accum_offset 20
		.amdhsa_reserve_vcc 1
		.amdhsa_reserve_flat_scratch 0
		.amdhsa_float_round_mode_32 0
		.amdhsa_float_round_mode_16_64 0
		.amdhsa_float_denorm_mode_32 3
		.amdhsa_float_denorm_mode_16_64 3
		.amdhsa_dx10_clamp 1
		.amdhsa_ieee_mode 1
		.amdhsa_fp16_overflow 0
		.amdhsa_tg_split 0
		.amdhsa_exception_fp_ieee_invalid_op 0
		.amdhsa_exception_fp_denorm_src 0
		.amdhsa_exception_fp_ieee_div_zero 0
		.amdhsa_exception_fp_ieee_overflow 0
		.amdhsa_exception_fp_ieee_underflow 0
		.amdhsa_exception_fp_ieee_inexact 0
		.amdhsa_exception_int_div_zero 0
	.end_amdhsa_kernel
	.section	.text._ZN9rocsparseL35gebsr2csr_block_per_row_1_32_kernelILi1024ELi16ELi8E21rocsparse_complex_numIfEEEv20rocsparse_direction_ii21rocsparse_index_base_PKT2_PKiS9_iiS4_PS5_PiSB_,"axG",@progbits,_ZN9rocsparseL35gebsr2csr_block_per_row_1_32_kernelILi1024ELi16ELi8E21rocsparse_complex_numIfEEEv20rocsparse_direction_ii21rocsparse_index_base_PKT2_PKiS9_iiS4_PS5_PiSB_,comdat
.Lfunc_end121:
	.size	_ZN9rocsparseL35gebsr2csr_block_per_row_1_32_kernelILi1024ELi16ELi8E21rocsparse_complex_numIfEEEv20rocsparse_direction_ii21rocsparse_index_base_PKT2_PKiS9_iiS4_PS5_PiSB_, .Lfunc_end121-_ZN9rocsparseL35gebsr2csr_block_per_row_1_32_kernelILi1024ELi16ELi8E21rocsparse_complex_numIfEEEv20rocsparse_direction_ii21rocsparse_index_base_PKT2_PKiS9_iiS4_PS5_PiSB_
                                        ; -- End function
	.section	.AMDGPU.csdata,"",@progbits
; Kernel info:
; codeLenInByte = 564
; NumSgprs: 23
; NumVgprs: 20
; NumAgprs: 0
; TotalNumVgprs: 20
; ScratchSize: 0
; MemoryBound: 0
; FloatMode: 240
; IeeeMode: 1
; LDSByteSize: 0 bytes/workgroup (compile time only)
; SGPRBlocks: 2
; VGPRBlocks: 2
; NumSGPRsForWavesPerEU: 23
; NumVGPRsForWavesPerEU: 20
; AccumOffset: 20
; Occupancy: 8
; WaveLimiterHint : 0
; COMPUTE_PGM_RSRC2:SCRATCH_EN: 0
; COMPUTE_PGM_RSRC2:USER_SGPR: 6
; COMPUTE_PGM_RSRC2:TRAP_HANDLER: 0
; COMPUTE_PGM_RSRC2:TGID_X_EN: 1
; COMPUTE_PGM_RSRC2:TGID_Y_EN: 0
; COMPUTE_PGM_RSRC2:TGID_Z_EN: 0
; COMPUTE_PGM_RSRC2:TIDIG_COMP_CNT: 0
; COMPUTE_PGM_RSRC3_GFX90A:ACCUM_OFFSET: 4
; COMPUTE_PGM_RSRC3_GFX90A:TG_SPLIT: 0
	.section	.text._ZN9rocsparseL35gebsr2csr_block_per_row_1_32_kernelILi1024ELi16ELi16E21rocsparse_complex_numIfEEEv20rocsparse_direction_ii21rocsparse_index_base_PKT2_PKiS9_iiS4_PS5_PiSB_,"axG",@progbits,_ZN9rocsparseL35gebsr2csr_block_per_row_1_32_kernelILi1024ELi16ELi16E21rocsparse_complex_numIfEEEv20rocsparse_direction_ii21rocsparse_index_base_PKT2_PKiS9_iiS4_PS5_PiSB_,comdat
	.globl	_ZN9rocsparseL35gebsr2csr_block_per_row_1_32_kernelILi1024ELi16ELi16E21rocsparse_complex_numIfEEEv20rocsparse_direction_ii21rocsparse_index_base_PKT2_PKiS9_iiS4_PS5_PiSB_ ; -- Begin function _ZN9rocsparseL35gebsr2csr_block_per_row_1_32_kernelILi1024ELi16ELi16E21rocsparse_complex_numIfEEEv20rocsparse_direction_ii21rocsparse_index_base_PKT2_PKiS9_iiS4_PS5_PiSB_
	.p2align	8
	.type	_ZN9rocsparseL35gebsr2csr_block_per_row_1_32_kernelILi1024ELi16ELi16E21rocsparse_complex_numIfEEEv20rocsparse_direction_ii21rocsparse_index_base_PKT2_PKiS9_iiS4_PS5_PiSB_,@function
_ZN9rocsparseL35gebsr2csr_block_per_row_1_32_kernelILi1024ELi16ELi16E21rocsparse_complex_numIfEEEv20rocsparse_direction_ii21rocsparse_index_base_PKT2_PKiS9_iiS4_PS5_PiSB_: ; @_ZN9rocsparseL35gebsr2csr_block_per_row_1_32_kernelILi1024ELi16ELi16E21rocsparse_complex_numIfEEEv20rocsparse_direction_ii21rocsparse_index_base_PKT2_PKiS9_iiS4_PS5_PiSB_
; %bb.0:
	s_load_dwordx2 s[0:1], s[4:5], 0x18
	s_load_dwordx4 s[8:11], s[4:5], 0x28
	s_load_dwordx2 s[2:3], s[4:5], 0x40
	s_ashr_i32 s7, s6, 31
	s_lshl_b64 s[12:13], s[6:7], 2
	s_waitcnt lgkmcnt(0)
	s_add_u32 s12, s0, s12
	v_or_b32_e32 v1, s6, v0
	s_addc_u32 s13, s1, s13
	v_cmp_eq_u32_e32 vcc, 0, v1
	s_and_saveexec_b64 s[0:1], vcc
	s_cbranch_execz .LBB122_2
; %bb.1:
	v_mov_b32_e32 v1, 0
	v_mov_b32_e32 v2, s10
	global_store_dword v1, v2, s[2:3]
.LBB122_2:
	s_or_b64 exec, exec, s[0:1]
	v_and_b32_e32 v6, 15, v0
	v_bfe_u32 v8, v0, 4, 4
	v_cmp_gt_i32_e32 vcc, s8, v8
	v_cmp_gt_i32_e64 s[0:1], s9, v6
	s_and_b64 s[0:1], vcc, s[0:1]
	s_and_saveexec_b64 s[14:15], s[0:1]
	s_cbranch_execz .LBB122_6
; %bb.3:
	s_load_dwordx2 s[14:15], s[12:13], 0x0
	s_load_dword s11, s[4:5], 0xc
	s_mul_i32 s6, s6, s8
	v_add_u32_e32 v2, s6, v8
	s_mul_i32 s1, s9, s8
	v_ashrrev_i32_e32 v3, 31, v2
	s_waitcnt lgkmcnt(0)
	s_sub_i32 s0, s14, s11
	s_sub_i32 s14, s15, s11
	;; [unrolled: 1-line block ×3, first 2 shown]
	s_mul_i32 s12, s15, s9
	v_lshrrev_b32_e32 v1, 8, v0
	s_mul_i32 s7, s0, s1
	v_mul_lo_u32 v0, s12, v8
	s_add_i32 s12, s12, s10
	v_lshlrev_b64 v[2:3], 2, v[2:3]
	s_add_i32 s12, s12, s7
	v_mov_b32_e32 v4, s3
	v_add_co_u32_e32 v2, vcc, s2, v2
	v_add_u32_e32 v0, s12, v0
	v_addc_co_u32_e32 v3, vcc, v4, v3, vcc
	global_store_dword v[2:3], v0, off offset:4
	v_add_u32_e32 v0, s0, v1
	v_cmp_gt_i32_e32 vcc, s14, v0
	s_and_b64 exec, exec, vcc
	s_cbranch_execz .LBB122_6
; %bb.4:
	s_load_dwordx2 s[16:17], s[4:5], 0x20
	s_load_dwordx2 s[2:3], s[4:5], 0x38
	s_load_dword s18, s[4:5], 0x0
	s_load_dwordx2 s[6:7], s[4:5], 0x10
	s_load_dwordx2 s[12:13], s[4:5], 0x48
	v_mad_u64_u32 v[4:5], s[4:5], v6, s8, v[8:9]
	s_waitcnt lgkmcnt(0)
	s_cmp_eq_u32 s18, 0
	v_mad_u64_u32 v[10:11], s[4:5], v8, s9, v[6:7]
	s_cselect_b64 vcc, -1, 0
	s_mul_i32 s0, s8, s0
	v_mul_lo_u32 v3, s15, v8
	v_cndmask_b32_e32 v4, v4, v10, vcc
	v_add3_u32 v1, v1, s0, v3
	v_add_u32_e32 v2, s10, v6
	v_mad_u64_u32 v[4:5], s[4:5], s1, v0, v[4:5]
	s_lshl_b32 s10, s1, 2
	v_mad_u64_u32 v[6:7], s[0:1], s9, v1, v[6:7]
	v_ashrrev_i32_e32 v1, 31, v0
	v_lshlrev_b64 v[8:9], 2, v[0:1]
	v_mov_b32_e32 v1, s17
	v_add_co_u32_e32 v8, vcc, s16, v8
	s_lshl_b32 s8, s9, 2
	v_addc_co_u32_e32 v9, vcc, v1, v9, vcc
	s_mov_b64 s[4:5], 0
	v_mov_b32_e32 v1, s13
	v_mov_b32_e32 v3, s7
	;; [unrolled: 1-line block ×3, first 2 shown]
.LBB122_5:                              ; =>This Inner Loop Header: Depth=1
	v_ashrrev_i32_e32 v5, 31, v4
	global_load_dword v11, v[8:9], off
	v_lshlrev_b64 v[12:13], 3, v[4:5]
	v_add_co_u32_e32 v12, vcc, s6, v12
	v_addc_co_u32_e32 v13, vcc, v3, v13, vcc
	global_load_dwordx2 v[12:13], v[12:13], off
	v_ashrrev_i32_e32 v7, 31, v6
	v_lshlrev_b64 v[14:15], 2, v[6:7]
	v_add_co_u32_e32 v8, vcc, 16, v8
	v_add_co_u32_e64 v14, s[0:1], s12, v14
	v_add_u32_e32 v0, 4, v0
	v_addc_co_u32_e32 v9, vcc, 0, v9, vcc
	v_lshlrev_b64 v[16:17], 3, v[6:7]
	v_addc_co_u32_e64 v15, s[0:1], v1, v15, s[0:1]
	v_cmp_le_i32_e32 vcc, s14, v0
	v_add_co_u32_e64 v16, s[0:1], s2, v16
	v_add_u32_e32 v4, s10, v4
	v_add_u32_e32 v6, s8, v6
	v_addc_co_u32_e64 v17, s[0:1], v10, v17, s[0:1]
	s_or_b64 s[4:5], vcc, s[4:5]
	s_waitcnt vmcnt(1)
	v_subrev_u32_e32 v5, s11, v11
	v_mad_u64_u32 v[18:19], s[0:1], v5, s9, v[2:3]
	global_store_dword v[14:15], v18, off
	s_waitcnt vmcnt(1)
	global_store_dwordx2 v[16:17], v[12:13], off
	s_andn2_b64 exec, exec, s[4:5]
	s_cbranch_execnz .LBB122_5
.LBB122_6:
	s_endpgm
	.section	.rodata,"a",@progbits
	.p2align	6, 0x0
	.amdhsa_kernel _ZN9rocsparseL35gebsr2csr_block_per_row_1_32_kernelILi1024ELi16ELi16E21rocsparse_complex_numIfEEEv20rocsparse_direction_ii21rocsparse_index_base_PKT2_PKiS9_iiS4_PS5_PiSB_
		.amdhsa_group_segment_fixed_size 0
		.amdhsa_private_segment_fixed_size 0
		.amdhsa_kernarg_size 80
		.amdhsa_user_sgpr_count 6
		.amdhsa_user_sgpr_private_segment_buffer 1
		.amdhsa_user_sgpr_dispatch_ptr 0
		.amdhsa_user_sgpr_queue_ptr 0
		.amdhsa_user_sgpr_kernarg_segment_ptr 1
		.amdhsa_user_sgpr_dispatch_id 0
		.amdhsa_user_sgpr_flat_scratch_init 0
		.amdhsa_user_sgpr_kernarg_preload_length 0
		.amdhsa_user_sgpr_kernarg_preload_offset 0
		.amdhsa_user_sgpr_private_segment_size 0
		.amdhsa_uses_dynamic_stack 0
		.amdhsa_system_sgpr_private_segment_wavefront_offset 0
		.amdhsa_system_sgpr_workgroup_id_x 1
		.amdhsa_system_sgpr_workgroup_id_y 0
		.amdhsa_system_sgpr_workgroup_id_z 0
		.amdhsa_system_sgpr_workgroup_info 0
		.amdhsa_system_vgpr_workitem_id 0
		.amdhsa_next_free_vgpr 20
		.amdhsa_next_free_sgpr 19
		.amdhsa_accum_offset 20
		.amdhsa_reserve_vcc 1
		.amdhsa_reserve_flat_scratch 0
		.amdhsa_float_round_mode_32 0
		.amdhsa_float_round_mode_16_64 0
		.amdhsa_float_denorm_mode_32 3
		.amdhsa_float_denorm_mode_16_64 3
		.amdhsa_dx10_clamp 1
		.amdhsa_ieee_mode 1
		.amdhsa_fp16_overflow 0
		.amdhsa_tg_split 0
		.amdhsa_exception_fp_ieee_invalid_op 0
		.amdhsa_exception_fp_denorm_src 0
		.amdhsa_exception_fp_ieee_div_zero 0
		.amdhsa_exception_fp_ieee_overflow 0
		.amdhsa_exception_fp_ieee_underflow 0
		.amdhsa_exception_fp_ieee_inexact 0
		.amdhsa_exception_int_div_zero 0
	.end_amdhsa_kernel
	.section	.text._ZN9rocsparseL35gebsr2csr_block_per_row_1_32_kernelILi1024ELi16ELi16E21rocsparse_complex_numIfEEEv20rocsparse_direction_ii21rocsparse_index_base_PKT2_PKiS9_iiS4_PS5_PiSB_,"axG",@progbits,_ZN9rocsparseL35gebsr2csr_block_per_row_1_32_kernelILi1024ELi16ELi16E21rocsparse_complex_numIfEEEv20rocsparse_direction_ii21rocsparse_index_base_PKT2_PKiS9_iiS4_PS5_PiSB_,comdat
.Lfunc_end122:
	.size	_ZN9rocsparseL35gebsr2csr_block_per_row_1_32_kernelILi1024ELi16ELi16E21rocsparse_complex_numIfEEEv20rocsparse_direction_ii21rocsparse_index_base_PKT2_PKiS9_iiS4_PS5_PiSB_, .Lfunc_end122-_ZN9rocsparseL35gebsr2csr_block_per_row_1_32_kernelILi1024ELi16ELi16E21rocsparse_complex_numIfEEEv20rocsparse_direction_ii21rocsparse_index_base_PKT2_PKiS9_iiS4_PS5_PiSB_
                                        ; -- End function
	.section	.AMDGPU.csdata,"",@progbits
; Kernel info:
; codeLenInByte = 564
; NumSgprs: 23
; NumVgprs: 20
; NumAgprs: 0
; TotalNumVgprs: 20
; ScratchSize: 0
; MemoryBound: 0
; FloatMode: 240
; IeeeMode: 1
; LDSByteSize: 0 bytes/workgroup (compile time only)
; SGPRBlocks: 2
; VGPRBlocks: 2
; NumSGPRsForWavesPerEU: 23
; NumVGPRsForWavesPerEU: 20
; AccumOffset: 20
; Occupancy: 8
; WaveLimiterHint : 0
; COMPUTE_PGM_RSRC2:SCRATCH_EN: 0
; COMPUTE_PGM_RSRC2:USER_SGPR: 6
; COMPUTE_PGM_RSRC2:TRAP_HANDLER: 0
; COMPUTE_PGM_RSRC2:TGID_X_EN: 1
; COMPUTE_PGM_RSRC2:TGID_Y_EN: 0
; COMPUTE_PGM_RSRC2:TGID_Z_EN: 0
; COMPUTE_PGM_RSRC2:TIDIG_COMP_CNT: 0
; COMPUTE_PGM_RSRC3_GFX90A:ACCUM_OFFSET: 4
; COMPUTE_PGM_RSRC3_GFX90A:TG_SPLIT: 0
	.section	.text._ZN9rocsparseL35gebsr2csr_block_per_row_1_32_kernelILi1024ELi16ELi32E21rocsparse_complex_numIfEEEv20rocsparse_direction_ii21rocsparse_index_base_PKT2_PKiS9_iiS4_PS5_PiSB_,"axG",@progbits,_ZN9rocsparseL35gebsr2csr_block_per_row_1_32_kernelILi1024ELi16ELi32E21rocsparse_complex_numIfEEEv20rocsparse_direction_ii21rocsparse_index_base_PKT2_PKiS9_iiS4_PS5_PiSB_,comdat
	.globl	_ZN9rocsparseL35gebsr2csr_block_per_row_1_32_kernelILi1024ELi16ELi32E21rocsparse_complex_numIfEEEv20rocsparse_direction_ii21rocsparse_index_base_PKT2_PKiS9_iiS4_PS5_PiSB_ ; -- Begin function _ZN9rocsparseL35gebsr2csr_block_per_row_1_32_kernelILi1024ELi16ELi32E21rocsparse_complex_numIfEEEv20rocsparse_direction_ii21rocsparse_index_base_PKT2_PKiS9_iiS4_PS5_PiSB_
	.p2align	8
	.type	_ZN9rocsparseL35gebsr2csr_block_per_row_1_32_kernelILi1024ELi16ELi32E21rocsparse_complex_numIfEEEv20rocsparse_direction_ii21rocsparse_index_base_PKT2_PKiS9_iiS4_PS5_PiSB_,@function
_ZN9rocsparseL35gebsr2csr_block_per_row_1_32_kernelILi1024ELi16ELi32E21rocsparse_complex_numIfEEEv20rocsparse_direction_ii21rocsparse_index_base_PKT2_PKiS9_iiS4_PS5_PiSB_: ; @_ZN9rocsparseL35gebsr2csr_block_per_row_1_32_kernelILi1024ELi16ELi32E21rocsparse_complex_numIfEEEv20rocsparse_direction_ii21rocsparse_index_base_PKT2_PKiS9_iiS4_PS5_PiSB_
; %bb.0:
	s_load_dwordx2 s[0:1], s[4:5], 0x18
	s_load_dwordx4 s[8:11], s[4:5], 0x28
	s_load_dwordx2 s[2:3], s[4:5], 0x40
	s_ashr_i32 s7, s6, 31
	s_lshl_b64 s[12:13], s[6:7], 2
	s_waitcnt lgkmcnt(0)
	s_add_u32 s12, s0, s12
	v_or_b32_e32 v1, s6, v0
	s_addc_u32 s13, s1, s13
	v_cmp_eq_u32_e32 vcc, 0, v1
	s_and_saveexec_b64 s[0:1], vcc
	s_cbranch_execz .LBB123_2
; %bb.1:
	v_mov_b32_e32 v1, 0
	v_mov_b32_e32 v2, s10
	global_store_dword v1, v2, s[2:3]
.LBB123_2:
	s_or_b64 exec, exec, s[0:1]
	v_and_b32_e32 v6, 31, v0
	v_bfe_u32 v8, v0, 5, 4
	v_cmp_gt_i32_e32 vcc, s8, v8
	v_cmp_gt_i32_e64 s[0:1], s9, v6
	s_and_b64 s[0:1], vcc, s[0:1]
	s_and_saveexec_b64 s[14:15], s[0:1]
	s_cbranch_execz .LBB123_6
; %bb.3:
	s_load_dwordx2 s[14:15], s[12:13], 0x0
	s_load_dword s11, s[4:5], 0xc
	s_mul_i32 s6, s6, s8
	v_add_u32_e32 v2, s6, v8
	s_mul_i32 s1, s9, s8
	v_ashrrev_i32_e32 v3, 31, v2
	s_waitcnt lgkmcnt(0)
	s_sub_i32 s0, s14, s11
	s_sub_i32 s14, s15, s11
	;; [unrolled: 1-line block ×3, first 2 shown]
	s_mul_i32 s12, s15, s9
	v_lshrrev_b32_e32 v1, 9, v0
	s_mul_i32 s7, s0, s1
	v_mul_lo_u32 v0, s12, v8
	s_add_i32 s12, s12, s10
	v_lshlrev_b64 v[2:3], 2, v[2:3]
	s_add_i32 s12, s12, s7
	v_mov_b32_e32 v4, s3
	v_add_co_u32_e32 v2, vcc, s2, v2
	v_add_u32_e32 v0, s12, v0
	v_addc_co_u32_e32 v3, vcc, v4, v3, vcc
	global_store_dword v[2:3], v0, off offset:4
	v_add_u32_e32 v0, s0, v1
	v_cmp_gt_i32_e32 vcc, s14, v0
	s_and_b64 exec, exec, vcc
	s_cbranch_execz .LBB123_6
; %bb.4:
	s_load_dwordx2 s[16:17], s[4:5], 0x20
	s_load_dwordx2 s[2:3], s[4:5], 0x38
	s_load_dword s18, s[4:5], 0x0
	s_load_dwordx2 s[6:7], s[4:5], 0x10
	s_load_dwordx2 s[12:13], s[4:5], 0x48
	v_mad_u64_u32 v[4:5], s[4:5], v6, s8, v[8:9]
	s_waitcnt lgkmcnt(0)
	s_cmp_eq_u32 s18, 0
	v_mad_u64_u32 v[10:11], s[4:5], v8, s9, v[6:7]
	s_cselect_b64 vcc, -1, 0
	s_mul_i32 s0, s8, s0
	v_mul_lo_u32 v3, s15, v8
	v_cndmask_b32_e32 v4, v4, v10, vcc
	v_add3_u32 v1, v1, s0, v3
	v_add_u32_e32 v2, s10, v6
	v_mad_u64_u32 v[4:5], s[4:5], s1, v0, v[4:5]
	s_lshl_b32 s10, s1, 1
	v_mad_u64_u32 v[6:7], s[0:1], s9, v1, v[6:7]
	v_ashrrev_i32_e32 v1, 31, v0
	v_lshlrev_b64 v[8:9], 2, v[0:1]
	v_mov_b32_e32 v1, s17
	v_add_co_u32_e32 v8, vcc, s16, v8
	s_lshl_b32 s8, s9, 1
	v_addc_co_u32_e32 v9, vcc, v1, v9, vcc
	s_mov_b64 s[4:5], 0
	v_mov_b32_e32 v1, s13
	v_mov_b32_e32 v3, s7
	v_mov_b32_e32 v10, s3
.LBB123_5:                              ; =>This Inner Loop Header: Depth=1
	v_ashrrev_i32_e32 v5, 31, v4
	global_load_dword v11, v[8:9], off
	v_lshlrev_b64 v[12:13], 3, v[4:5]
	v_add_co_u32_e32 v12, vcc, s6, v12
	v_addc_co_u32_e32 v13, vcc, v3, v13, vcc
	global_load_dwordx2 v[12:13], v[12:13], off
	v_ashrrev_i32_e32 v7, 31, v6
	v_lshlrev_b64 v[14:15], 2, v[6:7]
	v_add_co_u32_e32 v8, vcc, 8, v8
	v_add_co_u32_e64 v14, s[0:1], s12, v14
	v_add_u32_e32 v0, 2, v0
	v_addc_co_u32_e32 v9, vcc, 0, v9, vcc
	v_lshlrev_b64 v[16:17], 3, v[6:7]
	v_addc_co_u32_e64 v15, s[0:1], v1, v15, s[0:1]
	v_cmp_le_i32_e32 vcc, s14, v0
	v_add_co_u32_e64 v16, s[0:1], s2, v16
	v_add_u32_e32 v4, s10, v4
	v_add_u32_e32 v6, s8, v6
	v_addc_co_u32_e64 v17, s[0:1], v10, v17, s[0:1]
	s_or_b64 s[4:5], vcc, s[4:5]
	s_waitcnt vmcnt(1)
	v_subrev_u32_e32 v5, s11, v11
	v_mad_u64_u32 v[18:19], s[0:1], v5, s9, v[2:3]
	global_store_dword v[14:15], v18, off
	s_waitcnt vmcnt(1)
	global_store_dwordx2 v[16:17], v[12:13], off
	s_andn2_b64 exec, exec, s[4:5]
	s_cbranch_execnz .LBB123_5
.LBB123_6:
	s_endpgm
	.section	.rodata,"a",@progbits
	.p2align	6, 0x0
	.amdhsa_kernel _ZN9rocsparseL35gebsr2csr_block_per_row_1_32_kernelILi1024ELi16ELi32E21rocsparse_complex_numIfEEEv20rocsparse_direction_ii21rocsparse_index_base_PKT2_PKiS9_iiS4_PS5_PiSB_
		.amdhsa_group_segment_fixed_size 0
		.amdhsa_private_segment_fixed_size 0
		.amdhsa_kernarg_size 80
		.amdhsa_user_sgpr_count 6
		.amdhsa_user_sgpr_private_segment_buffer 1
		.amdhsa_user_sgpr_dispatch_ptr 0
		.amdhsa_user_sgpr_queue_ptr 0
		.amdhsa_user_sgpr_kernarg_segment_ptr 1
		.amdhsa_user_sgpr_dispatch_id 0
		.amdhsa_user_sgpr_flat_scratch_init 0
		.amdhsa_user_sgpr_kernarg_preload_length 0
		.amdhsa_user_sgpr_kernarg_preload_offset 0
		.amdhsa_user_sgpr_private_segment_size 0
		.amdhsa_uses_dynamic_stack 0
		.amdhsa_system_sgpr_private_segment_wavefront_offset 0
		.amdhsa_system_sgpr_workgroup_id_x 1
		.amdhsa_system_sgpr_workgroup_id_y 0
		.amdhsa_system_sgpr_workgroup_id_z 0
		.amdhsa_system_sgpr_workgroup_info 0
		.amdhsa_system_vgpr_workitem_id 0
		.amdhsa_next_free_vgpr 20
		.amdhsa_next_free_sgpr 19
		.amdhsa_accum_offset 20
		.amdhsa_reserve_vcc 1
		.amdhsa_reserve_flat_scratch 0
		.amdhsa_float_round_mode_32 0
		.amdhsa_float_round_mode_16_64 0
		.amdhsa_float_denorm_mode_32 3
		.amdhsa_float_denorm_mode_16_64 3
		.amdhsa_dx10_clamp 1
		.amdhsa_ieee_mode 1
		.amdhsa_fp16_overflow 0
		.amdhsa_tg_split 0
		.amdhsa_exception_fp_ieee_invalid_op 0
		.amdhsa_exception_fp_denorm_src 0
		.amdhsa_exception_fp_ieee_div_zero 0
		.amdhsa_exception_fp_ieee_overflow 0
		.amdhsa_exception_fp_ieee_underflow 0
		.amdhsa_exception_fp_ieee_inexact 0
		.amdhsa_exception_int_div_zero 0
	.end_amdhsa_kernel
	.section	.text._ZN9rocsparseL35gebsr2csr_block_per_row_1_32_kernelILi1024ELi16ELi32E21rocsparse_complex_numIfEEEv20rocsparse_direction_ii21rocsparse_index_base_PKT2_PKiS9_iiS4_PS5_PiSB_,"axG",@progbits,_ZN9rocsparseL35gebsr2csr_block_per_row_1_32_kernelILi1024ELi16ELi32E21rocsparse_complex_numIfEEEv20rocsparse_direction_ii21rocsparse_index_base_PKT2_PKiS9_iiS4_PS5_PiSB_,comdat
.Lfunc_end123:
	.size	_ZN9rocsparseL35gebsr2csr_block_per_row_1_32_kernelILi1024ELi16ELi32E21rocsparse_complex_numIfEEEv20rocsparse_direction_ii21rocsparse_index_base_PKT2_PKiS9_iiS4_PS5_PiSB_, .Lfunc_end123-_ZN9rocsparseL35gebsr2csr_block_per_row_1_32_kernelILi1024ELi16ELi32E21rocsparse_complex_numIfEEEv20rocsparse_direction_ii21rocsparse_index_base_PKT2_PKiS9_iiS4_PS5_PiSB_
                                        ; -- End function
	.section	.AMDGPU.csdata,"",@progbits
; Kernel info:
; codeLenInByte = 564
; NumSgprs: 23
; NumVgprs: 20
; NumAgprs: 0
; TotalNumVgprs: 20
; ScratchSize: 0
; MemoryBound: 0
; FloatMode: 240
; IeeeMode: 1
; LDSByteSize: 0 bytes/workgroup (compile time only)
; SGPRBlocks: 2
; VGPRBlocks: 2
; NumSGPRsForWavesPerEU: 23
; NumVGPRsForWavesPerEU: 20
; AccumOffset: 20
; Occupancy: 8
; WaveLimiterHint : 0
; COMPUTE_PGM_RSRC2:SCRATCH_EN: 0
; COMPUTE_PGM_RSRC2:USER_SGPR: 6
; COMPUTE_PGM_RSRC2:TRAP_HANDLER: 0
; COMPUTE_PGM_RSRC2:TGID_X_EN: 1
; COMPUTE_PGM_RSRC2:TGID_Y_EN: 0
; COMPUTE_PGM_RSRC2:TGID_Z_EN: 0
; COMPUTE_PGM_RSRC2:TIDIG_COMP_CNT: 0
; COMPUTE_PGM_RSRC3_GFX90A:ACCUM_OFFSET: 4
; COMPUTE_PGM_RSRC3_GFX90A:TG_SPLIT: 0
	.section	.text._ZN9rocsparseL37gebsr2csr_block_per_row_33_128_kernelILi1024ELi16ELi64ELi16ELi32E21rocsparse_complex_numIfEEEv20rocsparse_direction_ii21rocsparse_index_base_PKT4_PKiS9_iiS4_PS5_PiSB_,"axG",@progbits,_ZN9rocsparseL37gebsr2csr_block_per_row_33_128_kernelILi1024ELi16ELi64ELi16ELi32E21rocsparse_complex_numIfEEEv20rocsparse_direction_ii21rocsparse_index_base_PKT4_PKiS9_iiS4_PS5_PiSB_,comdat
	.globl	_ZN9rocsparseL37gebsr2csr_block_per_row_33_128_kernelILi1024ELi16ELi64ELi16ELi32E21rocsparse_complex_numIfEEEv20rocsparse_direction_ii21rocsparse_index_base_PKT4_PKiS9_iiS4_PS5_PiSB_ ; -- Begin function _ZN9rocsparseL37gebsr2csr_block_per_row_33_128_kernelILi1024ELi16ELi64ELi16ELi32E21rocsparse_complex_numIfEEEv20rocsparse_direction_ii21rocsparse_index_base_PKT4_PKiS9_iiS4_PS5_PiSB_
	.p2align	8
	.type	_ZN9rocsparseL37gebsr2csr_block_per_row_33_128_kernelILi1024ELi16ELi64ELi16ELi32E21rocsparse_complex_numIfEEEv20rocsparse_direction_ii21rocsparse_index_base_PKT4_PKiS9_iiS4_PS5_PiSB_,@function
_ZN9rocsparseL37gebsr2csr_block_per_row_33_128_kernelILi1024ELi16ELi64ELi16ELi32E21rocsparse_complex_numIfEEEv20rocsparse_direction_ii21rocsparse_index_base_PKT4_PKiS9_iiS4_PS5_PiSB_: ; @_ZN9rocsparseL37gebsr2csr_block_per_row_33_128_kernelILi1024ELi16ELi64ELi16ELi32E21rocsparse_complex_numIfEEEv20rocsparse_direction_ii21rocsparse_index_base_PKT4_PKiS9_iiS4_PS5_PiSB_
; %bb.0:
	s_load_dwordx2 s[0:1], s[4:5], 0x18
	s_load_dwordx4 s[8:11], s[4:5], 0x28
	s_load_dwordx2 s[2:3], s[4:5], 0x40
	s_ashr_i32 s7, s6, 31
	s_lshl_b64 s[12:13], s[6:7], 2
	s_waitcnt lgkmcnt(0)
	s_add_u32 s0, s0, s12
	s_addc_u32 s1, s1, s13
	s_load_dwordx2 s[14:15], s[0:1], 0x0
	v_or_b32_e32 v1, s6, v0
	v_cmp_eq_u32_e32 vcc, 0, v1
	s_and_saveexec_b64 s[0:1], vcc
	s_cbranch_execz .LBB124_2
; %bb.1:
	v_mov_b32_e32 v1, 0
	v_mov_b32_e32 v2, s10
	global_store_dword v1, v2, s[2:3]
.LBB124_2:
	s_or_b64 exec, exec, s[0:1]
	s_load_dword s11, s[4:5], 0xc
	v_lshrrev_b32_e32 v4, 5, v0
	v_cmp_gt_i32_e64 s[0:1], s8, v4
	s_mul_i32 s23, s9, s8
	s_waitcnt lgkmcnt(0)
	s_sub_i32 s12, s14, s11
	s_sub_i32 s22, s15, s11
	s_and_saveexec_b64 s[16:17], s[0:1]
	s_cbranch_execz .LBB124_4
; %bb.3:
	s_mul_i32 s6, s6, s8
	v_add_u32_e32 v2, s6, v4
	s_mul_i32 s7, s23, s12
	s_sub_i32 s13, s22, s12
	v_ashrrev_i32_e32 v3, 31, v2
	s_mul_i32 s13, s13, s9
	s_add_i32 s7, s7, s10
	v_lshlrev_b64 v[2:3], 2, v[2:3]
	v_mul_lo_u32 v1, s13, v4
	s_add_i32 s7, s7, s13
	v_mov_b32_e32 v5, s3
	v_add_co_u32_e32 v2, vcc, s2, v2
	v_add_u32_e32 v1, s7, v1
	v_addc_co_u32_e32 v3, vcc, v5, v3, vcc
	global_store_dword v[2:3], v1, off offset:4
.LBB124_4:
	s_or_b64 exec, exec, s[16:17]
	s_cmp_ge_i32 s14, s15
	s_cbranch_scc1 .LBB124_11
; %bb.5:
	s_load_dwordx2 s[18:19], s[4:5], 0x20
	s_load_dwordx2 s[6:7], s[4:5], 0x38
	;; [unrolled: 1-line block ×4, first 2 shown]
	s_load_dword s2, s[4:5], 0x0
	s_mul_i32 s13, s8, s12
	v_and_b32_e32 v0, 31, v0
	v_add_u32_e32 v1, s13, v4
	v_mad_u64_u32 v[2:3], s[4:5], s9, v1, v[0:1]
	s_mul_i32 s4, s9, s12
	s_sub_i32 s3, s22, s12
	v_add_u32_e32 v3, s4, v0
	v_mul_lo_u32 v6, s3, v4
	s_waitcnt lgkmcnt(0)
	s_cmp_eq_u32 s2, 0
	v_cmp_gt_i32_e64 s[2:3], s9, v0
	v_mad_u64_u32 v[8:9], s[4:5], s8, v3, v[4:5]
	v_or_b32_e32 v1, 32, v0
	s_cselect_b64 vcc, -1, 0
	s_and_b64 s[4:5], s[0:1], s[2:3]
	v_cmp_gt_i32_e64 s[2:3], s9, v1
	v_add_u32_e32 v3, 32, v3
	s_and_b64 s[2:3], s[0:1], s[2:3]
	v_mad_u64_u32 v[4:5], s[0:1], s8, v3, v[4:5]
	v_add_u32_e32 v3, s13, v6
	v_mad_u64_u32 v[6:7], s[0:1], s9, v3, v[0:1]
	s_ashr_i32 s13, s12, 31
	s_lshl_b64 s[0:1], s[12:13], 2
	s_add_u32 s18, s18, s0
	s_mov_b32 s24, 0
	s_addc_u32 s19, s19, s1
	v_cndmask_b32_e32 v3, v8, v2, vcc
	s_branch .LBB124_7
.LBB124_6:                              ;   in Loop: Header=BB124_7 Depth=1
	s_or_b64 exec, exec, s[20:21]
	s_add_i32 s12, s12, 1
	s_add_i32 s24, s24, s23
	s_add_u32 s18, s18, 4
	s_addc_u32 s19, s19, 0
	s_cmp_ge_i32 s12, s22
	v_add_u32_e32 v6, s9, v6
	s_cbranch_scc1 .LBB124_11
.LBB124_7:                              ; =>This Inner Loop Header: Depth=1
	s_load_dword s0, s[18:19], 0x0
	s_waitcnt lgkmcnt(0)
	s_sub_i32 s0, s0, s11
	s_mul_i32 s8, s0, s9
	s_add_i32 s8, s8, s10
	s_and_saveexec_b64 s[20:21], s[4:5]
	s_cbranch_execz .LBB124_9
; %bb.8:                                ;   in Loop: Header=BB124_7 Depth=1
	v_add_u32_e32 v8, s24, v3
	v_ashrrev_i32_e32 v9, 31, v8
	v_lshlrev_b64 v[8:9], 3, v[8:9]
	v_mov_b32_e32 v5, s17
	v_add_co_u32_e64 v8, s[0:1], s16, v8
	v_addc_co_u32_e64 v9, s[0:1], v5, v9, s[0:1]
	global_load_dwordx2 v[8:9], v[8:9], off
	v_ashrrev_i32_e32 v7, 31, v6
	v_lshlrev_b64 v[10:11], 2, v[6:7]
	v_mov_b32_e32 v12, s15
	v_add_co_u32_e64 v10, s[0:1], s14, v10
	v_add_u32_e32 v5, s8, v0
	v_addc_co_u32_e64 v11, s[0:1], v12, v11, s[0:1]
	global_store_dword v[10:11], v5, off
	v_lshlrev_b64 v[10:11], 3, v[6:7]
	v_mov_b32_e32 v5, s7
	v_add_co_u32_e64 v10, s[0:1], s6, v10
	v_addc_co_u32_e64 v11, s[0:1], v5, v11, s[0:1]
	s_waitcnt vmcnt(1)
	global_store_dwordx2 v[10:11], v[8:9], off
.LBB124_9:                              ;   in Loop: Header=BB124_7 Depth=1
	s_or_b64 exec, exec, s[20:21]
	s_and_saveexec_b64 s[20:21], s[2:3]
	s_cbranch_execz .LBB124_6
; %bb.10:                               ;   in Loop: Header=BB124_7 Depth=1
	v_add3_u32 v5, v2, s24, 32
	v_add_u32_e32 v7, s24, v4
	v_cndmask_b32_e32 v8, v7, v5, vcc
	v_ashrrev_i32_e32 v9, 31, v8
	v_lshlrev_b64 v[8:9], 3, v[8:9]
	v_mov_b32_e32 v5, s17
	v_add_co_u32_e64 v8, s[0:1], s16, v8
	v_addc_co_u32_e64 v9, s[0:1], v5, v9, s[0:1]
	global_load_dwordx2 v[8:9], v[8:9], off
	v_add_u32_e32 v10, 32, v6
	v_ashrrev_i32_e32 v11, 31, v10
	v_lshlrev_b64 v[12:13], 2, v[10:11]
	v_mov_b32_e32 v7, s15
	v_add_co_u32_e64 v12, s[0:1], s14, v12
	v_add_u32_e32 v5, s8, v1
	v_addc_co_u32_e64 v13, s[0:1], v7, v13, s[0:1]
	v_lshlrev_b64 v[10:11], 3, v[10:11]
	global_store_dword v[12:13], v5, off
	v_mov_b32_e32 v5, s7
	v_add_co_u32_e64 v10, s[0:1], s6, v10
	v_addc_co_u32_e64 v11, s[0:1], v5, v11, s[0:1]
	s_waitcnt vmcnt(1)
	global_store_dwordx2 v[10:11], v[8:9], off
	s_branch .LBB124_6
.LBB124_11:
	s_endpgm
	.section	.rodata,"a",@progbits
	.p2align	6, 0x0
	.amdhsa_kernel _ZN9rocsparseL37gebsr2csr_block_per_row_33_128_kernelILi1024ELi16ELi64ELi16ELi32E21rocsparse_complex_numIfEEEv20rocsparse_direction_ii21rocsparse_index_base_PKT4_PKiS9_iiS4_PS5_PiSB_
		.amdhsa_group_segment_fixed_size 0
		.amdhsa_private_segment_fixed_size 0
		.amdhsa_kernarg_size 80
		.amdhsa_user_sgpr_count 6
		.amdhsa_user_sgpr_private_segment_buffer 1
		.amdhsa_user_sgpr_dispatch_ptr 0
		.amdhsa_user_sgpr_queue_ptr 0
		.amdhsa_user_sgpr_kernarg_segment_ptr 1
		.amdhsa_user_sgpr_dispatch_id 0
		.amdhsa_user_sgpr_flat_scratch_init 0
		.amdhsa_user_sgpr_kernarg_preload_length 0
		.amdhsa_user_sgpr_kernarg_preload_offset 0
		.amdhsa_user_sgpr_private_segment_size 0
		.amdhsa_uses_dynamic_stack 0
		.amdhsa_system_sgpr_private_segment_wavefront_offset 0
		.amdhsa_system_sgpr_workgroup_id_x 1
		.amdhsa_system_sgpr_workgroup_id_y 0
		.amdhsa_system_sgpr_workgroup_id_z 0
		.amdhsa_system_sgpr_workgroup_info 0
		.amdhsa_system_vgpr_workitem_id 0
		.amdhsa_next_free_vgpr 14
		.amdhsa_next_free_sgpr 25
		.amdhsa_accum_offset 16
		.amdhsa_reserve_vcc 1
		.amdhsa_reserve_flat_scratch 0
		.amdhsa_float_round_mode_32 0
		.amdhsa_float_round_mode_16_64 0
		.amdhsa_float_denorm_mode_32 3
		.amdhsa_float_denorm_mode_16_64 3
		.amdhsa_dx10_clamp 1
		.amdhsa_ieee_mode 1
		.amdhsa_fp16_overflow 0
		.amdhsa_tg_split 0
		.amdhsa_exception_fp_ieee_invalid_op 0
		.amdhsa_exception_fp_denorm_src 0
		.amdhsa_exception_fp_ieee_div_zero 0
		.amdhsa_exception_fp_ieee_overflow 0
		.amdhsa_exception_fp_ieee_underflow 0
		.amdhsa_exception_fp_ieee_inexact 0
		.amdhsa_exception_int_div_zero 0
	.end_amdhsa_kernel
	.section	.text._ZN9rocsparseL37gebsr2csr_block_per_row_33_128_kernelILi1024ELi16ELi64ELi16ELi32E21rocsparse_complex_numIfEEEv20rocsparse_direction_ii21rocsparse_index_base_PKT4_PKiS9_iiS4_PS5_PiSB_,"axG",@progbits,_ZN9rocsparseL37gebsr2csr_block_per_row_33_128_kernelILi1024ELi16ELi64ELi16ELi32E21rocsparse_complex_numIfEEEv20rocsparse_direction_ii21rocsparse_index_base_PKT4_PKiS9_iiS4_PS5_PiSB_,comdat
.Lfunc_end124:
	.size	_ZN9rocsparseL37gebsr2csr_block_per_row_33_128_kernelILi1024ELi16ELi64ELi16ELi32E21rocsparse_complex_numIfEEEv20rocsparse_direction_ii21rocsparse_index_base_PKT4_PKiS9_iiS4_PS5_PiSB_, .Lfunc_end124-_ZN9rocsparseL37gebsr2csr_block_per_row_33_128_kernelILi1024ELi16ELi64ELi16ELi32E21rocsparse_complex_numIfEEEv20rocsparse_direction_ii21rocsparse_index_base_PKT4_PKiS9_iiS4_PS5_PiSB_
                                        ; -- End function
	.section	.AMDGPU.csdata,"",@progbits
; Kernel info:
; codeLenInByte = 752
; NumSgprs: 29
; NumVgprs: 14
; NumAgprs: 0
; TotalNumVgprs: 14
; ScratchSize: 0
; MemoryBound: 0
; FloatMode: 240
; IeeeMode: 1
; LDSByteSize: 0 bytes/workgroup (compile time only)
; SGPRBlocks: 3
; VGPRBlocks: 1
; NumSGPRsForWavesPerEU: 29
; NumVGPRsForWavesPerEU: 14
; AccumOffset: 16
; Occupancy: 8
; WaveLimiterHint : 1
; COMPUTE_PGM_RSRC2:SCRATCH_EN: 0
; COMPUTE_PGM_RSRC2:USER_SGPR: 6
; COMPUTE_PGM_RSRC2:TRAP_HANDLER: 0
; COMPUTE_PGM_RSRC2:TGID_X_EN: 1
; COMPUTE_PGM_RSRC2:TGID_Y_EN: 0
; COMPUTE_PGM_RSRC2:TGID_Z_EN: 0
; COMPUTE_PGM_RSRC2:TIDIG_COMP_CNT: 0
; COMPUTE_PGM_RSRC3_GFX90A:ACCUM_OFFSET: 3
; COMPUTE_PGM_RSRC3_GFX90A:TG_SPLIT: 0
	.section	.text._ZN9rocsparseL37gebsr2csr_block_per_row_33_128_kernelILi1024ELi16ELi128ELi16ELi32E21rocsparse_complex_numIfEEEv20rocsparse_direction_ii21rocsparse_index_base_PKT4_PKiS9_iiS4_PS5_PiSB_,"axG",@progbits,_ZN9rocsparseL37gebsr2csr_block_per_row_33_128_kernelILi1024ELi16ELi128ELi16ELi32E21rocsparse_complex_numIfEEEv20rocsparse_direction_ii21rocsparse_index_base_PKT4_PKiS9_iiS4_PS5_PiSB_,comdat
	.globl	_ZN9rocsparseL37gebsr2csr_block_per_row_33_128_kernelILi1024ELi16ELi128ELi16ELi32E21rocsparse_complex_numIfEEEv20rocsparse_direction_ii21rocsparse_index_base_PKT4_PKiS9_iiS4_PS5_PiSB_ ; -- Begin function _ZN9rocsparseL37gebsr2csr_block_per_row_33_128_kernelILi1024ELi16ELi128ELi16ELi32E21rocsparse_complex_numIfEEEv20rocsparse_direction_ii21rocsparse_index_base_PKT4_PKiS9_iiS4_PS5_PiSB_
	.p2align	8
	.type	_ZN9rocsparseL37gebsr2csr_block_per_row_33_128_kernelILi1024ELi16ELi128ELi16ELi32E21rocsparse_complex_numIfEEEv20rocsparse_direction_ii21rocsparse_index_base_PKT4_PKiS9_iiS4_PS5_PiSB_,@function
_ZN9rocsparseL37gebsr2csr_block_per_row_33_128_kernelILi1024ELi16ELi128ELi16ELi32E21rocsparse_complex_numIfEEEv20rocsparse_direction_ii21rocsparse_index_base_PKT4_PKiS9_iiS4_PS5_PiSB_: ; @_ZN9rocsparseL37gebsr2csr_block_per_row_33_128_kernelILi1024ELi16ELi128ELi16ELi32E21rocsparse_complex_numIfEEEv20rocsparse_direction_ii21rocsparse_index_base_PKT4_PKiS9_iiS4_PS5_PiSB_
; %bb.0:
	s_load_dwordx2 s[0:1], s[4:5], 0x18
	s_load_dwordx4 s[8:11], s[4:5], 0x28
	s_load_dwordx2 s[2:3], s[4:5], 0x40
	s_ashr_i32 s7, s6, 31
	s_lshl_b64 s[12:13], s[6:7], 2
	s_waitcnt lgkmcnt(0)
	s_add_u32 s0, s0, s12
	s_addc_u32 s1, s1, s13
	s_load_dwordx2 s[14:15], s[0:1], 0x0
	v_or_b32_e32 v1, s6, v0
	v_cmp_eq_u32_e32 vcc, 0, v1
	s_and_saveexec_b64 s[0:1], vcc
	s_cbranch_execz .LBB125_2
; %bb.1:
	v_mov_b32_e32 v1, 0
	v_mov_b32_e32 v2, s10
	global_store_dword v1, v2, s[2:3]
.LBB125_2:
	s_or_b64 exec, exec, s[0:1]
	s_load_dword s11, s[4:5], 0xc
	v_lshrrev_b32_e32 v1, 5, v0
	v_cmp_gt_i32_e64 s[0:1], s8, v1
	s_mul_i32 s27, s9, s8
	s_waitcnt lgkmcnt(0)
	s_sub_i32 s12, s14, s11
	s_sub_i32 s26, s15, s11
	s_and_saveexec_b64 s[16:17], s[0:1]
	s_cbranch_execz .LBB125_4
; %bb.3:
	s_mul_i32 s7, s27, s12
	s_sub_i32 s13, s26, s12
	s_mul_i32 s13, s13, s9
	s_add_i32 s7, s7, s10
	v_mul_lo_u32 v2, s13, v1
	s_add_i32 s7, s7, s13
	s_mul_i32 s6, s6, s8
	v_add_u32_e32 v4, s7, v2
	v_add_u32_e32 v2, s6, v1
	v_ashrrev_i32_e32 v3, 31, v2
	v_lshlrev_b64 v[2:3], 2, v[2:3]
	v_mov_b32_e32 v5, s3
	v_add_co_u32_e32 v2, vcc, s2, v2
	v_addc_co_u32_e32 v3, vcc, v5, v3, vcc
	global_store_dword v[2:3], v4, off offset:4
.LBB125_4:
	s_or_b64 exec, exec, s[16:17]
	s_cmp_ge_i32 s14, s15
	s_cbranch_scc1 .LBB125_15
; %bb.5:
	s_load_dwordx2 s[22:23], s[4:5], 0x20
	s_load_dwordx2 s[6:7], s[4:5], 0x38
	;; [unrolled: 1-line block ×3, first 2 shown]
	s_load_dword s2, s[4:5], 0x0
	s_load_dwordx2 s[16:17], s[4:5], 0x48
	v_and_b32_e32 v0, 31, v0
	s_sub_i32 s3, s26, s12
	v_mul_lo_u32 v10, s3, v1
	s_waitcnt lgkmcnt(0)
	s_cmp_eq_u32 s2, 0
	v_cmp_gt_i32_e64 s[2:3], s9, v0
	v_or_b32_e32 v2, 32, v0
	s_cselect_b64 vcc, -1, 0
	s_and_b64 s[4:5], s[0:1], s[2:3]
	v_cmp_gt_i32_e64 s[2:3], s9, v2
	v_or_b32_e32 v3, 64, v0
	s_and_b64 s[18:19], s[0:1], s[2:3]
	v_cmp_gt_i32_e64 s[2:3], s9, v3
	v_or_b32_e32 v4, 0x60, v0
	s_and_b64 s[20:21], s[0:1], s[2:3]
	v_cmp_gt_i32_e64 s[2:3], s9, v4
	s_and_b64 s[2:3], s[0:1], s[2:3]
	s_mul_i32 s0, s8, s12
	s_mul_i32 s1, s9, s12
	s_ashr_i32 s13, s12, 31
	v_add_u32_e32 v5, s0, v1
	v_add_u32_e32 v9, s1, v0
	;; [unrolled: 1-line block ×3, first 2 shown]
	s_lshl_b64 s[0:1], s[12:13], 2
	v_add_u32_e32 v6, 0x60, v9
	v_add_u32_e32 v7, 64, v9
	;; [unrolled: 1-line block ×3, first 2 shown]
	s_add_u32 s22, s22, s0
	s_movk_i32 s28, 0x60
	v_mul_lo_u32 v5, s9, v5
	v_mul_lo_u32 v6, s8, v6
	;; [unrolled: 1-line block ×6, first 2 shown]
	s_addc_u32 s23, s23, s1
	s_branch .LBB125_7
.LBB125_6:                              ;   in Loop: Header=BB125_7 Depth=1
	s_or_b64 exec, exec, s[24:25]
	s_add_i32 s12, s12, 1
	s_add_u32 s22, s22, 4
	s_addc_u32 s23, s23, 0
	v_add_u32_e32 v5, s27, v5
	v_add_u32_e32 v1, s27, v1
	s_cmp_ge_i32 s12, s26
	v_add_u32_e32 v10, s9, v10
	s_cbranch_scc1 .LBB125_15
.LBB125_7:                              ; =>This Inner Loop Header: Depth=1
	s_load_dword s0, s[22:23], 0x0
	s_waitcnt lgkmcnt(0)
	s_sub_i32 s0, s0, s11
	s_mul_i32 s8, s0, s9
	s_add_i32 s8, s8, s10
	s_and_saveexec_b64 s[24:25], s[4:5]
	s_cbranch_execnz .LBB125_11
; %bb.8:                                ;   in Loop: Header=BB125_7 Depth=1
	s_or_b64 exec, exec, s[24:25]
	s_and_saveexec_b64 s[24:25], s[18:19]
	s_cbranch_execnz .LBB125_12
.LBB125_9:                              ;   in Loop: Header=BB125_7 Depth=1
	s_or_b64 exec, exec, s[24:25]
	s_and_saveexec_b64 s[24:25], s[20:21]
	s_cbranch_execnz .LBB125_13
.LBB125_10:                             ;   in Loop: Header=BB125_7 Depth=1
	s_or_b64 exec, exec, s[24:25]
	s_and_saveexec_b64 s[24:25], s[2:3]
	s_cbranch_execz .LBB125_6
	s_branch .LBB125_14
.LBB125_11:                             ;   in Loop: Header=BB125_7 Depth=1
	v_add_u32_e32 v11, v0, v5
	v_add_u32_e32 v12, v9, v1
	v_cndmask_b32_e32 v12, v12, v11, vcc
	v_ashrrev_i32_e32 v13, 31, v12
	v_lshlrev_b64 v[12:13], 3, v[12:13]
	v_mov_b32_e32 v11, s15
	v_add_co_u32_e64 v12, s[0:1], s14, v12
	v_addc_co_u32_e64 v13, s[0:1], v11, v13, s[0:1]
	global_load_dwordx2 v[12:13], v[12:13], off
	v_add_u32_e32 v14, v0, v10
	v_ashrrev_i32_e32 v15, 31, v14
	v_lshlrev_b64 v[16:17], 2, v[14:15]
	v_mov_b32_e32 v18, s17
	v_add_co_u32_e64 v16, s[0:1], s16, v16
	v_add_u32_e32 v11, s8, v0
	v_addc_co_u32_e64 v17, s[0:1], v18, v17, s[0:1]
	v_lshlrev_b64 v[14:15], 3, v[14:15]
	global_store_dword v[16:17], v11, off
	v_mov_b32_e32 v11, s7
	v_add_co_u32_e64 v14, s[0:1], s6, v14
	v_addc_co_u32_e64 v15, s[0:1], v11, v15, s[0:1]
	s_waitcnt vmcnt(1)
	global_store_dwordx2 v[14:15], v[12:13], off
	s_or_b64 exec, exec, s[24:25]
	s_and_saveexec_b64 s[24:25], s[18:19]
	s_cbranch_execz .LBB125_9
.LBB125_12:                             ;   in Loop: Header=BB125_7 Depth=1
	v_add3_u32 v11, v0, v5, 32
	v_add_u32_e32 v12, v8, v1
	v_cndmask_b32_e32 v12, v12, v11, vcc
	v_ashrrev_i32_e32 v13, 31, v12
	v_lshlrev_b64 v[12:13], 3, v[12:13]
	v_mov_b32_e32 v11, s15
	v_add_co_u32_e64 v12, s[0:1], s14, v12
	v_addc_co_u32_e64 v13, s[0:1], v11, v13, s[0:1]
	global_load_dwordx2 v[12:13], v[12:13], off
	v_add3_u32 v14, v0, v10, 32
	v_ashrrev_i32_e32 v15, 31, v14
	v_lshlrev_b64 v[16:17], 2, v[14:15]
	v_mov_b32_e32 v18, s17
	v_add_co_u32_e64 v16, s[0:1], s16, v16
	v_add_u32_e32 v11, s8, v2
	v_addc_co_u32_e64 v17, s[0:1], v18, v17, s[0:1]
	v_lshlrev_b64 v[14:15], 3, v[14:15]
	global_store_dword v[16:17], v11, off
	v_mov_b32_e32 v11, s7
	v_add_co_u32_e64 v14, s[0:1], s6, v14
	v_addc_co_u32_e64 v15, s[0:1], v11, v15, s[0:1]
	s_waitcnt vmcnt(1)
	global_store_dwordx2 v[14:15], v[12:13], off
	s_or_b64 exec, exec, s[24:25]
	s_and_saveexec_b64 s[24:25], s[20:21]
	s_cbranch_execz .LBB125_10
.LBB125_13:                             ;   in Loop: Header=BB125_7 Depth=1
	v_add3_u32 v11, v0, v5, 64
	v_add_u32_e32 v12, v7, v1
	v_cndmask_b32_e32 v12, v12, v11, vcc
	v_ashrrev_i32_e32 v13, 31, v12
	v_lshlrev_b64 v[12:13], 3, v[12:13]
	v_mov_b32_e32 v11, s15
	v_add_co_u32_e64 v12, s[0:1], s14, v12
	v_addc_co_u32_e64 v13, s[0:1], v11, v13, s[0:1]
	global_load_dwordx2 v[12:13], v[12:13], off
	v_add3_u32 v14, v0, v10, 64
	v_ashrrev_i32_e32 v15, 31, v14
	v_lshlrev_b64 v[16:17], 2, v[14:15]
	v_mov_b32_e32 v18, s17
	v_add_co_u32_e64 v16, s[0:1], s16, v16
	v_add_u32_e32 v11, s8, v3
	v_addc_co_u32_e64 v17, s[0:1], v18, v17, s[0:1]
	v_lshlrev_b64 v[14:15], 3, v[14:15]
	global_store_dword v[16:17], v11, off
	v_mov_b32_e32 v11, s7
	v_add_co_u32_e64 v14, s[0:1], s6, v14
	v_addc_co_u32_e64 v15, s[0:1], v11, v15, s[0:1]
	s_waitcnt vmcnt(1)
	global_store_dwordx2 v[14:15], v[12:13], off
	s_or_b64 exec, exec, s[24:25]
	s_and_saveexec_b64 s[24:25], s[2:3]
	s_cbranch_execz .LBB125_6
.LBB125_14:                             ;   in Loop: Header=BB125_7 Depth=1
	v_add3_u32 v11, v0, v5, s28
	v_add_u32_e32 v12, v6, v1
	v_cndmask_b32_e32 v12, v12, v11, vcc
	v_ashrrev_i32_e32 v13, 31, v12
	v_lshlrev_b64 v[12:13], 3, v[12:13]
	v_mov_b32_e32 v11, s15
	v_add_co_u32_e64 v12, s[0:1], s14, v12
	v_addc_co_u32_e64 v13, s[0:1], v11, v13, s[0:1]
	global_load_dwordx2 v[12:13], v[12:13], off
	v_add3_u32 v14, v0, v10, s28
	v_ashrrev_i32_e32 v15, 31, v14
	v_lshlrev_b64 v[16:17], 2, v[14:15]
	v_mov_b32_e32 v18, s17
	v_add_co_u32_e64 v16, s[0:1], s16, v16
	v_add_u32_e32 v11, s8, v4
	v_addc_co_u32_e64 v17, s[0:1], v18, v17, s[0:1]
	v_lshlrev_b64 v[14:15], 3, v[14:15]
	global_store_dword v[16:17], v11, off
	v_mov_b32_e32 v11, s7
	v_add_co_u32_e64 v14, s[0:1], s6, v14
	v_addc_co_u32_e64 v15, s[0:1], v11, v15, s[0:1]
	s_waitcnt vmcnt(1)
	global_store_dwordx2 v[14:15], v[12:13], off
	s_branch .LBB125_6
.LBB125_15:
	s_endpgm
	.section	.rodata,"a",@progbits
	.p2align	6, 0x0
	.amdhsa_kernel _ZN9rocsparseL37gebsr2csr_block_per_row_33_128_kernelILi1024ELi16ELi128ELi16ELi32E21rocsparse_complex_numIfEEEv20rocsparse_direction_ii21rocsparse_index_base_PKT4_PKiS9_iiS4_PS5_PiSB_
		.amdhsa_group_segment_fixed_size 0
		.amdhsa_private_segment_fixed_size 0
		.amdhsa_kernarg_size 80
		.amdhsa_user_sgpr_count 6
		.amdhsa_user_sgpr_private_segment_buffer 1
		.amdhsa_user_sgpr_dispatch_ptr 0
		.amdhsa_user_sgpr_queue_ptr 0
		.amdhsa_user_sgpr_kernarg_segment_ptr 1
		.amdhsa_user_sgpr_dispatch_id 0
		.amdhsa_user_sgpr_flat_scratch_init 0
		.amdhsa_user_sgpr_kernarg_preload_length 0
		.amdhsa_user_sgpr_kernarg_preload_offset 0
		.amdhsa_user_sgpr_private_segment_size 0
		.amdhsa_uses_dynamic_stack 0
		.amdhsa_system_sgpr_private_segment_wavefront_offset 0
		.amdhsa_system_sgpr_workgroup_id_x 1
		.amdhsa_system_sgpr_workgroup_id_y 0
		.amdhsa_system_sgpr_workgroup_id_z 0
		.amdhsa_system_sgpr_workgroup_info 0
		.amdhsa_system_vgpr_workitem_id 0
		.amdhsa_next_free_vgpr 19
		.amdhsa_next_free_sgpr 29
		.amdhsa_accum_offset 20
		.amdhsa_reserve_vcc 1
		.amdhsa_reserve_flat_scratch 0
		.amdhsa_float_round_mode_32 0
		.amdhsa_float_round_mode_16_64 0
		.amdhsa_float_denorm_mode_32 3
		.amdhsa_float_denorm_mode_16_64 3
		.amdhsa_dx10_clamp 1
		.amdhsa_ieee_mode 1
		.amdhsa_fp16_overflow 0
		.amdhsa_tg_split 0
		.amdhsa_exception_fp_ieee_invalid_op 0
		.amdhsa_exception_fp_denorm_src 0
		.amdhsa_exception_fp_ieee_div_zero 0
		.amdhsa_exception_fp_ieee_overflow 0
		.amdhsa_exception_fp_ieee_underflow 0
		.amdhsa_exception_fp_ieee_inexact 0
		.amdhsa_exception_int_div_zero 0
	.end_amdhsa_kernel
	.section	.text._ZN9rocsparseL37gebsr2csr_block_per_row_33_128_kernelILi1024ELi16ELi128ELi16ELi32E21rocsparse_complex_numIfEEEv20rocsparse_direction_ii21rocsparse_index_base_PKT4_PKiS9_iiS4_PS5_PiSB_,"axG",@progbits,_ZN9rocsparseL37gebsr2csr_block_per_row_33_128_kernelILi1024ELi16ELi128ELi16ELi32E21rocsparse_complex_numIfEEEv20rocsparse_direction_ii21rocsparse_index_base_PKT4_PKiS9_iiS4_PS5_PiSB_,comdat
.Lfunc_end125:
	.size	_ZN9rocsparseL37gebsr2csr_block_per_row_33_128_kernelILi1024ELi16ELi128ELi16ELi32E21rocsparse_complex_numIfEEEv20rocsparse_direction_ii21rocsparse_index_base_PKT4_PKiS9_iiS4_PS5_PiSB_, .Lfunc_end125-_ZN9rocsparseL37gebsr2csr_block_per_row_33_128_kernelILi1024ELi16ELi128ELi16ELi32E21rocsparse_complex_numIfEEEv20rocsparse_direction_ii21rocsparse_index_base_PKT4_PKiS9_iiS4_PS5_PiSB_
                                        ; -- End function
	.section	.AMDGPU.csdata,"",@progbits
; Kernel info:
; codeLenInByte = 1192
; NumSgprs: 33
; NumVgprs: 19
; NumAgprs: 0
; TotalNumVgprs: 19
; ScratchSize: 0
; MemoryBound: 0
; FloatMode: 240
; IeeeMode: 1
; LDSByteSize: 0 bytes/workgroup (compile time only)
; SGPRBlocks: 4
; VGPRBlocks: 2
; NumSGPRsForWavesPerEU: 33
; NumVGPRsForWavesPerEU: 19
; AccumOffset: 20
; Occupancy: 8
; WaveLimiterHint : 1
; COMPUTE_PGM_RSRC2:SCRATCH_EN: 0
; COMPUTE_PGM_RSRC2:USER_SGPR: 6
; COMPUTE_PGM_RSRC2:TRAP_HANDLER: 0
; COMPUTE_PGM_RSRC2:TGID_X_EN: 1
; COMPUTE_PGM_RSRC2:TGID_Y_EN: 0
; COMPUTE_PGM_RSRC2:TGID_Z_EN: 0
; COMPUTE_PGM_RSRC2:TIDIG_COMP_CNT: 0
; COMPUTE_PGM_RSRC3_GFX90A:ACCUM_OFFSET: 4
; COMPUTE_PGM_RSRC3_GFX90A:TG_SPLIT: 0
	.section	.text._ZN9rocsparseL35gebsr2csr_block_per_row_1_32_kernelILi1024ELi32ELi2E21rocsparse_complex_numIfEEEv20rocsparse_direction_ii21rocsparse_index_base_PKT2_PKiS9_iiS4_PS5_PiSB_,"axG",@progbits,_ZN9rocsparseL35gebsr2csr_block_per_row_1_32_kernelILi1024ELi32ELi2E21rocsparse_complex_numIfEEEv20rocsparse_direction_ii21rocsparse_index_base_PKT2_PKiS9_iiS4_PS5_PiSB_,comdat
	.globl	_ZN9rocsparseL35gebsr2csr_block_per_row_1_32_kernelILi1024ELi32ELi2E21rocsparse_complex_numIfEEEv20rocsparse_direction_ii21rocsparse_index_base_PKT2_PKiS9_iiS4_PS5_PiSB_ ; -- Begin function _ZN9rocsparseL35gebsr2csr_block_per_row_1_32_kernelILi1024ELi32ELi2E21rocsparse_complex_numIfEEEv20rocsparse_direction_ii21rocsparse_index_base_PKT2_PKiS9_iiS4_PS5_PiSB_
	.p2align	8
	.type	_ZN9rocsparseL35gebsr2csr_block_per_row_1_32_kernelILi1024ELi32ELi2E21rocsparse_complex_numIfEEEv20rocsparse_direction_ii21rocsparse_index_base_PKT2_PKiS9_iiS4_PS5_PiSB_,@function
_ZN9rocsparseL35gebsr2csr_block_per_row_1_32_kernelILi1024ELi32ELi2E21rocsparse_complex_numIfEEEv20rocsparse_direction_ii21rocsparse_index_base_PKT2_PKiS9_iiS4_PS5_PiSB_: ; @_ZN9rocsparseL35gebsr2csr_block_per_row_1_32_kernelILi1024ELi32ELi2E21rocsparse_complex_numIfEEEv20rocsparse_direction_ii21rocsparse_index_base_PKT2_PKiS9_iiS4_PS5_PiSB_
; %bb.0:
	s_load_dwordx2 s[0:1], s[4:5], 0x18
	s_load_dwordx4 s[8:11], s[4:5], 0x28
	s_load_dwordx2 s[2:3], s[4:5], 0x40
	s_ashr_i32 s7, s6, 31
	s_lshl_b64 s[12:13], s[6:7], 2
	s_waitcnt lgkmcnt(0)
	s_add_u32 s12, s0, s12
	v_or_b32_e32 v1, s6, v0
	s_addc_u32 s13, s1, s13
	v_cmp_eq_u32_e32 vcc, 0, v1
	s_and_saveexec_b64 s[0:1], vcc
	s_cbranch_execz .LBB126_2
; %bb.1:
	v_mov_b32_e32 v1, 0
	v_mov_b32_e32 v2, s10
	global_store_dword v1, v2, s[2:3]
.LBB126_2:
	s_or_b64 exec, exec, s[0:1]
	v_and_b32_e32 v6, 1, v0
	v_bfe_u32 v8, v0, 1, 5
	v_cmp_gt_i32_e32 vcc, s8, v8
	v_cmp_gt_i32_e64 s[0:1], s9, v6
	s_and_b64 s[0:1], vcc, s[0:1]
	s_and_saveexec_b64 s[14:15], s[0:1]
	s_cbranch_execz .LBB126_6
; %bb.3:
	s_load_dwordx2 s[14:15], s[12:13], 0x0
	s_load_dword s11, s[4:5], 0xc
	s_mul_i32 s6, s6, s8
	v_add_u32_e32 v2, s6, v8
	s_mul_i32 s1, s9, s8
	v_ashrrev_i32_e32 v3, 31, v2
	s_waitcnt lgkmcnt(0)
	s_sub_i32 s0, s14, s11
	s_sub_i32 s14, s15, s11
	;; [unrolled: 1-line block ×3, first 2 shown]
	s_mul_i32 s12, s15, s9
	v_lshrrev_b32_e32 v1, 6, v0
	s_mul_i32 s7, s0, s1
	v_mul_lo_u32 v0, s12, v8
	s_add_i32 s12, s12, s10
	v_lshlrev_b64 v[2:3], 2, v[2:3]
	s_add_i32 s12, s12, s7
	v_mov_b32_e32 v4, s3
	v_add_co_u32_e32 v2, vcc, s2, v2
	v_add_u32_e32 v0, s12, v0
	v_addc_co_u32_e32 v3, vcc, v4, v3, vcc
	global_store_dword v[2:3], v0, off offset:4
	v_add_u32_e32 v0, s0, v1
	v_cmp_gt_i32_e32 vcc, s14, v0
	s_and_b64 exec, exec, vcc
	s_cbranch_execz .LBB126_6
; %bb.4:
	s_load_dwordx2 s[16:17], s[4:5], 0x20
	s_load_dwordx2 s[2:3], s[4:5], 0x38
	s_load_dword s18, s[4:5], 0x0
	s_load_dwordx2 s[6:7], s[4:5], 0x10
	s_load_dwordx2 s[12:13], s[4:5], 0x48
	v_mad_u64_u32 v[4:5], s[4:5], v6, s8, v[8:9]
	s_waitcnt lgkmcnt(0)
	s_cmp_eq_u32 s18, 0
	v_mad_u64_u32 v[10:11], s[4:5], v8, s9, v[6:7]
	s_cselect_b64 vcc, -1, 0
	s_mul_i32 s0, s8, s0
	v_mul_lo_u32 v3, s15, v8
	v_cndmask_b32_e32 v4, v4, v10, vcc
	v_add3_u32 v1, v1, s0, v3
	v_add_u32_e32 v2, s10, v6
	v_mad_u64_u32 v[4:5], s[4:5], s1, v0, v[4:5]
	s_lshl_b32 s10, s1, 4
	v_mad_u64_u32 v[6:7], s[0:1], s9, v1, v[6:7]
	v_ashrrev_i32_e32 v1, 31, v0
	v_lshlrev_b64 v[8:9], 2, v[0:1]
	v_mov_b32_e32 v1, s17
	v_add_co_u32_e32 v8, vcc, s16, v8
	s_lshl_b32 s8, s9, 4
	v_addc_co_u32_e32 v9, vcc, v1, v9, vcc
	s_mov_b64 s[4:5], 0
	v_mov_b32_e32 v1, s13
	v_mov_b32_e32 v3, s7
	;; [unrolled: 1-line block ×3, first 2 shown]
.LBB126_5:                              ; =>This Inner Loop Header: Depth=1
	v_ashrrev_i32_e32 v5, 31, v4
	global_load_dword v11, v[8:9], off
	v_lshlrev_b64 v[12:13], 3, v[4:5]
	v_add_co_u32_e32 v12, vcc, s6, v12
	v_addc_co_u32_e32 v13, vcc, v3, v13, vcc
	global_load_dwordx2 v[12:13], v[12:13], off
	v_ashrrev_i32_e32 v7, 31, v6
	v_lshlrev_b64 v[14:15], 2, v[6:7]
	v_add_co_u32_e32 v8, vcc, 64, v8
	v_add_co_u32_e64 v14, s[0:1], s12, v14
	v_add_u32_e32 v0, 16, v0
	v_addc_co_u32_e32 v9, vcc, 0, v9, vcc
	v_lshlrev_b64 v[16:17], 3, v[6:7]
	v_addc_co_u32_e64 v15, s[0:1], v1, v15, s[0:1]
	v_cmp_le_i32_e32 vcc, s14, v0
	v_add_co_u32_e64 v16, s[0:1], s2, v16
	v_add_u32_e32 v4, s10, v4
	v_add_u32_e32 v6, s8, v6
	v_addc_co_u32_e64 v17, s[0:1], v10, v17, s[0:1]
	s_or_b64 s[4:5], vcc, s[4:5]
	s_waitcnt vmcnt(1)
	v_subrev_u32_e32 v5, s11, v11
	v_mad_u64_u32 v[18:19], s[0:1], v5, s9, v[2:3]
	global_store_dword v[14:15], v18, off
	s_waitcnt vmcnt(1)
	global_store_dwordx2 v[16:17], v[12:13], off
	s_andn2_b64 exec, exec, s[4:5]
	s_cbranch_execnz .LBB126_5
.LBB126_6:
	s_endpgm
	.section	.rodata,"a",@progbits
	.p2align	6, 0x0
	.amdhsa_kernel _ZN9rocsparseL35gebsr2csr_block_per_row_1_32_kernelILi1024ELi32ELi2E21rocsparse_complex_numIfEEEv20rocsparse_direction_ii21rocsparse_index_base_PKT2_PKiS9_iiS4_PS5_PiSB_
		.amdhsa_group_segment_fixed_size 0
		.amdhsa_private_segment_fixed_size 0
		.amdhsa_kernarg_size 80
		.amdhsa_user_sgpr_count 6
		.amdhsa_user_sgpr_private_segment_buffer 1
		.amdhsa_user_sgpr_dispatch_ptr 0
		.amdhsa_user_sgpr_queue_ptr 0
		.amdhsa_user_sgpr_kernarg_segment_ptr 1
		.amdhsa_user_sgpr_dispatch_id 0
		.amdhsa_user_sgpr_flat_scratch_init 0
		.amdhsa_user_sgpr_kernarg_preload_length 0
		.amdhsa_user_sgpr_kernarg_preload_offset 0
		.amdhsa_user_sgpr_private_segment_size 0
		.amdhsa_uses_dynamic_stack 0
		.amdhsa_system_sgpr_private_segment_wavefront_offset 0
		.amdhsa_system_sgpr_workgroup_id_x 1
		.amdhsa_system_sgpr_workgroup_id_y 0
		.amdhsa_system_sgpr_workgroup_id_z 0
		.amdhsa_system_sgpr_workgroup_info 0
		.amdhsa_system_vgpr_workitem_id 0
		.amdhsa_next_free_vgpr 20
		.amdhsa_next_free_sgpr 19
		.amdhsa_accum_offset 20
		.amdhsa_reserve_vcc 1
		.amdhsa_reserve_flat_scratch 0
		.amdhsa_float_round_mode_32 0
		.amdhsa_float_round_mode_16_64 0
		.amdhsa_float_denorm_mode_32 3
		.amdhsa_float_denorm_mode_16_64 3
		.amdhsa_dx10_clamp 1
		.amdhsa_ieee_mode 1
		.amdhsa_fp16_overflow 0
		.amdhsa_tg_split 0
		.amdhsa_exception_fp_ieee_invalid_op 0
		.amdhsa_exception_fp_denorm_src 0
		.amdhsa_exception_fp_ieee_div_zero 0
		.amdhsa_exception_fp_ieee_overflow 0
		.amdhsa_exception_fp_ieee_underflow 0
		.amdhsa_exception_fp_ieee_inexact 0
		.amdhsa_exception_int_div_zero 0
	.end_amdhsa_kernel
	.section	.text._ZN9rocsparseL35gebsr2csr_block_per_row_1_32_kernelILi1024ELi32ELi2E21rocsparse_complex_numIfEEEv20rocsparse_direction_ii21rocsparse_index_base_PKT2_PKiS9_iiS4_PS5_PiSB_,"axG",@progbits,_ZN9rocsparseL35gebsr2csr_block_per_row_1_32_kernelILi1024ELi32ELi2E21rocsparse_complex_numIfEEEv20rocsparse_direction_ii21rocsparse_index_base_PKT2_PKiS9_iiS4_PS5_PiSB_,comdat
.Lfunc_end126:
	.size	_ZN9rocsparseL35gebsr2csr_block_per_row_1_32_kernelILi1024ELi32ELi2E21rocsparse_complex_numIfEEEv20rocsparse_direction_ii21rocsparse_index_base_PKT2_PKiS9_iiS4_PS5_PiSB_, .Lfunc_end126-_ZN9rocsparseL35gebsr2csr_block_per_row_1_32_kernelILi1024ELi32ELi2E21rocsparse_complex_numIfEEEv20rocsparse_direction_ii21rocsparse_index_base_PKT2_PKiS9_iiS4_PS5_PiSB_
                                        ; -- End function
	.section	.AMDGPU.csdata,"",@progbits
; Kernel info:
; codeLenInByte = 564
; NumSgprs: 23
; NumVgprs: 20
; NumAgprs: 0
; TotalNumVgprs: 20
; ScratchSize: 0
; MemoryBound: 0
; FloatMode: 240
; IeeeMode: 1
; LDSByteSize: 0 bytes/workgroup (compile time only)
; SGPRBlocks: 2
; VGPRBlocks: 2
; NumSGPRsForWavesPerEU: 23
; NumVGPRsForWavesPerEU: 20
; AccumOffset: 20
; Occupancy: 8
; WaveLimiterHint : 0
; COMPUTE_PGM_RSRC2:SCRATCH_EN: 0
; COMPUTE_PGM_RSRC2:USER_SGPR: 6
; COMPUTE_PGM_RSRC2:TRAP_HANDLER: 0
; COMPUTE_PGM_RSRC2:TGID_X_EN: 1
; COMPUTE_PGM_RSRC2:TGID_Y_EN: 0
; COMPUTE_PGM_RSRC2:TGID_Z_EN: 0
; COMPUTE_PGM_RSRC2:TIDIG_COMP_CNT: 0
; COMPUTE_PGM_RSRC3_GFX90A:ACCUM_OFFSET: 4
; COMPUTE_PGM_RSRC3_GFX90A:TG_SPLIT: 0
	.section	.text._ZN9rocsparseL35gebsr2csr_block_per_row_1_32_kernelILi1024ELi32ELi4E21rocsparse_complex_numIfEEEv20rocsparse_direction_ii21rocsparse_index_base_PKT2_PKiS9_iiS4_PS5_PiSB_,"axG",@progbits,_ZN9rocsparseL35gebsr2csr_block_per_row_1_32_kernelILi1024ELi32ELi4E21rocsparse_complex_numIfEEEv20rocsparse_direction_ii21rocsparse_index_base_PKT2_PKiS9_iiS4_PS5_PiSB_,comdat
	.globl	_ZN9rocsparseL35gebsr2csr_block_per_row_1_32_kernelILi1024ELi32ELi4E21rocsparse_complex_numIfEEEv20rocsparse_direction_ii21rocsparse_index_base_PKT2_PKiS9_iiS4_PS5_PiSB_ ; -- Begin function _ZN9rocsparseL35gebsr2csr_block_per_row_1_32_kernelILi1024ELi32ELi4E21rocsparse_complex_numIfEEEv20rocsparse_direction_ii21rocsparse_index_base_PKT2_PKiS9_iiS4_PS5_PiSB_
	.p2align	8
	.type	_ZN9rocsparseL35gebsr2csr_block_per_row_1_32_kernelILi1024ELi32ELi4E21rocsparse_complex_numIfEEEv20rocsparse_direction_ii21rocsparse_index_base_PKT2_PKiS9_iiS4_PS5_PiSB_,@function
_ZN9rocsparseL35gebsr2csr_block_per_row_1_32_kernelILi1024ELi32ELi4E21rocsparse_complex_numIfEEEv20rocsparse_direction_ii21rocsparse_index_base_PKT2_PKiS9_iiS4_PS5_PiSB_: ; @_ZN9rocsparseL35gebsr2csr_block_per_row_1_32_kernelILi1024ELi32ELi4E21rocsparse_complex_numIfEEEv20rocsparse_direction_ii21rocsparse_index_base_PKT2_PKiS9_iiS4_PS5_PiSB_
; %bb.0:
	s_load_dwordx2 s[0:1], s[4:5], 0x18
	s_load_dwordx4 s[8:11], s[4:5], 0x28
	s_load_dwordx2 s[2:3], s[4:5], 0x40
	s_ashr_i32 s7, s6, 31
	s_lshl_b64 s[12:13], s[6:7], 2
	s_waitcnt lgkmcnt(0)
	s_add_u32 s12, s0, s12
	v_or_b32_e32 v1, s6, v0
	s_addc_u32 s13, s1, s13
	v_cmp_eq_u32_e32 vcc, 0, v1
	s_and_saveexec_b64 s[0:1], vcc
	s_cbranch_execz .LBB127_2
; %bb.1:
	v_mov_b32_e32 v1, 0
	v_mov_b32_e32 v2, s10
	global_store_dword v1, v2, s[2:3]
.LBB127_2:
	s_or_b64 exec, exec, s[0:1]
	v_and_b32_e32 v6, 3, v0
	v_bfe_u32 v8, v0, 2, 5
	v_cmp_gt_i32_e32 vcc, s8, v8
	v_cmp_gt_i32_e64 s[0:1], s9, v6
	s_and_b64 s[0:1], vcc, s[0:1]
	s_and_saveexec_b64 s[14:15], s[0:1]
	s_cbranch_execz .LBB127_6
; %bb.3:
	s_load_dwordx2 s[14:15], s[12:13], 0x0
	s_load_dword s11, s[4:5], 0xc
	s_mul_i32 s6, s6, s8
	v_add_u32_e32 v2, s6, v8
	s_mul_i32 s1, s9, s8
	v_ashrrev_i32_e32 v3, 31, v2
	s_waitcnt lgkmcnt(0)
	s_sub_i32 s0, s14, s11
	s_sub_i32 s14, s15, s11
	;; [unrolled: 1-line block ×3, first 2 shown]
	s_mul_i32 s12, s15, s9
	v_lshrrev_b32_e32 v1, 7, v0
	s_mul_i32 s7, s0, s1
	v_mul_lo_u32 v0, s12, v8
	s_add_i32 s12, s12, s10
	v_lshlrev_b64 v[2:3], 2, v[2:3]
	s_add_i32 s12, s12, s7
	v_mov_b32_e32 v4, s3
	v_add_co_u32_e32 v2, vcc, s2, v2
	v_add_u32_e32 v0, s12, v0
	v_addc_co_u32_e32 v3, vcc, v4, v3, vcc
	global_store_dword v[2:3], v0, off offset:4
	v_add_u32_e32 v0, s0, v1
	v_cmp_gt_i32_e32 vcc, s14, v0
	s_and_b64 exec, exec, vcc
	s_cbranch_execz .LBB127_6
; %bb.4:
	s_load_dwordx2 s[16:17], s[4:5], 0x20
	s_load_dwordx2 s[2:3], s[4:5], 0x38
	s_load_dword s18, s[4:5], 0x0
	s_load_dwordx2 s[6:7], s[4:5], 0x10
	s_load_dwordx2 s[12:13], s[4:5], 0x48
	v_mad_u64_u32 v[4:5], s[4:5], v6, s8, v[8:9]
	s_waitcnt lgkmcnt(0)
	s_cmp_eq_u32 s18, 0
	v_mad_u64_u32 v[10:11], s[4:5], v8, s9, v[6:7]
	s_cselect_b64 vcc, -1, 0
	s_mul_i32 s0, s8, s0
	v_mul_lo_u32 v3, s15, v8
	v_cndmask_b32_e32 v4, v4, v10, vcc
	v_add3_u32 v1, v1, s0, v3
	v_add_u32_e32 v2, s10, v6
	v_mad_u64_u32 v[4:5], s[4:5], s1, v0, v[4:5]
	s_lshl_b32 s10, s1, 3
	v_mad_u64_u32 v[6:7], s[0:1], s9, v1, v[6:7]
	v_ashrrev_i32_e32 v1, 31, v0
	v_lshlrev_b64 v[8:9], 2, v[0:1]
	v_mov_b32_e32 v1, s17
	v_add_co_u32_e32 v8, vcc, s16, v8
	s_lshl_b32 s8, s9, 3
	v_addc_co_u32_e32 v9, vcc, v1, v9, vcc
	s_mov_b64 s[4:5], 0
	v_mov_b32_e32 v1, s13
	v_mov_b32_e32 v3, s7
	;; [unrolled: 1-line block ×3, first 2 shown]
.LBB127_5:                              ; =>This Inner Loop Header: Depth=1
	v_ashrrev_i32_e32 v5, 31, v4
	global_load_dword v11, v[8:9], off
	v_lshlrev_b64 v[12:13], 3, v[4:5]
	v_add_co_u32_e32 v12, vcc, s6, v12
	v_addc_co_u32_e32 v13, vcc, v3, v13, vcc
	global_load_dwordx2 v[12:13], v[12:13], off
	v_ashrrev_i32_e32 v7, 31, v6
	v_lshlrev_b64 v[14:15], 2, v[6:7]
	v_add_co_u32_e32 v8, vcc, 32, v8
	v_add_co_u32_e64 v14, s[0:1], s12, v14
	v_add_u32_e32 v0, 8, v0
	v_addc_co_u32_e32 v9, vcc, 0, v9, vcc
	v_lshlrev_b64 v[16:17], 3, v[6:7]
	v_addc_co_u32_e64 v15, s[0:1], v1, v15, s[0:1]
	v_cmp_le_i32_e32 vcc, s14, v0
	v_add_co_u32_e64 v16, s[0:1], s2, v16
	v_add_u32_e32 v4, s10, v4
	v_add_u32_e32 v6, s8, v6
	v_addc_co_u32_e64 v17, s[0:1], v10, v17, s[0:1]
	s_or_b64 s[4:5], vcc, s[4:5]
	s_waitcnt vmcnt(1)
	v_subrev_u32_e32 v5, s11, v11
	v_mad_u64_u32 v[18:19], s[0:1], v5, s9, v[2:3]
	global_store_dword v[14:15], v18, off
	s_waitcnt vmcnt(1)
	global_store_dwordx2 v[16:17], v[12:13], off
	s_andn2_b64 exec, exec, s[4:5]
	s_cbranch_execnz .LBB127_5
.LBB127_6:
	s_endpgm
	.section	.rodata,"a",@progbits
	.p2align	6, 0x0
	.amdhsa_kernel _ZN9rocsparseL35gebsr2csr_block_per_row_1_32_kernelILi1024ELi32ELi4E21rocsparse_complex_numIfEEEv20rocsparse_direction_ii21rocsparse_index_base_PKT2_PKiS9_iiS4_PS5_PiSB_
		.amdhsa_group_segment_fixed_size 0
		.amdhsa_private_segment_fixed_size 0
		.amdhsa_kernarg_size 80
		.amdhsa_user_sgpr_count 6
		.amdhsa_user_sgpr_private_segment_buffer 1
		.amdhsa_user_sgpr_dispatch_ptr 0
		.amdhsa_user_sgpr_queue_ptr 0
		.amdhsa_user_sgpr_kernarg_segment_ptr 1
		.amdhsa_user_sgpr_dispatch_id 0
		.amdhsa_user_sgpr_flat_scratch_init 0
		.amdhsa_user_sgpr_kernarg_preload_length 0
		.amdhsa_user_sgpr_kernarg_preload_offset 0
		.amdhsa_user_sgpr_private_segment_size 0
		.amdhsa_uses_dynamic_stack 0
		.amdhsa_system_sgpr_private_segment_wavefront_offset 0
		.amdhsa_system_sgpr_workgroup_id_x 1
		.amdhsa_system_sgpr_workgroup_id_y 0
		.amdhsa_system_sgpr_workgroup_id_z 0
		.amdhsa_system_sgpr_workgroup_info 0
		.amdhsa_system_vgpr_workitem_id 0
		.amdhsa_next_free_vgpr 20
		.amdhsa_next_free_sgpr 19
		.amdhsa_accum_offset 20
		.amdhsa_reserve_vcc 1
		.amdhsa_reserve_flat_scratch 0
		.amdhsa_float_round_mode_32 0
		.amdhsa_float_round_mode_16_64 0
		.amdhsa_float_denorm_mode_32 3
		.amdhsa_float_denorm_mode_16_64 3
		.amdhsa_dx10_clamp 1
		.amdhsa_ieee_mode 1
		.amdhsa_fp16_overflow 0
		.amdhsa_tg_split 0
		.amdhsa_exception_fp_ieee_invalid_op 0
		.amdhsa_exception_fp_denorm_src 0
		.amdhsa_exception_fp_ieee_div_zero 0
		.amdhsa_exception_fp_ieee_overflow 0
		.amdhsa_exception_fp_ieee_underflow 0
		.amdhsa_exception_fp_ieee_inexact 0
		.amdhsa_exception_int_div_zero 0
	.end_amdhsa_kernel
	.section	.text._ZN9rocsparseL35gebsr2csr_block_per_row_1_32_kernelILi1024ELi32ELi4E21rocsparse_complex_numIfEEEv20rocsparse_direction_ii21rocsparse_index_base_PKT2_PKiS9_iiS4_PS5_PiSB_,"axG",@progbits,_ZN9rocsparseL35gebsr2csr_block_per_row_1_32_kernelILi1024ELi32ELi4E21rocsparse_complex_numIfEEEv20rocsparse_direction_ii21rocsparse_index_base_PKT2_PKiS9_iiS4_PS5_PiSB_,comdat
.Lfunc_end127:
	.size	_ZN9rocsparseL35gebsr2csr_block_per_row_1_32_kernelILi1024ELi32ELi4E21rocsparse_complex_numIfEEEv20rocsparse_direction_ii21rocsparse_index_base_PKT2_PKiS9_iiS4_PS5_PiSB_, .Lfunc_end127-_ZN9rocsparseL35gebsr2csr_block_per_row_1_32_kernelILi1024ELi32ELi4E21rocsparse_complex_numIfEEEv20rocsparse_direction_ii21rocsparse_index_base_PKT2_PKiS9_iiS4_PS5_PiSB_
                                        ; -- End function
	.section	.AMDGPU.csdata,"",@progbits
; Kernel info:
; codeLenInByte = 564
; NumSgprs: 23
; NumVgprs: 20
; NumAgprs: 0
; TotalNumVgprs: 20
; ScratchSize: 0
; MemoryBound: 0
; FloatMode: 240
; IeeeMode: 1
; LDSByteSize: 0 bytes/workgroup (compile time only)
; SGPRBlocks: 2
; VGPRBlocks: 2
; NumSGPRsForWavesPerEU: 23
; NumVGPRsForWavesPerEU: 20
; AccumOffset: 20
; Occupancy: 8
; WaveLimiterHint : 0
; COMPUTE_PGM_RSRC2:SCRATCH_EN: 0
; COMPUTE_PGM_RSRC2:USER_SGPR: 6
; COMPUTE_PGM_RSRC2:TRAP_HANDLER: 0
; COMPUTE_PGM_RSRC2:TGID_X_EN: 1
; COMPUTE_PGM_RSRC2:TGID_Y_EN: 0
; COMPUTE_PGM_RSRC2:TGID_Z_EN: 0
; COMPUTE_PGM_RSRC2:TIDIG_COMP_CNT: 0
; COMPUTE_PGM_RSRC3_GFX90A:ACCUM_OFFSET: 4
; COMPUTE_PGM_RSRC3_GFX90A:TG_SPLIT: 0
	.section	.text._ZN9rocsparseL35gebsr2csr_block_per_row_1_32_kernelILi1024ELi32ELi8E21rocsparse_complex_numIfEEEv20rocsparse_direction_ii21rocsparse_index_base_PKT2_PKiS9_iiS4_PS5_PiSB_,"axG",@progbits,_ZN9rocsparseL35gebsr2csr_block_per_row_1_32_kernelILi1024ELi32ELi8E21rocsparse_complex_numIfEEEv20rocsparse_direction_ii21rocsparse_index_base_PKT2_PKiS9_iiS4_PS5_PiSB_,comdat
	.globl	_ZN9rocsparseL35gebsr2csr_block_per_row_1_32_kernelILi1024ELi32ELi8E21rocsparse_complex_numIfEEEv20rocsparse_direction_ii21rocsparse_index_base_PKT2_PKiS9_iiS4_PS5_PiSB_ ; -- Begin function _ZN9rocsparseL35gebsr2csr_block_per_row_1_32_kernelILi1024ELi32ELi8E21rocsparse_complex_numIfEEEv20rocsparse_direction_ii21rocsparse_index_base_PKT2_PKiS9_iiS4_PS5_PiSB_
	.p2align	8
	.type	_ZN9rocsparseL35gebsr2csr_block_per_row_1_32_kernelILi1024ELi32ELi8E21rocsparse_complex_numIfEEEv20rocsparse_direction_ii21rocsparse_index_base_PKT2_PKiS9_iiS4_PS5_PiSB_,@function
_ZN9rocsparseL35gebsr2csr_block_per_row_1_32_kernelILi1024ELi32ELi8E21rocsparse_complex_numIfEEEv20rocsparse_direction_ii21rocsparse_index_base_PKT2_PKiS9_iiS4_PS5_PiSB_: ; @_ZN9rocsparseL35gebsr2csr_block_per_row_1_32_kernelILi1024ELi32ELi8E21rocsparse_complex_numIfEEEv20rocsparse_direction_ii21rocsparse_index_base_PKT2_PKiS9_iiS4_PS5_PiSB_
; %bb.0:
	s_load_dwordx2 s[0:1], s[4:5], 0x18
	s_load_dwordx4 s[8:11], s[4:5], 0x28
	s_load_dwordx2 s[2:3], s[4:5], 0x40
	s_ashr_i32 s7, s6, 31
	s_lshl_b64 s[12:13], s[6:7], 2
	s_waitcnt lgkmcnt(0)
	s_add_u32 s12, s0, s12
	v_or_b32_e32 v1, s6, v0
	s_addc_u32 s13, s1, s13
	v_cmp_eq_u32_e32 vcc, 0, v1
	s_and_saveexec_b64 s[0:1], vcc
	s_cbranch_execz .LBB128_2
; %bb.1:
	v_mov_b32_e32 v1, 0
	v_mov_b32_e32 v2, s10
	global_store_dword v1, v2, s[2:3]
.LBB128_2:
	s_or_b64 exec, exec, s[0:1]
	v_and_b32_e32 v6, 7, v0
	v_bfe_u32 v8, v0, 3, 5
	v_cmp_gt_i32_e32 vcc, s8, v8
	v_cmp_gt_i32_e64 s[0:1], s9, v6
	s_and_b64 s[0:1], vcc, s[0:1]
	s_and_saveexec_b64 s[14:15], s[0:1]
	s_cbranch_execz .LBB128_6
; %bb.3:
	s_load_dwordx2 s[14:15], s[12:13], 0x0
	s_load_dword s11, s[4:5], 0xc
	s_mul_i32 s6, s6, s8
	v_add_u32_e32 v2, s6, v8
	s_mul_i32 s1, s9, s8
	v_ashrrev_i32_e32 v3, 31, v2
	s_waitcnt lgkmcnt(0)
	s_sub_i32 s0, s14, s11
	s_sub_i32 s14, s15, s11
	;; [unrolled: 1-line block ×3, first 2 shown]
	s_mul_i32 s12, s15, s9
	v_lshrrev_b32_e32 v1, 8, v0
	s_mul_i32 s7, s0, s1
	v_mul_lo_u32 v0, s12, v8
	s_add_i32 s12, s12, s10
	v_lshlrev_b64 v[2:3], 2, v[2:3]
	s_add_i32 s12, s12, s7
	v_mov_b32_e32 v4, s3
	v_add_co_u32_e32 v2, vcc, s2, v2
	v_add_u32_e32 v0, s12, v0
	v_addc_co_u32_e32 v3, vcc, v4, v3, vcc
	global_store_dword v[2:3], v0, off offset:4
	v_add_u32_e32 v0, s0, v1
	v_cmp_gt_i32_e32 vcc, s14, v0
	s_and_b64 exec, exec, vcc
	s_cbranch_execz .LBB128_6
; %bb.4:
	s_load_dwordx2 s[16:17], s[4:5], 0x20
	s_load_dwordx2 s[2:3], s[4:5], 0x38
	s_load_dword s18, s[4:5], 0x0
	s_load_dwordx2 s[6:7], s[4:5], 0x10
	s_load_dwordx2 s[12:13], s[4:5], 0x48
	v_mad_u64_u32 v[4:5], s[4:5], v6, s8, v[8:9]
	s_waitcnt lgkmcnt(0)
	s_cmp_eq_u32 s18, 0
	v_mad_u64_u32 v[10:11], s[4:5], v8, s9, v[6:7]
	s_cselect_b64 vcc, -1, 0
	s_mul_i32 s0, s8, s0
	v_mul_lo_u32 v3, s15, v8
	v_cndmask_b32_e32 v4, v4, v10, vcc
	v_add3_u32 v1, v1, s0, v3
	v_add_u32_e32 v2, s10, v6
	v_mad_u64_u32 v[4:5], s[4:5], s1, v0, v[4:5]
	s_lshl_b32 s10, s1, 2
	v_mad_u64_u32 v[6:7], s[0:1], s9, v1, v[6:7]
	v_ashrrev_i32_e32 v1, 31, v0
	v_lshlrev_b64 v[8:9], 2, v[0:1]
	v_mov_b32_e32 v1, s17
	v_add_co_u32_e32 v8, vcc, s16, v8
	s_lshl_b32 s8, s9, 2
	v_addc_co_u32_e32 v9, vcc, v1, v9, vcc
	s_mov_b64 s[4:5], 0
	v_mov_b32_e32 v1, s13
	v_mov_b32_e32 v3, s7
	;; [unrolled: 1-line block ×3, first 2 shown]
.LBB128_5:                              ; =>This Inner Loop Header: Depth=1
	v_ashrrev_i32_e32 v5, 31, v4
	global_load_dword v11, v[8:9], off
	v_lshlrev_b64 v[12:13], 3, v[4:5]
	v_add_co_u32_e32 v12, vcc, s6, v12
	v_addc_co_u32_e32 v13, vcc, v3, v13, vcc
	global_load_dwordx2 v[12:13], v[12:13], off
	v_ashrrev_i32_e32 v7, 31, v6
	v_lshlrev_b64 v[14:15], 2, v[6:7]
	v_add_co_u32_e32 v8, vcc, 16, v8
	v_add_co_u32_e64 v14, s[0:1], s12, v14
	v_add_u32_e32 v0, 4, v0
	v_addc_co_u32_e32 v9, vcc, 0, v9, vcc
	v_lshlrev_b64 v[16:17], 3, v[6:7]
	v_addc_co_u32_e64 v15, s[0:1], v1, v15, s[0:1]
	v_cmp_le_i32_e32 vcc, s14, v0
	v_add_co_u32_e64 v16, s[0:1], s2, v16
	v_add_u32_e32 v4, s10, v4
	v_add_u32_e32 v6, s8, v6
	v_addc_co_u32_e64 v17, s[0:1], v10, v17, s[0:1]
	s_or_b64 s[4:5], vcc, s[4:5]
	s_waitcnt vmcnt(1)
	v_subrev_u32_e32 v5, s11, v11
	v_mad_u64_u32 v[18:19], s[0:1], v5, s9, v[2:3]
	global_store_dword v[14:15], v18, off
	s_waitcnt vmcnt(1)
	global_store_dwordx2 v[16:17], v[12:13], off
	s_andn2_b64 exec, exec, s[4:5]
	s_cbranch_execnz .LBB128_5
.LBB128_6:
	s_endpgm
	.section	.rodata,"a",@progbits
	.p2align	6, 0x0
	.amdhsa_kernel _ZN9rocsparseL35gebsr2csr_block_per_row_1_32_kernelILi1024ELi32ELi8E21rocsparse_complex_numIfEEEv20rocsparse_direction_ii21rocsparse_index_base_PKT2_PKiS9_iiS4_PS5_PiSB_
		.amdhsa_group_segment_fixed_size 0
		.amdhsa_private_segment_fixed_size 0
		.amdhsa_kernarg_size 80
		.amdhsa_user_sgpr_count 6
		.amdhsa_user_sgpr_private_segment_buffer 1
		.amdhsa_user_sgpr_dispatch_ptr 0
		.amdhsa_user_sgpr_queue_ptr 0
		.amdhsa_user_sgpr_kernarg_segment_ptr 1
		.amdhsa_user_sgpr_dispatch_id 0
		.amdhsa_user_sgpr_flat_scratch_init 0
		.amdhsa_user_sgpr_kernarg_preload_length 0
		.amdhsa_user_sgpr_kernarg_preload_offset 0
		.amdhsa_user_sgpr_private_segment_size 0
		.amdhsa_uses_dynamic_stack 0
		.amdhsa_system_sgpr_private_segment_wavefront_offset 0
		.amdhsa_system_sgpr_workgroup_id_x 1
		.amdhsa_system_sgpr_workgroup_id_y 0
		.amdhsa_system_sgpr_workgroup_id_z 0
		.amdhsa_system_sgpr_workgroup_info 0
		.amdhsa_system_vgpr_workitem_id 0
		.amdhsa_next_free_vgpr 20
		.amdhsa_next_free_sgpr 19
		.amdhsa_accum_offset 20
		.amdhsa_reserve_vcc 1
		.amdhsa_reserve_flat_scratch 0
		.amdhsa_float_round_mode_32 0
		.amdhsa_float_round_mode_16_64 0
		.amdhsa_float_denorm_mode_32 3
		.amdhsa_float_denorm_mode_16_64 3
		.amdhsa_dx10_clamp 1
		.amdhsa_ieee_mode 1
		.amdhsa_fp16_overflow 0
		.amdhsa_tg_split 0
		.amdhsa_exception_fp_ieee_invalid_op 0
		.amdhsa_exception_fp_denorm_src 0
		.amdhsa_exception_fp_ieee_div_zero 0
		.amdhsa_exception_fp_ieee_overflow 0
		.amdhsa_exception_fp_ieee_underflow 0
		.amdhsa_exception_fp_ieee_inexact 0
		.amdhsa_exception_int_div_zero 0
	.end_amdhsa_kernel
	.section	.text._ZN9rocsparseL35gebsr2csr_block_per_row_1_32_kernelILi1024ELi32ELi8E21rocsparse_complex_numIfEEEv20rocsparse_direction_ii21rocsparse_index_base_PKT2_PKiS9_iiS4_PS5_PiSB_,"axG",@progbits,_ZN9rocsparseL35gebsr2csr_block_per_row_1_32_kernelILi1024ELi32ELi8E21rocsparse_complex_numIfEEEv20rocsparse_direction_ii21rocsparse_index_base_PKT2_PKiS9_iiS4_PS5_PiSB_,comdat
.Lfunc_end128:
	.size	_ZN9rocsparseL35gebsr2csr_block_per_row_1_32_kernelILi1024ELi32ELi8E21rocsparse_complex_numIfEEEv20rocsparse_direction_ii21rocsparse_index_base_PKT2_PKiS9_iiS4_PS5_PiSB_, .Lfunc_end128-_ZN9rocsparseL35gebsr2csr_block_per_row_1_32_kernelILi1024ELi32ELi8E21rocsparse_complex_numIfEEEv20rocsparse_direction_ii21rocsparse_index_base_PKT2_PKiS9_iiS4_PS5_PiSB_
                                        ; -- End function
	.section	.AMDGPU.csdata,"",@progbits
; Kernel info:
; codeLenInByte = 564
; NumSgprs: 23
; NumVgprs: 20
; NumAgprs: 0
; TotalNumVgprs: 20
; ScratchSize: 0
; MemoryBound: 0
; FloatMode: 240
; IeeeMode: 1
; LDSByteSize: 0 bytes/workgroup (compile time only)
; SGPRBlocks: 2
; VGPRBlocks: 2
; NumSGPRsForWavesPerEU: 23
; NumVGPRsForWavesPerEU: 20
; AccumOffset: 20
; Occupancy: 8
; WaveLimiterHint : 0
; COMPUTE_PGM_RSRC2:SCRATCH_EN: 0
; COMPUTE_PGM_RSRC2:USER_SGPR: 6
; COMPUTE_PGM_RSRC2:TRAP_HANDLER: 0
; COMPUTE_PGM_RSRC2:TGID_X_EN: 1
; COMPUTE_PGM_RSRC2:TGID_Y_EN: 0
; COMPUTE_PGM_RSRC2:TGID_Z_EN: 0
; COMPUTE_PGM_RSRC2:TIDIG_COMP_CNT: 0
; COMPUTE_PGM_RSRC3_GFX90A:ACCUM_OFFSET: 4
; COMPUTE_PGM_RSRC3_GFX90A:TG_SPLIT: 0
	.section	.text._ZN9rocsparseL35gebsr2csr_block_per_row_1_32_kernelILi1024ELi32ELi16E21rocsparse_complex_numIfEEEv20rocsparse_direction_ii21rocsparse_index_base_PKT2_PKiS9_iiS4_PS5_PiSB_,"axG",@progbits,_ZN9rocsparseL35gebsr2csr_block_per_row_1_32_kernelILi1024ELi32ELi16E21rocsparse_complex_numIfEEEv20rocsparse_direction_ii21rocsparse_index_base_PKT2_PKiS9_iiS4_PS5_PiSB_,comdat
	.globl	_ZN9rocsparseL35gebsr2csr_block_per_row_1_32_kernelILi1024ELi32ELi16E21rocsparse_complex_numIfEEEv20rocsparse_direction_ii21rocsparse_index_base_PKT2_PKiS9_iiS4_PS5_PiSB_ ; -- Begin function _ZN9rocsparseL35gebsr2csr_block_per_row_1_32_kernelILi1024ELi32ELi16E21rocsparse_complex_numIfEEEv20rocsparse_direction_ii21rocsparse_index_base_PKT2_PKiS9_iiS4_PS5_PiSB_
	.p2align	8
	.type	_ZN9rocsparseL35gebsr2csr_block_per_row_1_32_kernelILi1024ELi32ELi16E21rocsparse_complex_numIfEEEv20rocsparse_direction_ii21rocsparse_index_base_PKT2_PKiS9_iiS4_PS5_PiSB_,@function
_ZN9rocsparseL35gebsr2csr_block_per_row_1_32_kernelILi1024ELi32ELi16E21rocsparse_complex_numIfEEEv20rocsparse_direction_ii21rocsparse_index_base_PKT2_PKiS9_iiS4_PS5_PiSB_: ; @_ZN9rocsparseL35gebsr2csr_block_per_row_1_32_kernelILi1024ELi32ELi16E21rocsparse_complex_numIfEEEv20rocsparse_direction_ii21rocsparse_index_base_PKT2_PKiS9_iiS4_PS5_PiSB_
; %bb.0:
	s_load_dwordx2 s[0:1], s[4:5], 0x18
	s_load_dwordx4 s[8:11], s[4:5], 0x28
	s_load_dwordx2 s[2:3], s[4:5], 0x40
	s_ashr_i32 s7, s6, 31
	s_lshl_b64 s[12:13], s[6:7], 2
	s_waitcnt lgkmcnt(0)
	s_add_u32 s12, s0, s12
	v_or_b32_e32 v1, s6, v0
	s_addc_u32 s13, s1, s13
	v_cmp_eq_u32_e32 vcc, 0, v1
	s_and_saveexec_b64 s[0:1], vcc
	s_cbranch_execz .LBB129_2
; %bb.1:
	v_mov_b32_e32 v1, 0
	v_mov_b32_e32 v2, s10
	global_store_dword v1, v2, s[2:3]
.LBB129_2:
	s_or_b64 exec, exec, s[0:1]
	v_and_b32_e32 v6, 15, v0
	v_bfe_u32 v8, v0, 4, 5
	v_cmp_gt_i32_e32 vcc, s8, v8
	v_cmp_gt_i32_e64 s[0:1], s9, v6
	s_and_b64 s[0:1], vcc, s[0:1]
	s_and_saveexec_b64 s[14:15], s[0:1]
	s_cbranch_execz .LBB129_6
; %bb.3:
	s_load_dwordx2 s[14:15], s[12:13], 0x0
	s_load_dword s11, s[4:5], 0xc
	s_mul_i32 s6, s6, s8
	v_add_u32_e32 v2, s6, v8
	s_mul_i32 s1, s9, s8
	v_ashrrev_i32_e32 v3, 31, v2
	s_waitcnt lgkmcnt(0)
	s_sub_i32 s0, s14, s11
	s_sub_i32 s14, s15, s11
	;; [unrolled: 1-line block ×3, first 2 shown]
	s_mul_i32 s12, s15, s9
	v_lshrrev_b32_e32 v1, 9, v0
	s_mul_i32 s7, s0, s1
	v_mul_lo_u32 v0, s12, v8
	s_add_i32 s12, s12, s10
	v_lshlrev_b64 v[2:3], 2, v[2:3]
	s_add_i32 s12, s12, s7
	v_mov_b32_e32 v4, s3
	v_add_co_u32_e32 v2, vcc, s2, v2
	v_add_u32_e32 v0, s12, v0
	v_addc_co_u32_e32 v3, vcc, v4, v3, vcc
	global_store_dword v[2:3], v0, off offset:4
	v_add_u32_e32 v0, s0, v1
	v_cmp_gt_i32_e32 vcc, s14, v0
	s_and_b64 exec, exec, vcc
	s_cbranch_execz .LBB129_6
; %bb.4:
	s_load_dwordx2 s[16:17], s[4:5], 0x20
	s_load_dwordx2 s[2:3], s[4:5], 0x38
	s_load_dword s18, s[4:5], 0x0
	s_load_dwordx2 s[6:7], s[4:5], 0x10
	s_load_dwordx2 s[12:13], s[4:5], 0x48
	v_mad_u64_u32 v[4:5], s[4:5], v6, s8, v[8:9]
	s_waitcnt lgkmcnt(0)
	s_cmp_eq_u32 s18, 0
	v_mad_u64_u32 v[10:11], s[4:5], v8, s9, v[6:7]
	s_cselect_b64 vcc, -1, 0
	s_mul_i32 s0, s8, s0
	v_mul_lo_u32 v3, s15, v8
	v_cndmask_b32_e32 v4, v4, v10, vcc
	v_add3_u32 v1, v1, s0, v3
	v_add_u32_e32 v2, s10, v6
	v_mad_u64_u32 v[4:5], s[4:5], s1, v0, v[4:5]
	s_lshl_b32 s10, s1, 1
	v_mad_u64_u32 v[6:7], s[0:1], s9, v1, v[6:7]
	v_ashrrev_i32_e32 v1, 31, v0
	v_lshlrev_b64 v[8:9], 2, v[0:1]
	v_mov_b32_e32 v1, s17
	v_add_co_u32_e32 v8, vcc, s16, v8
	s_lshl_b32 s8, s9, 1
	v_addc_co_u32_e32 v9, vcc, v1, v9, vcc
	s_mov_b64 s[4:5], 0
	v_mov_b32_e32 v1, s13
	v_mov_b32_e32 v3, s7
	v_mov_b32_e32 v10, s3
.LBB129_5:                              ; =>This Inner Loop Header: Depth=1
	v_ashrrev_i32_e32 v5, 31, v4
	global_load_dword v11, v[8:9], off
	v_lshlrev_b64 v[12:13], 3, v[4:5]
	v_add_co_u32_e32 v12, vcc, s6, v12
	v_addc_co_u32_e32 v13, vcc, v3, v13, vcc
	global_load_dwordx2 v[12:13], v[12:13], off
	v_ashrrev_i32_e32 v7, 31, v6
	v_lshlrev_b64 v[14:15], 2, v[6:7]
	v_add_co_u32_e32 v8, vcc, 8, v8
	v_add_co_u32_e64 v14, s[0:1], s12, v14
	v_add_u32_e32 v0, 2, v0
	v_addc_co_u32_e32 v9, vcc, 0, v9, vcc
	v_lshlrev_b64 v[16:17], 3, v[6:7]
	v_addc_co_u32_e64 v15, s[0:1], v1, v15, s[0:1]
	v_cmp_le_i32_e32 vcc, s14, v0
	v_add_co_u32_e64 v16, s[0:1], s2, v16
	v_add_u32_e32 v4, s10, v4
	v_add_u32_e32 v6, s8, v6
	v_addc_co_u32_e64 v17, s[0:1], v10, v17, s[0:1]
	s_or_b64 s[4:5], vcc, s[4:5]
	s_waitcnt vmcnt(1)
	v_subrev_u32_e32 v5, s11, v11
	v_mad_u64_u32 v[18:19], s[0:1], v5, s9, v[2:3]
	global_store_dword v[14:15], v18, off
	s_waitcnt vmcnt(1)
	global_store_dwordx2 v[16:17], v[12:13], off
	s_andn2_b64 exec, exec, s[4:5]
	s_cbranch_execnz .LBB129_5
.LBB129_6:
	s_endpgm
	.section	.rodata,"a",@progbits
	.p2align	6, 0x0
	.amdhsa_kernel _ZN9rocsparseL35gebsr2csr_block_per_row_1_32_kernelILi1024ELi32ELi16E21rocsparse_complex_numIfEEEv20rocsparse_direction_ii21rocsparse_index_base_PKT2_PKiS9_iiS4_PS5_PiSB_
		.amdhsa_group_segment_fixed_size 0
		.amdhsa_private_segment_fixed_size 0
		.amdhsa_kernarg_size 80
		.amdhsa_user_sgpr_count 6
		.amdhsa_user_sgpr_private_segment_buffer 1
		.amdhsa_user_sgpr_dispatch_ptr 0
		.amdhsa_user_sgpr_queue_ptr 0
		.amdhsa_user_sgpr_kernarg_segment_ptr 1
		.amdhsa_user_sgpr_dispatch_id 0
		.amdhsa_user_sgpr_flat_scratch_init 0
		.amdhsa_user_sgpr_kernarg_preload_length 0
		.amdhsa_user_sgpr_kernarg_preload_offset 0
		.amdhsa_user_sgpr_private_segment_size 0
		.amdhsa_uses_dynamic_stack 0
		.amdhsa_system_sgpr_private_segment_wavefront_offset 0
		.amdhsa_system_sgpr_workgroup_id_x 1
		.amdhsa_system_sgpr_workgroup_id_y 0
		.amdhsa_system_sgpr_workgroup_id_z 0
		.amdhsa_system_sgpr_workgroup_info 0
		.amdhsa_system_vgpr_workitem_id 0
		.amdhsa_next_free_vgpr 20
		.amdhsa_next_free_sgpr 19
		.amdhsa_accum_offset 20
		.amdhsa_reserve_vcc 1
		.amdhsa_reserve_flat_scratch 0
		.amdhsa_float_round_mode_32 0
		.amdhsa_float_round_mode_16_64 0
		.amdhsa_float_denorm_mode_32 3
		.amdhsa_float_denorm_mode_16_64 3
		.amdhsa_dx10_clamp 1
		.amdhsa_ieee_mode 1
		.amdhsa_fp16_overflow 0
		.amdhsa_tg_split 0
		.amdhsa_exception_fp_ieee_invalid_op 0
		.amdhsa_exception_fp_denorm_src 0
		.amdhsa_exception_fp_ieee_div_zero 0
		.amdhsa_exception_fp_ieee_overflow 0
		.amdhsa_exception_fp_ieee_underflow 0
		.amdhsa_exception_fp_ieee_inexact 0
		.amdhsa_exception_int_div_zero 0
	.end_amdhsa_kernel
	.section	.text._ZN9rocsparseL35gebsr2csr_block_per_row_1_32_kernelILi1024ELi32ELi16E21rocsparse_complex_numIfEEEv20rocsparse_direction_ii21rocsparse_index_base_PKT2_PKiS9_iiS4_PS5_PiSB_,"axG",@progbits,_ZN9rocsparseL35gebsr2csr_block_per_row_1_32_kernelILi1024ELi32ELi16E21rocsparse_complex_numIfEEEv20rocsparse_direction_ii21rocsparse_index_base_PKT2_PKiS9_iiS4_PS5_PiSB_,comdat
.Lfunc_end129:
	.size	_ZN9rocsparseL35gebsr2csr_block_per_row_1_32_kernelILi1024ELi32ELi16E21rocsparse_complex_numIfEEEv20rocsparse_direction_ii21rocsparse_index_base_PKT2_PKiS9_iiS4_PS5_PiSB_, .Lfunc_end129-_ZN9rocsparseL35gebsr2csr_block_per_row_1_32_kernelILi1024ELi32ELi16E21rocsparse_complex_numIfEEEv20rocsparse_direction_ii21rocsparse_index_base_PKT2_PKiS9_iiS4_PS5_PiSB_
                                        ; -- End function
	.section	.AMDGPU.csdata,"",@progbits
; Kernel info:
; codeLenInByte = 564
; NumSgprs: 23
; NumVgprs: 20
; NumAgprs: 0
; TotalNumVgprs: 20
; ScratchSize: 0
; MemoryBound: 0
; FloatMode: 240
; IeeeMode: 1
; LDSByteSize: 0 bytes/workgroup (compile time only)
; SGPRBlocks: 2
; VGPRBlocks: 2
; NumSGPRsForWavesPerEU: 23
; NumVGPRsForWavesPerEU: 20
; AccumOffset: 20
; Occupancy: 8
; WaveLimiterHint : 0
; COMPUTE_PGM_RSRC2:SCRATCH_EN: 0
; COMPUTE_PGM_RSRC2:USER_SGPR: 6
; COMPUTE_PGM_RSRC2:TRAP_HANDLER: 0
; COMPUTE_PGM_RSRC2:TGID_X_EN: 1
; COMPUTE_PGM_RSRC2:TGID_Y_EN: 0
; COMPUTE_PGM_RSRC2:TGID_Z_EN: 0
; COMPUTE_PGM_RSRC2:TIDIG_COMP_CNT: 0
; COMPUTE_PGM_RSRC3_GFX90A:ACCUM_OFFSET: 4
; COMPUTE_PGM_RSRC3_GFX90A:TG_SPLIT: 0
	.section	.text._ZN9rocsparseL35gebsr2csr_block_per_row_1_32_kernelILi1024ELi32ELi32E21rocsparse_complex_numIfEEEv20rocsparse_direction_ii21rocsparse_index_base_PKT2_PKiS9_iiS4_PS5_PiSB_,"axG",@progbits,_ZN9rocsparseL35gebsr2csr_block_per_row_1_32_kernelILi1024ELi32ELi32E21rocsparse_complex_numIfEEEv20rocsparse_direction_ii21rocsparse_index_base_PKT2_PKiS9_iiS4_PS5_PiSB_,comdat
	.globl	_ZN9rocsparseL35gebsr2csr_block_per_row_1_32_kernelILi1024ELi32ELi32E21rocsparse_complex_numIfEEEv20rocsparse_direction_ii21rocsparse_index_base_PKT2_PKiS9_iiS4_PS5_PiSB_ ; -- Begin function _ZN9rocsparseL35gebsr2csr_block_per_row_1_32_kernelILi1024ELi32ELi32E21rocsparse_complex_numIfEEEv20rocsparse_direction_ii21rocsparse_index_base_PKT2_PKiS9_iiS4_PS5_PiSB_
	.p2align	8
	.type	_ZN9rocsparseL35gebsr2csr_block_per_row_1_32_kernelILi1024ELi32ELi32E21rocsparse_complex_numIfEEEv20rocsparse_direction_ii21rocsparse_index_base_PKT2_PKiS9_iiS4_PS5_PiSB_,@function
_ZN9rocsparseL35gebsr2csr_block_per_row_1_32_kernelILi1024ELi32ELi32E21rocsparse_complex_numIfEEEv20rocsparse_direction_ii21rocsparse_index_base_PKT2_PKiS9_iiS4_PS5_PiSB_: ; @_ZN9rocsparseL35gebsr2csr_block_per_row_1_32_kernelILi1024ELi32ELi32E21rocsparse_complex_numIfEEEv20rocsparse_direction_ii21rocsparse_index_base_PKT2_PKiS9_iiS4_PS5_PiSB_
; %bb.0:
	s_load_dwordx2 s[0:1], s[4:5], 0x18
	s_load_dwordx4 s[8:11], s[4:5], 0x28
	s_load_dwordx2 s[2:3], s[4:5], 0x40
	s_ashr_i32 s7, s6, 31
	s_lshl_b64 s[12:13], s[6:7], 2
	s_waitcnt lgkmcnt(0)
	s_add_u32 s12, s0, s12
	v_or_b32_e32 v1, s6, v0
	s_addc_u32 s13, s1, s13
	v_cmp_eq_u32_e32 vcc, 0, v1
	s_and_saveexec_b64 s[0:1], vcc
	s_cbranch_execz .LBB130_2
; %bb.1:
	v_mov_b32_e32 v1, 0
	v_mov_b32_e32 v2, s10
	global_store_dword v1, v2, s[2:3]
.LBB130_2:
	s_or_b64 exec, exec, s[0:1]
	v_and_b32_e32 v2, 31, v0
	v_lshrrev_b32_e32 v4, 5, v0
	v_cmp_gt_i32_e32 vcc, s8, v4
	v_cmp_gt_i32_e64 s[0:1], s9, v2
	s_and_b64 s[0:1], vcc, s[0:1]
	s_and_saveexec_b64 s[14:15], s[0:1]
	s_cbranch_execz .LBB130_6
; %bb.3:
	s_load_dwordx2 s[18:19], s[12:13], 0x0
	s_load_dword s11, s[4:5], 0xc
	s_mul_i32 s14, s9, s8
	s_mul_i32 s6, s6, s8
	v_mov_b32_e32 v5, s3
	s_waitcnt lgkmcnt(0)
	s_sub_i32 s0, s18, s11
	s_sub_i32 s15, s19, s11
	;; [unrolled: 1-line block ×3, first 2 shown]
	s_mul_i32 s7, s1, s9
	s_mul_i32 s16, s0, s14
	v_mul_lo_u32 v0, s7, v4
	s_add_i32 s7, s7, s10
	s_add_i32 s7, s7, s16
	v_add_u32_e32 v3, s7, v0
	v_add_u32_e32 v0, s6, v4
	v_ashrrev_i32_e32 v1, 31, v0
	v_lshlrev_b64 v[0:1], 2, v[0:1]
	v_add_co_u32_e32 v0, vcc, s2, v0
	v_addc_co_u32_e32 v1, vcc, v5, v1, vcc
	s_cmp_ge_i32 s18, s19
	global_store_dword v[0:1], v3, off offset:4
	s_cbranch_scc1 .LBB130_6
; %bb.4:
	s_load_dwordx2 s[18:19], s[4:5], 0x20
	s_load_dwordx2 s[2:3], s[4:5], 0x38
	s_load_dword s17, s[4:5], 0x0
	s_load_dwordx2 s[6:7], s[4:5], 0x10
	s_load_dwordx2 s[12:13], s[4:5], 0x48
	v_add_u32_e32 v5, s10, v2
	v_mad_u64_u32 v[0:1], s[4:5], v2, s8, v[4:5]
	v_mad_u64_u32 v[6:7], s[4:5], v4, s9, v[2:3]
	s_mul_i32 s4, s8, s0
	v_mul_lo_u32 v1, v4, s1
	s_waitcnt lgkmcnt(0)
	s_cmp_eq_u32 s17, 0
	v_add_u32_e32 v1, s4, v1
	s_cselect_b64 vcc, -1, 0
	v_mad_u64_u32 v[2:3], s[4:5], s9, v1, v[2:3]
	s_ashr_i32 s1, s0, 31
	s_lshl_b64 s[4:5], s[0:1], 2
	v_cndmask_b32_e32 v0, v0, v6, vcc
	s_add_u32 s4, s18, s4
	v_add_u32_e32 v0, s16, v0
	s_addc_u32 s5, s19, s5
	v_mov_b32_e32 v4, s13
	v_mov_b32_e32 v6, s7
	;; [unrolled: 1-line block ×3, first 2 shown]
.LBB130_5:                              ; =>This Inner Loop Header: Depth=1
	v_ashrrev_i32_e32 v1, 31, v0
	v_lshlrev_b64 v[8:9], 3, v[0:1]
	v_add_co_u32_e32 v8, vcc, s6, v8
	v_addc_co_u32_e32 v9, vcc, v6, v9, vcc
	global_load_dwordx2 v[8:9], v[8:9], off
	s_load_dword s1, s[4:5], 0x0
	v_ashrrev_i32_e32 v3, 31, v2
	v_lshlrev_b64 v[10:11], 2, v[2:3]
	s_add_i32 s0, s0, 1
	v_add_co_u32_e32 v10, vcc, s12, v10
	s_waitcnt lgkmcnt(0)
	s_sub_i32 s1, s1, s11
	v_lshlrev_b64 v[12:13], 3, v[2:3]
	v_addc_co_u32_e32 v11, vcc, v4, v11, vcc
	s_add_u32 s4, s4, 4
	v_add_co_u32_e32 v12, vcc, s2, v12
	s_mul_i32 s1, s1, s9
	s_addc_u32 s5, s5, 0
	v_add_u32_e32 v0, s14, v0
	v_add_u32_e32 v2, s9, v2
	v_addc_co_u32_e32 v13, vcc, v7, v13, vcc
	v_add_u32_e32 v1, s1, v5
	s_cmp_lt_i32 s0, s15
	global_store_dword v[10:11], v1, off
	s_waitcnt vmcnt(1)
	global_store_dwordx2 v[12:13], v[8:9], off
	s_cbranch_scc1 .LBB130_5
.LBB130_6:
	s_endpgm
	.section	.rodata,"a",@progbits
	.p2align	6, 0x0
	.amdhsa_kernel _ZN9rocsparseL35gebsr2csr_block_per_row_1_32_kernelILi1024ELi32ELi32E21rocsparse_complex_numIfEEEv20rocsparse_direction_ii21rocsparse_index_base_PKT2_PKiS9_iiS4_PS5_PiSB_
		.amdhsa_group_segment_fixed_size 0
		.amdhsa_private_segment_fixed_size 0
		.amdhsa_kernarg_size 80
		.amdhsa_user_sgpr_count 6
		.amdhsa_user_sgpr_private_segment_buffer 1
		.amdhsa_user_sgpr_dispatch_ptr 0
		.amdhsa_user_sgpr_queue_ptr 0
		.amdhsa_user_sgpr_kernarg_segment_ptr 1
		.amdhsa_user_sgpr_dispatch_id 0
		.amdhsa_user_sgpr_flat_scratch_init 0
		.amdhsa_user_sgpr_kernarg_preload_length 0
		.amdhsa_user_sgpr_kernarg_preload_offset 0
		.amdhsa_user_sgpr_private_segment_size 0
		.amdhsa_uses_dynamic_stack 0
		.amdhsa_system_sgpr_private_segment_wavefront_offset 0
		.amdhsa_system_sgpr_workgroup_id_x 1
		.amdhsa_system_sgpr_workgroup_id_y 0
		.amdhsa_system_sgpr_workgroup_id_z 0
		.amdhsa_system_sgpr_workgroup_info 0
		.amdhsa_system_vgpr_workitem_id 0
		.amdhsa_next_free_vgpr 14
		.amdhsa_next_free_sgpr 20
		.amdhsa_accum_offset 16
		.amdhsa_reserve_vcc 1
		.amdhsa_reserve_flat_scratch 0
		.amdhsa_float_round_mode_32 0
		.amdhsa_float_round_mode_16_64 0
		.amdhsa_float_denorm_mode_32 3
		.amdhsa_float_denorm_mode_16_64 3
		.amdhsa_dx10_clamp 1
		.amdhsa_ieee_mode 1
		.amdhsa_fp16_overflow 0
		.amdhsa_tg_split 0
		.amdhsa_exception_fp_ieee_invalid_op 0
		.amdhsa_exception_fp_denorm_src 0
		.amdhsa_exception_fp_ieee_div_zero 0
		.amdhsa_exception_fp_ieee_overflow 0
		.amdhsa_exception_fp_ieee_underflow 0
		.amdhsa_exception_fp_ieee_inexact 0
		.amdhsa_exception_int_div_zero 0
	.end_amdhsa_kernel
	.section	.text._ZN9rocsparseL35gebsr2csr_block_per_row_1_32_kernelILi1024ELi32ELi32E21rocsparse_complex_numIfEEEv20rocsparse_direction_ii21rocsparse_index_base_PKT2_PKiS9_iiS4_PS5_PiSB_,"axG",@progbits,_ZN9rocsparseL35gebsr2csr_block_per_row_1_32_kernelILi1024ELi32ELi32E21rocsparse_complex_numIfEEEv20rocsparse_direction_ii21rocsparse_index_base_PKT2_PKiS9_iiS4_PS5_PiSB_,comdat
.Lfunc_end130:
	.size	_ZN9rocsparseL35gebsr2csr_block_per_row_1_32_kernelILi1024ELi32ELi32E21rocsparse_complex_numIfEEEv20rocsparse_direction_ii21rocsparse_index_base_PKT2_PKiS9_iiS4_PS5_PiSB_, .Lfunc_end130-_ZN9rocsparseL35gebsr2csr_block_per_row_1_32_kernelILi1024ELi32ELi32E21rocsparse_complex_numIfEEEv20rocsparse_direction_ii21rocsparse_index_base_PKT2_PKiS9_iiS4_PS5_PiSB_
                                        ; -- End function
	.section	.AMDGPU.csdata,"",@progbits
; Kernel info:
; codeLenInByte = 496
; NumSgprs: 24
; NumVgprs: 14
; NumAgprs: 0
; TotalNumVgprs: 14
; ScratchSize: 0
; MemoryBound: 0
; FloatMode: 240
; IeeeMode: 1
; LDSByteSize: 0 bytes/workgroup (compile time only)
; SGPRBlocks: 2
; VGPRBlocks: 1
; NumSGPRsForWavesPerEU: 24
; NumVGPRsForWavesPerEU: 14
; AccumOffset: 16
; Occupancy: 8
; WaveLimiterHint : 0
; COMPUTE_PGM_RSRC2:SCRATCH_EN: 0
; COMPUTE_PGM_RSRC2:USER_SGPR: 6
; COMPUTE_PGM_RSRC2:TRAP_HANDLER: 0
; COMPUTE_PGM_RSRC2:TGID_X_EN: 1
; COMPUTE_PGM_RSRC2:TGID_Y_EN: 0
; COMPUTE_PGM_RSRC2:TGID_Z_EN: 0
; COMPUTE_PGM_RSRC2:TIDIG_COMP_CNT: 0
; COMPUTE_PGM_RSRC3_GFX90A:ACCUM_OFFSET: 3
; COMPUTE_PGM_RSRC3_GFX90A:TG_SPLIT: 0
	.section	.text._ZN9rocsparseL37gebsr2csr_block_per_row_33_128_kernelILi1024ELi32ELi64ELi32ELi32E21rocsparse_complex_numIfEEEv20rocsparse_direction_ii21rocsparse_index_base_PKT4_PKiS9_iiS4_PS5_PiSB_,"axG",@progbits,_ZN9rocsparseL37gebsr2csr_block_per_row_33_128_kernelILi1024ELi32ELi64ELi32ELi32E21rocsparse_complex_numIfEEEv20rocsparse_direction_ii21rocsparse_index_base_PKT4_PKiS9_iiS4_PS5_PiSB_,comdat
	.globl	_ZN9rocsparseL37gebsr2csr_block_per_row_33_128_kernelILi1024ELi32ELi64ELi32ELi32E21rocsparse_complex_numIfEEEv20rocsparse_direction_ii21rocsparse_index_base_PKT4_PKiS9_iiS4_PS5_PiSB_ ; -- Begin function _ZN9rocsparseL37gebsr2csr_block_per_row_33_128_kernelILi1024ELi32ELi64ELi32ELi32E21rocsparse_complex_numIfEEEv20rocsparse_direction_ii21rocsparse_index_base_PKT4_PKiS9_iiS4_PS5_PiSB_
	.p2align	8
	.type	_ZN9rocsparseL37gebsr2csr_block_per_row_33_128_kernelILi1024ELi32ELi64ELi32ELi32E21rocsparse_complex_numIfEEEv20rocsparse_direction_ii21rocsparse_index_base_PKT4_PKiS9_iiS4_PS5_PiSB_,@function
_ZN9rocsparseL37gebsr2csr_block_per_row_33_128_kernelILi1024ELi32ELi64ELi32ELi32E21rocsparse_complex_numIfEEEv20rocsparse_direction_ii21rocsparse_index_base_PKT4_PKiS9_iiS4_PS5_PiSB_: ; @_ZN9rocsparseL37gebsr2csr_block_per_row_33_128_kernelILi1024ELi32ELi64ELi32ELi32E21rocsparse_complex_numIfEEEv20rocsparse_direction_ii21rocsparse_index_base_PKT4_PKiS9_iiS4_PS5_PiSB_
; %bb.0:
	s_load_dwordx2 s[0:1], s[4:5], 0x18
	s_load_dwordx4 s[8:11], s[4:5], 0x28
	s_load_dwordx2 s[2:3], s[4:5], 0x40
	s_ashr_i32 s7, s6, 31
	s_lshl_b64 s[12:13], s[6:7], 2
	s_waitcnt lgkmcnt(0)
	s_add_u32 s0, s0, s12
	s_addc_u32 s1, s1, s13
	s_load_dwordx2 s[14:15], s[0:1], 0x0
	v_or_b32_e32 v1, s6, v0
	v_cmp_eq_u32_e32 vcc, 0, v1
	s_and_saveexec_b64 s[0:1], vcc
	s_cbranch_execz .LBB131_2
; %bb.1:
	v_mov_b32_e32 v1, 0
	v_mov_b32_e32 v2, s10
	global_store_dword v1, v2, s[2:3]
.LBB131_2:
	s_or_b64 exec, exec, s[0:1]
	s_load_dword s11, s[4:5], 0xc
	v_lshrrev_b32_e32 v4, 5, v0
	v_cmp_gt_i32_e64 s[0:1], s8, v4
	s_mul_i32 s23, s9, s8
	s_waitcnt lgkmcnt(0)
	s_sub_i32 s12, s14, s11
	s_sub_i32 s22, s15, s11
	s_and_saveexec_b64 s[16:17], s[0:1]
	s_cbranch_execz .LBB131_4
; %bb.3:
	s_mul_i32 s6, s6, s8
	v_add_u32_e32 v2, s6, v4
	s_mul_i32 s7, s23, s12
	s_sub_i32 s13, s22, s12
	v_ashrrev_i32_e32 v3, 31, v2
	s_mul_i32 s13, s13, s9
	s_add_i32 s7, s7, s10
	v_lshlrev_b64 v[2:3], 2, v[2:3]
	v_mul_lo_u32 v1, s13, v4
	s_add_i32 s7, s7, s13
	v_mov_b32_e32 v5, s3
	v_add_co_u32_e32 v2, vcc, s2, v2
	v_add_u32_e32 v1, s7, v1
	v_addc_co_u32_e32 v3, vcc, v5, v3, vcc
	global_store_dword v[2:3], v1, off offset:4
.LBB131_4:
	s_or_b64 exec, exec, s[16:17]
	s_cmp_ge_i32 s14, s15
	s_cbranch_scc1 .LBB131_11
; %bb.5:
	s_load_dwordx2 s[18:19], s[4:5], 0x20
	s_load_dwordx2 s[6:7], s[4:5], 0x38
	;; [unrolled: 1-line block ×4, first 2 shown]
	s_load_dword s2, s[4:5], 0x0
	s_mul_i32 s13, s8, s12
	v_and_b32_e32 v0, 31, v0
	v_add_u32_e32 v1, s13, v4
	v_mad_u64_u32 v[2:3], s[4:5], s9, v1, v[0:1]
	s_mul_i32 s4, s9, s12
	s_sub_i32 s3, s22, s12
	v_add_u32_e32 v3, s4, v0
	v_mul_lo_u32 v6, s3, v4
	s_waitcnt lgkmcnt(0)
	s_cmp_eq_u32 s2, 0
	v_cmp_gt_i32_e64 s[2:3], s9, v0
	v_mad_u64_u32 v[8:9], s[4:5], s8, v3, v[4:5]
	v_or_b32_e32 v1, 32, v0
	s_cselect_b64 vcc, -1, 0
	s_and_b64 s[4:5], s[0:1], s[2:3]
	v_cmp_gt_i32_e64 s[2:3], s9, v1
	v_add_u32_e32 v3, 32, v3
	s_and_b64 s[2:3], s[0:1], s[2:3]
	v_mad_u64_u32 v[4:5], s[0:1], s8, v3, v[4:5]
	v_add_u32_e32 v3, s13, v6
	v_mad_u64_u32 v[6:7], s[0:1], s9, v3, v[0:1]
	s_ashr_i32 s13, s12, 31
	s_lshl_b64 s[0:1], s[12:13], 2
	s_add_u32 s18, s18, s0
	s_mov_b32 s24, 0
	s_addc_u32 s19, s19, s1
	v_cndmask_b32_e32 v3, v8, v2, vcc
	s_branch .LBB131_7
.LBB131_6:                              ;   in Loop: Header=BB131_7 Depth=1
	s_or_b64 exec, exec, s[20:21]
	s_add_i32 s12, s12, 1
	s_add_i32 s24, s24, s23
	s_add_u32 s18, s18, 4
	s_addc_u32 s19, s19, 0
	s_cmp_ge_i32 s12, s22
	v_add_u32_e32 v6, s9, v6
	s_cbranch_scc1 .LBB131_11
.LBB131_7:                              ; =>This Inner Loop Header: Depth=1
	s_load_dword s0, s[18:19], 0x0
	s_waitcnt lgkmcnt(0)
	s_sub_i32 s0, s0, s11
	s_mul_i32 s8, s0, s9
	s_add_i32 s8, s8, s10
	s_and_saveexec_b64 s[20:21], s[4:5]
	s_cbranch_execz .LBB131_9
; %bb.8:                                ;   in Loop: Header=BB131_7 Depth=1
	v_add_u32_e32 v8, s24, v3
	v_ashrrev_i32_e32 v9, 31, v8
	v_lshlrev_b64 v[8:9], 3, v[8:9]
	v_mov_b32_e32 v5, s17
	v_add_co_u32_e64 v8, s[0:1], s16, v8
	v_addc_co_u32_e64 v9, s[0:1], v5, v9, s[0:1]
	global_load_dwordx2 v[8:9], v[8:9], off
	v_ashrrev_i32_e32 v7, 31, v6
	v_lshlrev_b64 v[10:11], 2, v[6:7]
	v_mov_b32_e32 v12, s15
	v_add_co_u32_e64 v10, s[0:1], s14, v10
	v_add_u32_e32 v5, s8, v0
	v_addc_co_u32_e64 v11, s[0:1], v12, v11, s[0:1]
	global_store_dword v[10:11], v5, off
	v_lshlrev_b64 v[10:11], 3, v[6:7]
	v_mov_b32_e32 v5, s7
	v_add_co_u32_e64 v10, s[0:1], s6, v10
	v_addc_co_u32_e64 v11, s[0:1], v5, v11, s[0:1]
	s_waitcnt vmcnt(1)
	global_store_dwordx2 v[10:11], v[8:9], off
.LBB131_9:                              ;   in Loop: Header=BB131_7 Depth=1
	s_or_b64 exec, exec, s[20:21]
	s_and_saveexec_b64 s[20:21], s[2:3]
	s_cbranch_execz .LBB131_6
; %bb.10:                               ;   in Loop: Header=BB131_7 Depth=1
	v_add3_u32 v5, v2, s24, 32
	v_add_u32_e32 v7, s24, v4
	v_cndmask_b32_e32 v8, v7, v5, vcc
	v_ashrrev_i32_e32 v9, 31, v8
	v_lshlrev_b64 v[8:9], 3, v[8:9]
	v_mov_b32_e32 v5, s17
	v_add_co_u32_e64 v8, s[0:1], s16, v8
	v_addc_co_u32_e64 v9, s[0:1], v5, v9, s[0:1]
	global_load_dwordx2 v[8:9], v[8:9], off
	v_add_u32_e32 v10, 32, v6
	v_ashrrev_i32_e32 v11, 31, v10
	v_lshlrev_b64 v[12:13], 2, v[10:11]
	v_mov_b32_e32 v7, s15
	v_add_co_u32_e64 v12, s[0:1], s14, v12
	v_add_u32_e32 v5, s8, v1
	v_addc_co_u32_e64 v13, s[0:1], v7, v13, s[0:1]
	v_lshlrev_b64 v[10:11], 3, v[10:11]
	global_store_dword v[12:13], v5, off
	v_mov_b32_e32 v5, s7
	v_add_co_u32_e64 v10, s[0:1], s6, v10
	v_addc_co_u32_e64 v11, s[0:1], v5, v11, s[0:1]
	s_waitcnt vmcnt(1)
	global_store_dwordx2 v[10:11], v[8:9], off
	s_branch .LBB131_6
.LBB131_11:
	s_endpgm
	.section	.rodata,"a",@progbits
	.p2align	6, 0x0
	.amdhsa_kernel _ZN9rocsparseL37gebsr2csr_block_per_row_33_128_kernelILi1024ELi32ELi64ELi32ELi32E21rocsparse_complex_numIfEEEv20rocsparse_direction_ii21rocsparse_index_base_PKT4_PKiS9_iiS4_PS5_PiSB_
		.amdhsa_group_segment_fixed_size 0
		.amdhsa_private_segment_fixed_size 0
		.amdhsa_kernarg_size 80
		.amdhsa_user_sgpr_count 6
		.amdhsa_user_sgpr_private_segment_buffer 1
		.amdhsa_user_sgpr_dispatch_ptr 0
		.amdhsa_user_sgpr_queue_ptr 0
		.amdhsa_user_sgpr_kernarg_segment_ptr 1
		.amdhsa_user_sgpr_dispatch_id 0
		.amdhsa_user_sgpr_flat_scratch_init 0
		.amdhsa_user_sgpr_kernarg_preload_length 0
		.amdhsa_user_sgpr_kernarg_preload_offset 0
		.amdhsa_user_sgpr_private_segment_size 0
		.amdhsa_uses_dynamic_stack 0
		.amdhsa_system_sgpr_private_segment_wavefront_offset 0
		.amdhsa_system_sgpr_workgroup_id_x 1
		.amdhsa_system_sgpr_workgroup_id_y 0
		.amdhsa_system_sgpr_workgroup_id_z 0
		.amdhsa_system_sgpr_workgroup_info 0
		.amdhsa_system_vgpr_workitem_id 0
		.amdhsa_next_free_vgpr 14
		.amdhsa_next_free_sgpr 25
		.amdhsa_accum_offset 16
		.amdhsa_reserve_vcc 1
		.amdhsa_reserve_flat_scratch 0
		.amdhsa_float_round_mode_32 0
		.amdhsa_float_round_mode_16_64 0
		.amdhsa_float_denorm_mode_32 3
		.amdhsa_float_denorm_mode_16_64 3
		.amdhsa_dx10_clamp 1
		.amdhsa_ieee_mode 1
		.amdhsa_fp16_overflow 0
		.amdhsa_tg_split 0
		.amdhsa_exception_fp_ieee_invalid_op 0
		.amdhsa_exception_fp_denorm_src 0
		.amdhsa_exception_fp_ieee_div_zero 0
		.amdhsa_exception_fp_ieee_overflow 0
		.amdhsa_exception_fp_ieee_underflow 0
		.amdhsa_exception_fp_ieee_inexact 0
		.amdhsa_exception_int_div_zero 0
	.end_amdhsa_kernel
	.section	.text._ZN9rocsparseL37gebsr2csr_block_per_row_33_128_kernelILi1024ELi32ELi64ELi32ELi32E21rocsparse_complex_numIfEEEv20rocsparse_direction_ii21rocsparse_index_base_PKT4_PKiS9_iiS4_PS5_PiSB_,"axG",@progbits,_ZN9rocsparseL37gebsr2csr_block_per_row_33_128_kernelILi1024ELi32ELi64ELi32ELi32E21rocsparse_complex_numIfEEEv20rocsparse_direction_ii21rocsparse_index_base_PKT4_PKiS9_iiS4_PS5_PiSB_,comdat
.Lfunc_end131:
	.size	_ZN9rocsparseL37gebsr2csr_block_per_row_33_128_kernelILi1024ELi32ELi64ELi32ELi32E21rocsparse_complex_numIfEEEv20rocsparse_direction_ii21rocsparse_index_base_PKT4_PKiS9_iiS4_PS5_PiSB_, .Lfunc_end131-_ZN9rocsparseL37gebsr2csr_block_per_row_33_128_kernelILi1024ELi32ELi64ELi32ELi32E21rocsparse_complex_numIfEEEv20rocsparse_direction_ii21rocsparse_index_base_PKT4_PKiS9_iiS4_PS5_PiSB_
                                        ; -- End function
	.section	.AMDGPU.csdata,"",@progbits
; Kernel info:
; codeLenInByte = 752
; NumSgprs: 29
; NumVgprs: 14
; NumAgprs: 0
; TotalNumVgprs: 14
; ScratchSize: 0
; MemoryBound: 0
; FloatMode: 240
; IeeeMode: 1
; LDSByteSize: 0 bytes/workgroup (compile time only)
; SGPRBlocks: 3
; VGPRBlocks: 1
; NumSGPRsForWavesPerEU: 29
; NumVGPRsForWavesPerEU: 14
; AccumOffset: 16
; Occupancy: 8
; WaveLimiterHint : 1
; COMPUTE_PGM_RSRC2:SCRATCH_EN: 0
; COMPUTE_PGM_RSRC2:USER_SGPR: 6
; COMPUTE_PGM_RSRC2:TRAP_HANDLER: 0
; COMPUTE_PGM_RSRC2:TGID_X_EN: 1
; COMPUTE_PGM_RSRC2:TGID_Y_EN: 0
; COMPUTE_PGM_RSRC2:TGID_Z_EN: 0
; COMPUTE_PGM_RSRC2:TIDIG_COMP_CNT: 0
; COMPUTE_PGM_RSRC3_GFX90A:ACCUM_OFFSET: 3
; COMPUTE_PGM_RSRC3_GFX90A:TG_SPLIT: 0
	.section	.text._ZN9rocsparseL37gebsr2csr_block_per_row_33_128_kernelILi1024ELi32ELi128ELi32ELi32E21rocsparse_complex_numIfEEEv20rocsparse_direction_ii21rocsparse_index_base_PKT4_PKiS9_iiS4_PS5_PiSB_,"axG",@progbits,_ZN9rocsparseL37gebsr2csr_block_per_row_33_128_kernelILi1024ELi32ELi128ELi32ELi32E21rocsparse_complex_numIfEEEv20rocsparse_direction_ii21rocsparse_index_base_PKT4_PKiS9_iiS4_PS5_PiSB_,comdat
	.globl	_ZN9rocsparseL37gebsr2csr_block_per_row_33_128_kernelILi1024ELi32ELi128ELi32ELi32E21rocsparse_complex_numIfEEEv20rocsparse_direction_ii21rocsparse_index_base_PKT4_PKiS9_iiS4_PS5_PiSB_ ; -- Begin function _ZN9rocsparseL37gebsr2csr_block_per_row_33_128_kernelILi1024ELi32ELi128ELi32ELi32E21rocsparse_complex_numIfEEEv20rocsparse_direction_ii21rocsparse_index_base_PKT4_PKiS9_iiS4_PS5_PiSB_
	.p2align	8
	.type	_ZN9rocsparseL37gebsr2csr_block_per_row_33_128_kernelILi1024ELi32ELi128ELi32ELi32E21rocsparse_complex_numIfEEEv20rocsparse_direction_ii21rocsparse_index_base_PKT4_PKiS9_iiS4_PS5_PiSB_,@function
_ZN9rocsparseL37gebsr2csr_block_per_row_33_128_kernelILi1024ELi32ELi128ELi32ELi32E21rocsparse_complex_numIfEEEv20rocsparse_direction_ii21rocsparse_index_base_PKT4_PKiS9_iiS4_PS5_PiSB_: ; @_ZN9rocsparseL37gebsr2csr_block_per_row_33_128_kernelILi1024ELi32ELi128ELi32ELi32E21rocsparse_complex_numIfEEEv20rocsparse_direction_ii21rocsparse_index_base_PKT4_PKiS9_iiS4_PS5_PiSB_
; %bb.0:
	s_load_dwordx2 s[0:1], s[4:5], 0x18
	s_load_dwordx4 s[8:11], s[4:5], 0x28
	s_load_dwordx2 s[2:3], s[4:5], 0x40
	s_ashr_i32 s7, s6, 31
	s_lshl_b64 s[12:13], s[6:7], 2
	s_waitcnt lgkmcnt(0)
	s_add_u32 s0, s0, s12
	s_addc_u32 s1, s1, s13
	s_load_dwordx2 s[14:15], s[0:1], 0x0
	v_or_b32_e32 v1, s6, v0
	v_cmp_eq_u32_e32 vcc, 0, v1
	s_and_saveexec_b64 s[0:1], vcc
	s_cbranch_execz .LBB132_2
; %bb.1:
	v_mov_b32_e32 v1, 0
	v_mov_b32_e32 v2, s10
	global_store_dword v1, v2, s[2:3]
.LBB132_2:
	s_or_b64 exec, exec, s[0:1]
	s_load_dword s11, s[4:5], 0xc
	v_lshrrev_b32_e32 v1, 5, v0
	v_cmp_gt_i32_e64 s[0:1], s8, v1
	s_mul_i32 s27, s9, s8
	s_waitcnt lgkmcnt(0)
	s_sub_i32 s12, s14, s11
	s_sub_i32 s26, s15, s11
	s_and_saveexec_b64 s[16:17], s[0:1]
	s_cbranch_execz .LBB132_4
; %bb.3:
	s_mul_i32 s7, s27, s12
	s_sub_i32 s13, s26, s12
	s_mul_i32 s13, s13, s9
	s_add_i32 s7, s7, s10
	v_mul_lo_u32 v2, s13, v1
	s_add_i32 s7, s7, s13
	s_mul_i32 s6, s6, s8
	v_add_u32_e32 v4, s7, v2
	v_add_u32_e32 v2, s6, v1
	v_ashrrev_i32_e32 v3, 31, v2
	v_lshlrev_b64 v[2:3], 2, v[2:3]
	v_mov_b32_e32 v5, s3
	v_add_co_u32_e32 v2, vcc, s2, v2
	v_addc_co_u32_e32 v3, vcc, v5, v3, vcc
	global_store_dword v[2:3], v4, off offset:4
.LBB132_4:
	s_or_b64 exec, exec, s[16:17]
	s_cmp_ge_i32 s14, s15
	s_cbranch_scc1 .LBB132_15
; %bb.5:
	s_load_dwordx2 s[22:23], s[4:5], 0x20
	s_load_dwordx2 s[6:7], s[4:5], 0x38
	;; [unrolled: 1-line block ×3, first 2 shown]
	s_load_dword s2, s[4:5], 0x0
	s_load_dwordx2 s[16:17], s[4:5], 0x48
	v_and_b32_e32 v0, 31, v0
	s_sub_i32 s3, s26, s12
	v_mul_lo_u32 v10, s3, v1
	s_waitcnt lgkmcnt(0)
	s_cmp_eq_u32 s2, 0
	v_cmp_gt_i32_e64 s[2:3], s9, v0
	v_or_b32_e32 v2, 32, v0
	s_cselect_b64 vcc, -1, 0
	s_and_b64 s[4:5], s[0:1], s[2:3]
	v_cmp_gt_i32_e64 s[2:3], s9, v2
	v_or_b32_e32 v3, 64, v0
	s_and_b64 s[18:19], s[0:1], s[2:3]
	v_cmp_gt_i32_e64 s[2:3], s9, v3
	v_or_b32_e32 v4, 0x60, v0
	s_and_b64 s[20:21], s[0:1], s[2:3]
	v_cmp_gt_i32_e64 s[2:3], s9, v4
	s_and_b64 s[2:3], s[0:1], s[2:3]
	s_mul_i32 s0, s8, s12
	s_mul_i32 s1, s9, s12
	s_ashr_i32 s13, s12, 31
	v_add_u32_e32 v5, s0, v1
	v_add_u32_e32 v9, s1, v0
	;; [unrolled: 1-line block ×3, first 2 shown]
	s_lshl_b64 s[0:1], s[12:13], 2
	v_add_u32_e32 v6, 0x60, v9
	v_add_u32_e32 v7, 64, v9
	;; [unrolled: 1-line block ×3, first 2 shown]
	s_add_u32 s22, s22, s0
	s_movk_i32 s28, 0x60
	v_mul_lo_u32 v5, s9, v5
	v_mul_lo_u32 v6, s8, v6
	;; [unrolled: 1-line block ×6, first 2 shown]
	s_addc_u32 s23, s23, s1
	s_branch .LBB132_7
.LBB132_6:                              ;   in Loop: Header=BB132_7 Depth=1
	s_or_b64 exec, exec, s[24:25]
	s_add_i32 s12, s12, 1
	s_add_u32 s22, s22, 4
	s_addc_u32 s23, s23, 0
	v_add_u32_e32 v5, s27, v5
	v_add_u32_e32 v1, s27, v1
	s_cmp_ge_i32 s12, s26
	v_add_u32_e32 v10, s9, v10
	s_cbranch_scc1 .LBB132_15
.LBB132_7:                              ; =>This Inner Loop Header: Depth=1
	s_load_dword s0, s[22:23], 0x0
	s_waitcnt lgkmcnt(0)
	s_sub_i32 s0, s0, s11
	s_mul_i32 s8, s0, s9
	s_add_i32 s8, s8, s10
	s_and_saveexec_b64 s[24:25], s[4:5]
	s_cbranch_execnz .LBB132_11
; %bb.8:                                ;   in Loop: Header=BB132_7 Depth=1
	s_or_b64 exec, exec, s[24:25]
	s_and_saveexec_b64 s[24:25], s[18:19]
	s_cbranch_execnz .LBB132_12
.LBB132_9:                              ;   in Loop: Header=BB132_7 Depth=1
	s_or_b64 exec, exec, s[24:25]
	s_and_saveexec_b64 s[24:25], s[20:21]
	s_cbranch_execnz .LBB132_13
.LBB132_10:                             ;   in Loop: Header=BB132_7 Depth=1
	s_or_b64 exec, exec, s[24:25]
	s_and_saveexec_b64 s[24:25], s[2:3]
	s_cbranch_execz .LBB132_6
	s_branch .LBB132_14
.LBB132_11:                             ;   in Loop: Header=BB132_7 Depth=1
	v_add_u32_e32 v11, v0, v5
	v_add_u32_e32 v12, v9, v1
	v_cndmask_b32_e32 v12, v12, v11, vcc
	v_ashrrev_i32_e32 v13, 31, v12
	v_lshlrev_b64 v[12:13], 3, v[12:13]
	v_mov_b32_e32 v11, s15
	v_add_co_u32_e64 v12, s[0:1], s14, v12
	v_addc_co_u32_e64 v13, s[0:1], v11, v13, s[0:1]
	global_load_dwordx2 v[12:13], v[12:13], off
	v_add_u32_e32 v14, v0, v10
	v_ashrrev_i32_e32 v15, 31, v14
	v_lshlrev_b64 v[16:17], 2, v[14:15]
	v_mov_b32_e32 v18, s17
	v_add_co_u32_e64 v16, s[0:1], s16, v16
	v_add_u32_e32 v11, s8, v0
	v_addc_co_u32_e64 v17, s[0:1], v18, v17, s[0:1]
	v_lshlrev_b64 v[14:15], 3, v[14:15]
	global_store_dword v[16:17], v11, off
	v_mov_b32_e32 v11, s7
	v_add_co_u32_e64 v14, s[0:1], s6, v14
	v_addc_co_u32_e64 v15, s[0:1], v11, v15, s[0:1]
	s_waitcnt vmcnt(1)
	global_store_dwordx2 v[14:15], v[12:13], off
	s_or_b64 exec, exec, s[24:25]
	s_and_saveexec_b64 s[24:25], s[18:19]
	s_cbranch_execz .LBB132_9
.LBB132_12:                             ;   in Loop: Header=BB132_7 Depth=1
	v_add3_u32 v11, v0, v5, 32
	v_add_u32_e32 v12, v8, v1
	v_cndmask_b32_e32 v12, v12, v11, vcc
	v_ashrrev_i32_e32 v13, 31, v12
	v_lshlrev_b64 v[12:13], 3, v[12:13]
	v_mov_b32_e32 v11, s15
	v_add_co_u32_e64 v12, s[0:1], s14, v12
	v_addc_co_u32_e64 v13, s[0:1], v11, v13, s[0:1]
	global_load_dwordx2 v[12:13], v[12:13], off
	v_add3_u32 v14, v0, v10, 32
	v_ashrrev_i32_e32 v15, 31, v14
	v_lshlrev_b64 v[16:17], 2, v[14:15]
	v_mov_b32_e32 v18, s17
	v_add_co_u32_e64 v16, s[0:1], s16, v16
	v_add_u32_e32 v11, s8, v2
	v_addc_co_u32_e64 v17, s[0:1], v18, v17, s[0:1]
	v_lshlrev_b64 v[14:15], 3, v[14:15]
	global_store_dword v[16:17], v11, off
	v_mov_b32_e32 v11, s7
	v_add_co_u32_e64 v14, s[0:1], s6, v14
	v_addc_co_u32_e64 v15, s[0:1], v11, v15, s[0:1]
	s_waitcnt vmcnt(1)
	global_store_dwordx2 v[14:15], v[12:13], off
	s_or_b64 exec, exec, s[24:25]
	s_and_saveexec_b64 s[24:25], s[20:21]
	s_cbranch_execz .LBB132_10
.LBB132_13:                             ;   in Loop: Header=BB132_7 Depth=1
	v_add3_u32 v11, v0, v5, 64
	v_add_u32_e32 v12, v7, v1
	v_cndmask_b32_e32 v12, v12, v11, vcc
	v_ashrrev_i32_e32 v13, 31, v12
	v_lshlrev_b64 v[12:13], 3, v[12:13]
	v_mov_b32_e32 v11, s15
	v_add_co_u32_e64 v12, s[0:1], s14, v12
	v_addc_co_u32_e64 v13, s[0:1], v11, v13, s[0:1]
	global_load_dwordx2 v[12:13], v[12:13], off
	v_add3_u32 v14, v0, v10, 64
	v_ashrrev_i32_e32 v15, 31, v14
	v_lshlrev_b64 v[16:17], 2, v[14:15]
	v_mov_b32_e32 v18, s17
	v_add_co_u32_e64 v16, s[0:1], s16, v16
	v_add_u32_e32 v11, s8, v3
	v_addc_co_u32_e64 v17, s[0:1], v18, v17, s[0:1]
	v_lshlrev_b64 v[14:15], 3, v[14:15]
	global_store_dword v[16:17], v11, off
	v_mov_b32_e32 v11, s7
	v_add_co_u32_e64 v14, s[0:1], s6, v14
	v_addc_co_u32_e64 v15, s[0:1], v11, v15, s[0:1]
	s_waitcnt vmcnt(1)
	global_store_dwordx2 v[14:15], v[12:13], off
	s_or_b64 exec, exec, s[24:25]
	s_and_saveexec_b64 s[24:25], s[2:3]
	s_cbranch_execz .LBB132_6
.LBB132_14:                             ;   in Loop: Header=BB132_7 Depth=1
	v_add3_u32 v11, v0, v5, s28
	v_add_u32_e32 v12, v6, v1
	v_cndmask_b32_e32 v12, v12, v11, vcc
	v_ashrrev_i32_e32 v13, 31, v12
	v_lshlrev_b64 v[12:13], 3, v[12:13]
	v_mov_b32_e32 v11, s15
	v_add_co_u32_e64 v12, s[0:1], s14, v12
	v_addc_co_u32_e64 v13, s[0:1], v11, v13, s[0:1]
	global_load_dwordx2 v[12:13], v[12:13], off
	v_add3_u32 v14, v0, v10, s28
	v_ashrrev_i32_e32 v15, 31, v14
	v_lshlrev_b64 v[16:17], 2, v[14:15]
	v_mov_b32_e32 v18, s17
	v_add_co_u32_e64 v16, s[0:1], s16, v16
	v_add_u32_e32 v11, s8, v4
	v_addc_co_u32_e64 v17, s[0:1], v18, v17, s[0:1]
	v_lshlrev_b64 v[14:15], 3, v[14:15]
	global_store_dword v[16:17], v11, off
	v_mov_b32_e32 v11, s7
	v_add_co_u32_e64 v14, s[0:1], s6, v14
	v_addc_co_u32_e64 v15, s[0:1], v11, v15, s[0:1]
	s_waitcnt vmcnt(1)
	global_store_dwordx2 v[14:15], v[12:13], off
	s_branch .LBB132_6
.LBB132_15:
	s_endpgm
	.section	.rodata,"a",@progbits
	.p2align	6, 0x0
	.amdhsa_kernel _ZN9rocsparseL37gebsr2csr_block_per_row_33_128_kernelILi1024ELi32ELi128ELi32ELi32E21rocsparse_complex_numIfEEEv20rocsparse_direction_ii21rocsparse_index_base_PKT4_PKiS9_iiS4_PS5_PiSB_
		.amdhsa_group_segment_fixed_size 0
		.amdhsa_private_segment_fixed_size 0
		.amdhsa_kernarg_size 80
		.amdhsa_user_sgpr_count 6
		.amdhsa_user_sgpr_private_segment_buffer 1
		.amdhsa_user_sgpr_dispatch_ptr 0
		.amdhsa_user_sgpr_queue_ptr 0
		.amdhsa_user_sgpr_kernarg_segment_ptr 1
		.amdhsa_user_sgpr_dispatch_id 0
		.amdhsa_user_sgpr_flat_scratch_init 0
		.amdhsa_user_sgpr_kernarg_preload_length 0
		.amdhsa_user_sgpr_kernarg_preload_offset 0
		.amdhsa_user_sgpr_private_segment_size 0
		.amdhsa_uses_dynamic_stack 0
		.amdhsa_system_sgpr_private_segment_wavefront_offset 0
		.amdhsa_system_sgpr_workgroup_id_x 1
		.amdhsa_system_sgpr_workgroup_id_y 0
		.amdhsa_system_sgpr_workgroup_id_z 0
		.amdhsa_system_sgpr_workgroup_info 0
		.amdhsa_system_vgpr_workitem_id 0
		.amdhsa_next_free_vgpr 19
		.amdhsa_next_free_sgpr 29
		.amdhsa_accum_offset 20
		.amdhsa_reserve_vcc 1
		.amdhsa_reserve_flat_scratch 0
		.amdhsa_float_round_mode_32 0
		.amdhsa_float_round_mode_16_64 0
		.amdhsa_float_denorm_mode_32 3
		.amdhsa_float_denorm_mode_16_64 3
		.amdhsa_dx10_clamp 1
		.amdhsa_ieee_mode 1
		.amdhsa_fp16_overflow 0
		.amdhsa_tg_split 0
		.amdhsa_exception_fp_ieee_invalid_op 0
		.amdhsa_exception_fp_denorm_src 0
		.amdhsa_exception_fp_ieee_div_zero 0
		.amdhsa_exception_fp_ieee_overflow 0
		.amdhsa_exception_fp_ieee_underflow 0
		.amdhsa_exception_fp_ieee_inexact 0
		.amdhsa_exception_int_div_zero 0
	.end_amdhsa_kernel
	.section	.text._ZN9rocsparseL37gebsr2csr_block_per_row_33_128_kernelILi1024ELi32ELi128ELi32ELi32E21rocsparse_complex_numIfEEEv20rocsparse_direction_ii21rocsparse_index_base_PKT4_PKiS9_iiS4_PS5_PiSB_,"axG",@progbits,_ZN9rocsparseL37gebsr2csr_block_per_row_33_128_kernelILi1024ELi32ELi128ELi32ELi32E21rocsparse_complex_numIfEEEv20rocsparse_direction_ii21rocsparse_index_base_PKT4_PKiS9_iiS4_PS5_PiSB_,comdat
.Lfunc_end132:
	.size	_ZN9rocsparseL37gebsr2csr_block_per_row_33_128_kernelILi1024ELi32ELi128ELi32ELi32E21rocsparse_complex_numIfEEEv20rocsparse_direction_ii21rocsparse_index_base_PKT4_PKiS9_iiS4_PS5_PiSB_, .Lfunc_end132-_ZN9rocsparseL37gebsr2csr_block_per_row_33_128_kernelILi1024ELi32ELi128ELi32ELi32E21rocsparse_complex_numIfEEEv20rocsparse_direction_ii21rocsparse_index_base_PKT4_PKiS9_iiS4_PS5_PiSB_
                                        ; -- End function
	.section	.AMDGPU.csdata,"",@progbits
; Kernel info:
; codeLenInByte = 1192
; NumSgprs: 33
; NumVgprs: 19
; NumAgprs: 0
; TotalNumVgprs: 19
; ScratchSize: 0
; MemoryBound: 0
; FloatMode: 240
; IeeeMode: 1
; LDSByteSize: 0 bytes/workgroup (compile time only)
; SGPRBlocks: 4
; VGPRBlocks: 2
; NumSGPRsForWavesPerEU: 33
; NumVGPRsForWavesPerEU: 19
; AccumOffset: 20
; Occupancy: 8
; WaveLimiterHint : 1
; COMPUTE_PGM_RSRC2:SCRATCH_EN: 0
; COMPUTE_PGM_RSRC2:USER_SGPR: 6
; COMPUTE_PGM_RSRC2:TRAP_HANDLER: 0
; COMPUTE_PGM_RSRC2:TGID_X_EN: 1
; COMPUTE_PGM_RSRC2:TGID_Y_EN: 0
; COMPUTE_PGM_RSRC2:TGID_Z_EN: 0
; COMPUTE_PGM_RSRC2:TIDIG_COMP_CNT: 0
; COMPUTE_PGM_RSRC3_GFX90A:ACCUM_OFFSET: 4
; COMPUTE_PGM_RSRC3_GFX90A:TG_SPLIT: 0
	.section	.text._ZN9rocsparseL37gebsr2csr_block_per_row_33_128_kernelILi1024ELi64ELi2ELi32ELi2E21rocsparse_complex_numIfEEEv20rocsparse_direction_ii21rocsparse_index_base_PKT4_PKiS9_iiS4_PS5_PiSB_,"axG",@progbits,_ZN9rocsparseL37gebsr2csr_block_per_row_33_128_kernelILi1024ELi64ELi2ELi32ELi2E21rocsparse_complex_numIfEEEv20rocsparse_direction_ii21rocsparse_index_base_PKT4_PKiS9_iiS4_PS5_PiSB_,comdat
	.globl	_ZN9rocsparseL37gebsr2csr_block_per_row_33_128_kernelILi1024ELi64ELi2ELi32ELi2E21rocsparse_complex_numIfEEEv20rocsparse_direction_ii21rocsparse_index_base_PKT4_PKiS9_iiS4_PS5_PiSB_ ; -- Begin function _ZN9rocsparseL37gebsr2csr_block_per_row_33_128_kernelILi1024ELi64ELi2ELi32ELi2E21rocsparse_complex_numIfEEEv20rocsparse_direction_ii21rocsparse_index_base_PKT4_PKiS9_iiS4_PS5_PiSB_
	.p2align	8
	.type	_ZN9rocsparseL37gebsr2csr_block_per_row_33_128_kernelILi1024ELi64ELi2ELi32ELi2E21rocsparse_complex_numIfEEEv20rocsparse_direction_ii21rocsparse_index_base_PKT4_PKiS9_iiS4_PS5_PiSB_,@function
_ZN9rocsparseL37gebsr2csr_block_per_row_33_128_kernelILi1024ELi64ELi2ELi32ELi2E21rocsparse_complex_numIfEEEv20rocsparse_direction_ii21rocsparse_index_base_PKT4_PKiS9_iiS4_PS5_PiSB_: ; @_ZN9rocsparseL37gebsr2csr_block_per_row_33_128_kernelILi1024ELi64ELi2ELi32ELi2E21rocsparse_complex_numIfEEEv20rocsparse_direction_ii21rocsparse_index_base_PKT4_PKiS9_iiS4_PS5_PiSB_
; %bb.0:
	s_load_dwordx2 s[0:1], s[4:5], 0x18
	s_load_dwordx4 s[8:11], s[4:5], 0x28
	s_load_dwordx2 s[14:15], s[4:5], 0x40
	s_ashr_i32 s7, s6, 31
	s_lshl_b64 s[2:3], s[6:7], 2
	s_waitcnt lgkmcnt(0)
	s_add_u32 s0, s0, s2
	s_addc_u32 s1, s1, s3
	s_load_dwordx2 s[18:19], s[0:1], 0x0
	v_or_b32_e32 v1, s6, v0
	v_cmp_eq_u32_e32 vcc, 0, v1
	s_and_saveexec_b64 s[0:1], vcc
	s_cbranch_execz .LBB133_2
; %bb.1:
	v_mov_b32_e32 v1, 0
	v_mov_b32_e32 v2, s10
	global_store_dword v1, v2, s[14:15]
.LBB133_2:
	s_or_b64 exec, exec, s[0:1]
	s_load_dword s20, s[4:5], 0xc
	v_lshrrev_b32_e32 v4, 1, v0
	s_mul_i32 s16, s6, s8
	s_waitcnt lgkmcnt(0)
	s_sub_i32 s12, s18, s20
	s_sub_i32 s21, s19, s20
	s_mul_i32 s11, s12, s9
	s_sub_i32 s13, s21, s12
	s_mul_i32 s0, s11, s8
	s_mul_i32 s17, s13, s9
	s_add_i32 s22, s0, s10
	s_add_i32 s22, s22, s17
	v_cmp_gt_i32_e64 s[0:1], s8, v4
	s_and_saveexec_b64 s[2:3], s[0:1]
	s_cbranch_execz .LBB133_4
; %bb.3:
	v_add_u32_e32 v2, s16, v4
	v_ashrrev_i32_e32 v3, 31, v2
	v_lshlrev_b64 v[2:3], 2, v[2:3]
	v_mul_lo_u32 v1, v4, s17
	v_mov_b32_e32 v5, s15
	v_add_co_u32_e32 v2, vcc, s14, v2
	v_add_u32_e32 v1, s22, v1
	v_addc_co_u32_e32 v3, vcc, v5, v3, vcc
	global_store_dword v[2:3], v1, off offset:4
.LBB133_4:
	s_or_b64 exec, exec, s[2:3]
	v_add_u32_e32 v1, 32, v4
	v_cmp_gt_i32_e64 s[2:3], s8, v1
	s_and_saveexec_b64 s[6:7], s[2:3]
	s_cbranch_execz .LBB133_6
; %bb.5:
	s_add_u32 s14, s14, 4
	s_addc_u32 s15, s15, 0
	v_mul_lo_u32 v1, v1, s17
	s_ashr_i32 s17, s16, 31
	v_mov_b32_e32 v3, s17
	v_add_co_u32_e32 v2, vcc, s16, v4
	v_addc_co_u32_e32 v3, vcc, 0, v3, vcc
	v_lshlrev_b64 v[2:3], 2, v[2:3]
	v_mov_b32_e32 v5, s15
	v_add_co_u32_e32 v2, vcc, s14, v2
	v_add_u32_e32 v1, s22, v1
	v_addc_co_u32_e32 v3, vcc, v5, v3, vcc
	global_store_dword v[2:3], v1, off offset:128
.LBB133_6:
	s_or_b64 exec, exec, s[6:7]
	s_cmp_lt_i32 s18, s19
	s_cbranch_scc0 .LBB133_13
; %bb.7:
	s_load_dwordx2 s[24:25], s[4:5], 0x20
	s_load_dwordx2 s[6:7], s[4:5], 0x38
	;; [unrolled: 1-line block ×4, first 2 shown]
	s_load_dword s26, s[4:5], 0x0
	v_and_b32_e32 v0, 1, v0
	s_mul_i32 s28, s8, s12
	v_add_u32_e32 v5, s28, v4
	v_add_u32_e32 v2, s11, v0
	;; [unrolled: 1-line block ×3, first 2 shown]
	v_mad_u64_u32 v[2:3], s[10:11], s8, v2, v[4:5]
	v_cmp_gt_i32_e64 s[4:5], s9, v0
	s_waitcnt lgkmcnt(0)
	s_cmp_eq_u32 s26, 0
	v_mul_lo_u32 v3, v4, s13
	v_add_u32_e32 v4, 32, v5
	v_mad_u64_u32 v[6:7], s[26:27], s9, v5, v[0:1]
	s_cselect_b64 vcc, -1, 0
	s_and_b64 s[10:11], s[4:5], s[0:1]
	v_mad_u64_u32 v[4:5], s[0:1], s9, v4, v[0:1]
	v_add_u32_e32 v5, s28, v3
	v_lshl_add_u32 v3, s19, 5, v5
	s_lshl_b32 s0, s18, 5
	s_ashr_i32 s13, s12, 31
	s_and_b64 s[2:3], s[4:5], s[2:3]
	v_subrev_u32_e32 v3, s0, v3
	s_lshl_b64 s[0:1], s[12:13], 2
	s_add_u32 s4, s24, s0
	s_mul_i32 s22, s9, s8
	s_mov_b32 s23, 0
	v_mul_lo_u32 v3, s9, v3
	v_mul_lo_u32 v5, s9, v5
	s_addc_u32 s5, s25, s1
	v_cndmask_b32_e32 v6, v2, v6, vcc
	s_branch .LBB133_9
.LBB133_8:                              ;   in Loop: Header=BB133_9 Depth=1
	s_or_b64 exec, exec, s[18:19]
	s_add_i32 s12, s12, 1
	s_add_i32 s23, s23, s22
	s_add_u32 s4, s4, 4
	s_addc_u32 s5, s5, 0
	s_cmp_ge_i32 s12, s21
	v_add_u32_e32 v0, s9, v0
	s_cbranch_scc1 .LBB133_13
.LBB133_9:                              ; =>This Inner Loop Header: Depth=1
	s_load_dword s0, s[4:5], 0x0
	s_waitcnt lgkmcnt(0)
	s_sub_i32 s0, s0, s20
	s_mul_i32 s0, s0, s9
	v_add_u32_e32 v7, s0, v1
	s_and_saveexec_b64 s[18:19], s[10:11]
	s_cbranch_execz .LBB133_11
; %bb.10:                               ;   in Loop: Header=BB133_9 Depth=1
	v_add_u32_e32 v8, s23, v6
	v_ashrrev_i32_e32 v9, 31, v8
	v_lshlrev_b64 v[8:9], 3, v[8:9]
	v_mov_b32_e32 v10, s17
	v_add_co_u32_e64 v8, s[0:1], s16, v8
	v_addc_co_u32_e64 v9, s[0:1], v10, v9, s[0:1]
	global_load_dwordx2 v[8:9], v[8:9], off
	v_add_u32_e32 v10, v5, v0
	v_ashrrev_i32_e32 v11, 31, v10
	v_lshlrev_b64 v[12:13], 2, v[10:11]
	v_mov_b32_e32 v14, s15
	v_add_co_u32_e64 v12, s[0:1], s14, v12
	v_addc_co_u32_e64 v13, s[0:1], v14, v13, s[0:1]
	v_lshlrev_b64 v[10:11], 3, v[10:11]
	global_store_dword v[12:13], v7, off
	v_mov_b32_e32 v12, s7
	v_add_co_u32_e64 v10, s[0:1], s6, v10
	v_addc_co_u32_e64 v11, s[0:1], v12, v11, s[0:1]
	s_waitcnt vmcnt(1)
	global_store_dwordx2 v[10:11], v[8:9], off
.LBB133_11:                             ;   in Loop: Header=BB133_9 Depth=1
	s_or_b64 exec, exec, s[18:19]
	s_and_saveexec_b64 s[18:19], s[2:3]
	s_cbranch_execz .LBB133_8
; %bb.12:                               ;   in Loop: Header=BB133_9 Depth=1
	v_add_u32_e32 v8, s23, v4
	v_add3_u32 v9, v2, s23, 32
	v_cndmask_b32_e32 v8, v9, v8, vcc
	v_ashrrev_i32_e32 v9, 31, v8
	v_lshlrev_b64 v[8:9], 3, v[8:9]
	v_mov_b32_e32 v10, s17
	v_add_co_u32_e64 v8, s[0:1], s16, v8
	v_addc_co_u32_e64 v9, s[0:1], v10, v9, s[0:1]
	global_load_dwordx2 v[8:9], v[8:9], off
	v_add_u32_e32 v10, v3, v0
	v_ashrrev_i32_e32 v11, 31, v10
	v_lshlrev_b64 v[12:13], 2, v[10:11]
	v_mov_b32_e32 v14, s15
	v_add_co_u32_e64 v12, s[0:1], s14, v12
	v_addc_co_u32_e64 v13, s[0:1], v14, v13, s[0:1]
	v_lshlrev_b64 v[10:11], 3, v[10:11]
	global_store_dword v[12:13], v7, off
	v_mov_b32_e32 v7, s7
	v_add_co_u32_e64 v10, s[0:1], s6, v10
	v_addc_co_u32_e64 v11, s[0:1], v7, v11, s[0:1]
	s_waitcnt vmcnt(1)
	global_store_dwordx2 v[10:11], v[8:9], off
	s_branch .LBB133_8
.LBB133_13:
	s_endpgm
	.section	.rodata,"a",@progbits
	.p2align	6, 0x0
	.amdhsa_kernel _ZN9rocsparseL37gebsr2csr_block_per_row_33_128_kernelILi1024ELi64ELi2ELi32ELi2E21rocsparse_complex_numIfEEEv20rocsparse_direction_ii21rocsparse_index_base_PKT4_PKiS9_iiS4_PS5_PiSB_
		.amdhsa_group_segment_fixed_size 0
		.amdhsa_private_segment_fixed_size 0
		.amdhsa_kernarg_size 80
		.amdhsa_user_sgpr_count 6
		.amdhsa_user_sgpr_private_segment_buffer 1
		.amdhsa_user_sgpr_dispatch_ptr 0
		.amdhsa_user_sgpr_queue_ptr 0
		.amdhsa_user_sgpr_kernarg_segment_ptr 1
		.amdhsa_user_sgpr_dispatch_id 0
		.amdhsa_user_sgpr_flat_scratch_init 0
		.amdhsa_user_sgpr_kernarg_preload_length 0
		.amdhsa_user_sgpr_kernarg_preload_offset 0
		.amdhsa_user_sgpr_private_segment_size 0
		.amdhsa_uses_dynamic_stack 0
		.amdhsa_system_sgpr_private_segment_wavefront_offset 0
		.amdhsa_system_sgpr_workgroup_id_x 1
		.amdhsa_system_sgpr_workgroup_id_y 0
		.amdhsa_system_sgpr_workgroup_id_z 0
		.amdhsa_system_sgpr_workgroup_info 0
		.amdhsa_system_vgpr_workitem_id 0
		.amdhsa_next_free_vgpr 15
		.amdhsa_next_free_sgpr 29
		.amdhsa_accum_offset 16
		.amdhsa_reserve_vcc 1
		.amdhsa_reserve_flat_scratch 0
		.amdhsa_float_round_mode_32 0
		.amdhsa_float_round_mode_16_64 0
		.amdhsa_float_denorm_mode_32 3
		.amdhsa_float_denorm_mode_16_64 3
		.amdhsa_dx10_clamp 1
		.amdhsa_ieee_mode 1
		.amdhsa_fp16_overflow 0
		.amdhsa_tg_split 0
		.amdhsa_exception_fp_ieee_invalid_op 0
		.amdhsa_exception_fp_denorm_src 0
		.amdhsa_exception_fp_ieee_div_zero 0
		.amdhsa_exception_fp_ieee_overflow 0
		.amdhsa_exception_fp_ieee_underflow 0
		.amdhsa_exception_fp_ieee_inexact 0
		.amdhsa_exception_int_div_zero 0
	.end_amdhsa_kernel
	.section	.text._ZN9rocsparseL37gebsr2csr_block_per_row_33_128_kernelILi1024ELi64ELi2ELi32ELi2E21rocsparse_complex_numIfEEEv20rocsparse_direction_ii21rocsparse_index_base_PKT4_PKiS9_iiS4_PS5_PiSB_,"axG",@progbits,_ZN9rocsparseL37gebsr2csr_block_per_row_33_128_kernelILi1024ELi64ELi2ELi32ELi2E21rocsparse_complex_numIfEEEv20rocsparse_direction_ii21rocsparse_index_base_PKT4_PKiS9_iiS4_PS5_PiSB_,comdat
.Lfunc_end133:
	.size	_ZN9rocsparseL37gebsr2csr_block_per_row_33_128_kernelILi1024ELi64ELi2ELi32ELi2E21rocsparse_complex_numIfEEEv20rocsparse_direction_ii21rocsparse_index_base_PKT4_PKiS9_iiS4_PS5_PiSB_, .Lfunc_end133-_ZN9rocsparseL37gebsr2csr_block_per_row_33_128_kernelILi1024ELi64ELi2ELi32ELi2E21rocsparse_complex_numIfEEEv20rocsparse_direction_ii21rocsparse_index_base_PKT4_PKiS9_iiS4_PS5_PiSB_
                                        ; -- End function
	.section	.AMDGPU.csdata,"",@progbits
; Kernel info:
; codeLenInByte = 848
; NumSgprs: 33
; NumVgprs: 15
; NumAgprs: 0
; TotalNumVgprs: 15
; ScratchSize: 0
; MemoryBound: 0
; FloatMode: 240
; IeeeMode: 1
; LDSByteSize: 0 bytes/workgroup (compile time only)
; SGPRBlocks: 4
; VGPRBlocks: 1
; NumSGPRsForWavesPerEU: 33
; NumVGPRsForWavesPerEU: 15
; AccumOffset: 16
; Occupancy: 8
; WaveLimiterHint : 1
; COMPUTE_PGM_RSRC2:SCRATCH_EN: 0
; COMPUTE_PGM_RSRC2:USER_SGPR: 6
; COMPUTE_PGM_RSRC2:TRAP_HANDLER: 0
; COMPUTE_PGM_RSRC2:TGID_X_EN: 1
; COMPUTE_PGM_RSRC2:TGID_Y_EN: 0
; COMPUTE_PGM_RSRC2:TGID_Z_EN: 0
; COMPUTE_PGM_RSRC2:TIDIG_COMP_CNT: 0
; COMPUTE_PGM_RSRC3_GFX90A:ACCUM_OFFSET: 3
; COMPUTE_PGM_RSRC3_GFX90A:TG_SPLIT: 0
	.section	.text._ZN9rocsparseL37gebsr2csr_block_per_row_33_128_kernelILi1024ELi64ELi4ELi32ELi4E21rocsparse_complex_numIfEEEv20rocsparse_direction_ii21rocsparse_index_base_PKT4_PKiS9_iiS4_PS5_PiSB_,"axG",@progbits,_ZN9rocsparseL37gebsr2csr_block_per_row_33_128_kernelILi1024ELi64ELi4ELi32ELi4E21rocsparse_complex_numIfEEEv20rocsparse_direction_ii21rocsparse_index_base_PKT4_PKiS9_iiS4_PS5_PiSB_,comdat
	.globl	_ZN9rocsparseL37gebsr2csr_block_per_row_33_128_kernelILi1024ELi64ELi4ELi32ELi4E21rocsparse_complex_numIfEEEv20rocsparse_direction_ii21rocsparse_index_base_PKT4_PKiS9_iiS4_PS5_PiSB_ ; -- Begin function _ZN9rocsparseL37gebsr2csr_block_per_row_33_128_kernelILi1024ELi64ELi4ELi32ELi4E21rocsparse_complex_numIfEEEv20rocsparse_direction_ii21rocsparse_index_base_PKT4_PKiS9_iiS4_PS5_PiSB_
	.p2align	8
	.type	_ZN9rocsparseL37gebsr2csr_block_per_row_33_128_kernelILi1024ELi64ELi4ELi32ELi4E21rocsparse_complex_numIfEEEv20rocsparse_direction_ii21rocsparse_index_base_PKT4_PKiS9_iiS4_PS5_PiSB_,@function
_ZN9rocsparseL37gebsr2csr_block_per_row_33_128_kernelILi1024ELi64ELi4ELi32ELi4E21rocsparse_complex_numIfEEEv20rocsparse_direction_ii21rocsparse_index_base_PKT4_PKiS9_iiS4_PS5_PiSB_: ; @_ZN9rocsparseL37gebsr2csr_block_per_row_33_128_kernelILi1024ELi64ELi4ELi32ELi4E21rocsparse_complex_numIfEEEv20rocsparse_direction_ii21rocsparse_index_base_PKT4_PKiS9_iiS4_PS5_PiSB_
; %bb.0:
	s_load_dwordx2 s[0:1], s[4:5], 0x18
	s_load_dwordx4 s[8:11], s[4:5], 0x28
	s_load_dwordx2 s[14:15], s[4:5], 0x40
	s_ashr_i32 s7, s6, 31
	s_lshl_b64 s[2:3], s[6:7], 2
	s_waitcnt lgkmcnt(0)
	s_add_u32 s0, s0, s2
	s_addc_u32 s1, s1, s3
	s_load_dwordx2 s[18:19], s[0:1], 0x0
	v_or_b32_e32 v1, s6, v0
	v_cmp_eq_u32_e32 vcc, 0, v1
	s_and_saveexec_b64 s[0:1], vcc
	s_cbranch_execz .LBB134_2
; %bb.1:
	v_mov_b32_e32 v1, 0
	v_mov_b32_e32 v2, s10
	global_store_dword v1, v2, s[14:15]
.LBB134_2:
	s_or_b64 exec, exec, s[0:1]
	s_load_dword s20, s[4:5], 0xc
	v_lshrrev_b32_e32 v4, 2, v0
	s_mul_i32 s16, s6, s8
	s_waitcnt lgkmcnt(0)
	s_sub_i32 s12, s18, s20
	s_sub_i32 s21, s19, s20
	s_mul_i32 s11, s12, s9
	s_sub_i32 s13, s21, s12
	s_mul_i32 s0, s11, s8
	s_mul_i32 s17, s13, s9
	s_add_i32 s22, s0, s10
	s_add_i32 s22, s22, s17
	v_cmp_gt_i32_e64 s[0:1], s8, v4
	s_and_saveexec_b64 s[2:3], s[0:1]
	s_cbranch_execz .LBB134_4
; %bb.3:
	v_add_u32_e32 v2, s16, v4
	v_ashrrev_i32_e32 v3, 31, v2
	v_lshlrev_b64 v[2:3], 2, v[2:3]
	v_mul_lo_u32 v1, v4, s17
	v_mov_b32_e32 v5, s15
	v_add_co_u32_e32 v2, vcc, s14, v2
	v_add_u32_e32 v1, s22, v1
	v_addc_co_u32_e32 v3, vcc, v5, v3, vcc
	global_store_dword v[2:3], v1, off offset:4
.LBB134_4:
	s_or_b64 exec, exec, s[2:3]
	v_add_u32_e32 v1, 32, v4
	v_cmp_gt_i32_e64 s[2:3], s8, v1
	s_and_saveexec_b64 s[6:7], s[2:3]
	s_cbranch_execz .LBB134_6
; %bb.5:
	s_add_u32 s14, s14, 4
	s_addc_u32 s15, s15, 0
	v_mul_lo_u32 v1, v1, s17
	s_ashr_i32 s17, s16, 31
	v_mov_b32_e32 v3, s17
	v_add_co_u32_e32 v2, vcc, s16, v4
	v_addc_co_u32_e32 v3, vcc, 0, v3, vcc
	v_lshlrev_b64 v[2:3], 2, v[2:3]
	v_mov_b32_e32 v5, s15
	v_add_co_u32_e32 v2, vcc, s14, v2
	v_add_u32_e32 v1, s22, v1
	v_addc_co_u32_e32 v3, vcc, v5, v3, vcc
	global_store_dword v[2:3], v1, off offset:128
.LBB134_6:
	s_or_b64 exec, exec, s[6:7]
	s_cmp_lt_i32 s18, s19
	s_cbranch_scc0 .LBB134_13
; %bb.7:
	s_load_dwordx2 s[24:25], s[4:5], 0x20
	s_load_dwordx2 s[6:7], s[4:5], 0x38
	;; [unrolled: 1-line block ×4, first 2 shown]
	s_load_dword s26, s[4:5], 0x0
	v_and_b32_e32 v0, 3, v0
	s_mul_i32 s28, s8, s12
	v_add_u32_e32 v5, s28, v4
	v_add_u32_e32 v2, s11, v0
	;; [unrolled: 1-line block ×3, first 2 shown]
	v_mad_u64_u32 v[2:3], s[10:11], s8, v2, v[4:5]
	v_cmp_gt_i32_e64 s[4:5], s9, v0
	s_waitcnt lgkmcnt(0)
	s_cmp_eq_u32 s26, 0
	v_mul_lo_u32 v3, v4, s13
	v_add_u32_e32 v4, 32, v5
	v_mad_u64_u32 v[6:7], s[26:27], s9, v5, v[0:1]
	s_cselect_b64 vcc, -1, 0
	s_and_b64 s[10:11], s[4:5], s[0:1]
	v_mad_u64_u32 v[4:5], s[0:1], s9, v4, v[0:1]
	v_add_u32_e32 v5, s28, v3
	v_lshl_add_u32 v3, s19, 5, v5
	s_lshl_b32 s0, s18, 5
	s_ashr_i32 s13, s12, 31
	s_and_b64 s[2:3], s[4:5], s[2:3]
	v_subrev_u32_e32 v3, s0, v3
	s_lshl_b64 s[0:1], s[12:13], 2
	s_add_u32 s4, s24, s0
	s_mul_i32 s22, s9, s8
	s_mov_b32 s23, 0
	v_mul_lo_u32 v3, s9, v3
	v_mul_lo_u32 v5, s9, v5
	s_addc_u32 s5, s25, s1
	v_cndmask_b32_e32 v6, v2, v6, vcc
	s_branch .LBB134_9
.LBB134_8:                              ;   in Loop: Header=BB134_9 Depth=1
	s_or_b64 exec, exec, s[18:19]
	s_add_i32 s12, s12, 1
	s_add_i32 s23, s23, s22
	s_add_u32 s4, s4, 4
	s_addc_u32 s5, s5, 0
	s_cmp_ge_i32 s12, s21
	v_add_u32_e32 v0, s9, v0
	s_cbranch_scc1 .LBB134_13
.LBB134_9:                              ; =>This Inner Loop Header: Depth=1
	s_load_dword s0, s[4:5], 0x0
	s_waitcnt lgkmcnt(0)
	s_sub_i32 s0, s0, s20
	s_mul_i32 s0, s0, s9
	v_add_u32_e32 v7, s0, v1
	s_and_saveexec_b64 s[18:19], s[10:11]
	s_cbranch_execz .LBB134_11
; %bb.10:                               ;   in Loop: Header=BB134_9 Depth=1
	v_add_u32_e32 v8, s23, v6
	v_ashrrev_i32_e32 v9, 31, v8
	v_lshlrev_b64 v[8:9], 3, v[8:9]
	v_mov_b32_e32 v10, s17
	v_add_co_u32_e64 v8, s[0:1], s16, v8
	v_addc_co_u32_e64 v9, s[0:1], v10, v9, s[0:1]
	global_load_dwordx2 v[8:9], v[8:9], off
	v_add_u32_e32 v10, v5, v0
	v_ashrrev_i32_e32 v11, 31, v10
	v_lshlrev_b64 v[12:13], 2, v[10:11]
	v_mov_b32_e32 v14, s15
	v_add_co_u32_e64 v12, s[0:1], s14, v12
	v_addc_co_u32_e64 v13, s[0:1], v14, v13, s[0:1]
	v_lshlrev_b64 v[10:11], 3, v[10:11]
	global_store_dword v[12:13], v7, off
	v_mov_b32_e32 v12, s7
	v_add_co_u32_e64 v10, s[0:1], s6, v10
	v_addc_co_u32_e64 v11, s[0:1], v12, v11, s[0:1]
	s_waitcnt vmcnt(1)
	global_store_dwordx2 v[10:11], v[8:9], off
.LBB134_11:                             ;   in Loop: Header=BB134_9 Depth=1
	s_or_b64 exec, exec, s[18:19]
	s_and_saveexec_b64 s[18:19], s[2:3]
	s_cbranch_execz .LBB134_8
; %bb.12:                               ;   in Loop: Header=BB134_9 Depth=1
	v_add_u32_e32 v8, s23, v4
	v_add3_u32 v9, v2, s23, 32
	v_cndmask_b32_e32 v8, v9, v8, vcc
	v_ashrrev_i32_e32 v9, 31, v8
	v_lshlrev_b64 v[8:9], 3, v[8:9]
	v_mov_b32_e32 v10, s17
	v_add_co_u32_e64 v8, s[0:1], s16, v8
	v_addc_co_u32_e64 v9, s[0:1], v10, v9, s[0:1]
	global_load_dwordx2 v[8:9], v[8:9], off
	v_add_u32_e32 v10, v3, v0
	v_ashrrev_i32_e32 v11, 31, v10
	v_lshlrev_b64 v[12:13], 2, v[10:11]
	v_mov_b32_e32 v14, s15
	v_add_co_u32_e64 v12, s[0:1], s14, v12
	v_addc_co_u32_e64 v13, s[0:1], v14, v13, s[0:1]
	v_lshlrev_b64 v[10:11], 3, v[10:11]
	global_store_dword v[12:13], v7, off
	v_mov_b32_e32 v7, s7
	v_add_co_u32_e64 v10, s[0:1], s6, v10
	v_addc_co_u32_e64 v11, s[0:1], v7, v11, s[0:1]
	s_waitcnt vmcnt(1)
	global_store_dwordx2 v[10:11], v[8:9], off
	s_branch .LBB134_8
.LBB134_13:
	s_endpgm
	.section	.rodata,"a",@progbits
	.p2align	6, 0x0
	.amdhsa_kernel _ZN9rocsparseL37gebsr2csr_block_per_row_33_128_kernelILi1024ELi64ELi4ELi32ELi4E21rocsparse_complex_numIfEEEv20rocsparse_direction_ii21rocsparse_index_base_PKT4_PKiS9_iiS4_PS5_PiSB_
		.amdhsa_group_segment_fixed_size 0
		.amdhsa_private_segment_fixed_size 0
		.amdhsa_kernarg_size 80
		.amdhsa_user_sgpr_count 6
		.amdhsa_user_sgpr_private_segment_buffer 1
		.amdhsa_user_sgpr_dispatch_ptr 0
		.amdhsa_user_sgpr_queue_ptr 0
		.amdhsa_user_sgpr_kernarg_segment_ptr 1
		.amdhsa_user_sgpr_dispatch_id 0
		.amdhsa_user_sgpr_flat_scratch_init 0
		.amdhsa_user_sgpr_kernarg_preload_length 0
		.amdhsa_user_sgpr_kernarg_preload_offset 0
		.amdhsa_user_sgpr_private_segment_size 0
		.amdhsa_uses_dynamic_stack 0
		.amdhsa_system_sgpr_private_segment_wavefront_offset 0
		.amdhsa_system_sgpr_workgroup_id_x 1
		.amdhsa_system_sgpr_workgroup_id_y 0
		.amdhsa_system_sgpr_workgroup_id_z 0
		.amdhsa_system_sgpr_workgroup_info 0
		.amdhsa_system_vgpr_workitem_id 0
		.amdhsa_next_free_vgpr 15
		.amdhsa_next_free_sgpr 29
		.amdhsa_accum_offset 16
		.amdhsa_reserve_vcc 1
		.amdhsa_reserve_flat_scratch 0
		.amdhsa_float_round_mode_32 0
		.amdhsa_float_round_mode_16_64 0
		.amdhsa_float_denorm_mode_32 3
		.amdhsa_float_denorm_mode_16_64 3
		.amdhsa_dx10_clamp 1
		.amdhsa_ieee_mode 1
		.amdhsa_fp16_overflow 0
		.amdhsa_tg_split 0
		.amdhsa_exception_fp_ieee_invalid_op 0
		.amdhsa_exception_fp_denorm_src 0
		.amdhsa_exception_fp_ieee_div_zero 0
		.amdhsa_exception_fp_ieee_overflow 0
		.amdhsa_exception_fp_ieee_underflow 0
		.amdhsa_exception_fp_ieee_inexact 0
		.amdhsa_exception_int_div_zero 0
	.end_amdhsa_kernel
	.section	.text._ZN9rocsparseL37gebsr2csr_block_per_row_33_128_kernelILi1024ELi64ELi4ELi32ELi4E21rocsparse_complex_numIfEEEv20rocsparse_direction_ii21rocsparse_index_base_PKT4_PKiS9_iiS4_PS5_PiSB_,"axG",@progbits,_ZN9rocsparseL37gebsr2csr_block_per_row_33_128_kernelILi1024ELi64ELi4ELi32ELi4E21rocsparse_complex_numIfEEEv20rocsparse_direction_ii21rocsparse_index_base_PKT4_PKiS9_iiS4_PS5_PiSB_,comdat
.Lfunc_end134:
	.size	_ZN9rocsparseL37gebsr2csr_block_per_row_33_128_kernelILi1024ELi64ELi4ELi32ELi4E21rocsparse_complex_numIfEEEv20rocsparse_direction_ii21rocsparse_index_base_PKT4_PKiS9_iiS4_PS5_PiSB_, .Lfunc_end134-_ZN9rocsparseL37gebsr2csr_block_per_row_33_128_kernelILi1024ELi64ELi4ELi32ELi4E21rocsparse_complex_numIfEEEv20rocsparse_direction_ii21rocsparse_index_base_PKT4_PKiS9_iiS4_PS5_PiSB_
                                        ; -- End function
	.section	.AMDGPU.csdata,"",@progbits
; Kernel info:
; codeLenInByte = 848
; NumSgprs: 33
; NumVgprs: 15
; NumAgprs: 0
; TotalNumVgprs: 15
; ScratchSize: 0
; MemoryBound: 0
; FloatMode: 240
; IeeeMode: 1
; LDSByteSize: 0 bytes/workgroup (compile time only)
; SGPRBlocks: 4
; VGPRBlocks: 1
; NumSGPRsForWavesPerEU: 33
; NumVGPRsForWavesPerEU: 15
; AccumOffset: 16
; Occupancy: 8
; WaveLimiterHint : 1
; COMPUTE_PGM_RSRC2:SCRATCH_EN: 0
; COMPUTE_PGM_RSRC2:USER_SGPR: 6
; COMPUTE_PGM_RSRC2:TRAP_HANDLER: 0
; COMPUTE_PGM_RSRC2:TGID_X_EN: 1
; COMPUTE_PGM_RSRC2:TGID_Y_EN: 0
; COMPUTE_PGM_RSRC2:TGID_Z_EN: 0
; COMPUTE_PGM_RSRC2:TIDIG_COMP_CNT: 0
; COMPUTE_PGM_RSRC3_GFX90A:ACCUM_OFFSET: 3
; COMPUTE_PGM_RSRC3_GFX90A:TG_SPLIT: 0
	.section	.text._ZN9rocsparseL37gebsr2csr_block_per_row_33_128_kernelILi1024ELi64ELi8ELi32ELi8E21rocsparse_complex_numIfEEEv20rocsparse_direction_ii21rocsparse_index_base_PKT4_PKiS9_iiS4_PS5_PiSB_,"axG",@progbits,_ZN9rocsparseL37gebsr2csr_block_per_row_33_128_kernelILi1024ELi64ELi8ELi32ELi8E21rocsparse_complex_numIfEEEv20rocsparse_direction_ii21rocsparse_index_base_PKT4_PKiS9_iiS4_PS5_PiSB_,comdat
	.globl	_ZN9rocsparseL37gebsr2csr_block_per_row_33_128_kernelILi1024ELi64ELi8ELi32ELi8E21rocsparse_complex_numIfEEEv20rocsparse_direction_ii21rocsparse_index_base_PKT4_PKiS9_iiS4_PS5_PiSB_ ; -- Begin function _ZN9rocsparseL37gebsr2csr_block_per_row_33_128_kernelILi1024ELi64ELi8ELi32ELi8E21rocsparse_complex_numIfEEEv20rocsparse_direction_ii21rocsparse_index_base_PKT4_PKiS9_iiS4_PS5_PiSB_
	.p2align	8
	.type	_ZN9rocsparseL37gebsr2csr_block_per_row_33_128_kernelILi1024ELi64ELi8ELi32ELi8E21rocsparse_complex_numIfEEEv20rocsparse_direction_ii21rocsparse_index_base_PKT4_PKiS9_iiS4_PS5_PiSB_,@function
_ZN9rocsparseL37gebsr2csr_block_per_row_33_128_kernelILi1024ELi64ELi8ELi32ELi8E21rocsparse_complex_numIfEEEv20rocsparse_direction_ii21rocsparse_index_base_PKT4_PKiS9_iiS4_PS5_PiSB_: ; @_ZN9rocsparseL37gebsr2csr_block_per_row_33_128_kernelILi1024ELi64ELi8ELi32ELi8E21rocsparse_complex_numIfEEEv20rocsparse_direction_ii21rocsparse_index_base_PKT4_PKiS9_iiS4_PS5_PiSB_
; %bb.0:
	s_load_dwordx2 s[0:1], s[4:5], 0x18
	s_load_dwordx4 s[8:11], s[4:5], 0x28
	s_load_dwordx2 s[14:15], s[4:5], 0x40
	s_ashr_i32 s7, s6, 31
	s_lshl_b64 s[2:3], s[6:7], 2
	s_waitcnt lgkmcnt(0)
	s_add_u32 s0, s0, s2
	s_addc_u32 s1, s1, s3
	s_load_dwordx2 s[18:19], s[0:1], 0x0
	v_or_b32_e32 v1, s6, v0
	v_cmp_eq_u32_e32 vcc, 0, v1
	s_and_saveexec_b64 s[0:1], vcc
	s_cbranch_execz .LBB135_2
; %bb.1:
	v_mov_b32_e32 v1, 0
	v_mov_b32_e32 v2, s10
	global_store_dword v1, v2, s[14:15]
.LBB135_2:
	s_or_b64 exec, exec, s[0:1]
	s_load_dword s20, s[4:5], 0xc
	v_lshrrev_b32_e32 v4, 3, v0
	s_mul_i32 s16, s6, s8
	s_waitcnt lgkmcnt(0)
	s_sub_i32 s12, s18, s20
	s_sub_i32 s21, s19, s20
	s_mul_i32 s11, s12, s9
	s_sub_i32 s13, s21, s12
	s_mul_i32 s0, s11, s8
	s_mul_i32 s17, s13, s9
	s_add_i32 s22, s0, s10
	s_add_i32 s22, s22, s17
	v_cmp_gt_i32_e64 s[0:1], s8, v4
	s_and_saveexec_b64 s[2:3], s[0:1]
	s_cbranch_execz .LBB135_4
; %bb.3:
	v_add_u32_e32 v2, s16, v4
	v_ashrrev_i32_e32 v3, 31, v2
	v_lshlrev_b64 v[2:3], 2, v[2:3]
	v_mul_lo_u32 v1, v4, s17
	v_mov_b32_e32 v5, s15
	v_add_co_u32_e32 v2, vcc, s14, v2
	v_add_u32_e32 v1, s22, v1
	v_addc_co_u32_e32 v3, vcc, v5, v3, vcc
	global_store_dword v[2:3], v1, off offset:4
.LBB135_4:
	s_or_b64 exec, exec, s[2:3]
	v_add_u32_e32 v1, 32, v4
	v_cmp_gt_i32_e64 s[2:3], s8, v1
	s_and_saveexec_b64 s[6:7], s[2:3]
	s_cbranch_execz .LBB135_6
; %bb.5:
	s_add_u32 s14, s14, 4
	s_addc_u32 s15, s15, 0
	v_mul_lo_u32 v1, v1, s17
	s_ashr_i32 s17, s16, 31
	v_mov_b32_e32 v3, s17
	v_add_co_u32_e32 v2, vcc, s16, v4
	v_addc_co_u32_e32 v3, vcc, 0, v3, vcc
	v_lshlrev_b64 v[2:3], 2, v[2:3]
	v_mov_b32_e32 v5, s15
	v_add_co_u32_e32 v2, vcc, s14, v2
	v_add_u32_e32 v1, s22, v1
	v_addc_co_u32_e32 v3, vcc, v5, v3, vcc
	global_store_dword v[2:3], v1, off offset:128
.LBB135_6:
	s_or_b64 exec, exec, s[6:7]
	s_cmp_lt_i32 s18, s19
	s_cbranch_scc0 .LBB135_13
; %bb.7:
	s_load_dwordx2 s[24:25], s[4:5], 0x20
	s_load_dwordx2 s[6:7], s[4:5], 0x38
	;; [unrolled: 1-line block ×4, first 2 shown]
	s_load_dword s26, s[4:5], 0x0
	v_and_b32_e32 v0, 7, v0
	s_mul_i32 s28, s8, s12
	v_add_u32_e32 v5, s28, v4
	v_add_u32_e32 v2, s11, v0
	;; [unrolled: 1-line block ×3, first 2 shown]
	v_mad_u64_u32 v[2:3], s[10:11], s8, v2, v[4:5]
	v_cmp_gt_i32_e64 s[4:5], s9, v0
	s_waitcnt lgkmcnt(0)
	s_cmp_eq_u32 s26, 0
	v_mul_lo_u32 v3, v4, s13
	v_add_u32_e32 v4, 32, v5
	v_mad_u64_u32 v[6:7], s[26:27], s9, v5, v[0:1]
	s_cselect_b64 vcc, -1, 0
	s_and_b64 s[10:11], s[4:5], s[0:1]
	v_mad_u64_u32 v[4:5], s[0:1], s9, v4, v[0:1]
	v_add_u32_e32 v5, s28, v3
	v_lshl_add_u32 v3, s19, 5, v5
	s_lshl_b32 s0, s18, 5
	s_ashr_i32 s13, s12, 31
	s_and_b64 s[2:3], s[4:5], s[2:3]
	v_subrev_u32_e32 v3, s0, v3
	s_lshl_b64 s[0:1], s[12:13], 2
	s_add_u32 s4, s24, s0
	s_mul_i32 s22, s9, s8
	s_mov_b32 s23, 0
	v_mul_lo_u32 v3, s9, v3
	v_mul_lo_u32 v5, s9, v5
	s_addc_u32 s5, s25, s1
	v_cndmask_b32_e32 v6, v2, v6, vcc
	s_branch .LBB135_9
.LBB135_8:                              ;   in Loop: Header=BB135_9 Depth=1
	s_or_b64 exec, exec, s[18:19]
	s_add_i32 s12, s12, 1
	s_add_i32 s23, s23, s22
	s_add_u32 s4, s4, 4
	s_addc_u32 s5, s5, 0
	s_cmp_ge_i32 s12, s21
	v_add_u32_e32 v0, s9, v0
	s_cbranch_scc1 .LBB135_13
.LBB135_9:                              ; =>This Inner Loop Header: Depth=1
	s_load_dword s0, s[4:5], 0x0
	s_waitcnt lgkmcnt(0)
	s_sub_i32 s0, s0, s20
	s_mul_i32 s0, s0, s9
	v_add_u32_e32 v7, s0, v1
	s_and_saveexec_b64 s[18:19], s[10:11]
	s_cbranch_execz .LBB135_11
; %bb.10:                               ;   in Loop: Header=BB135_9 Depth=1
	v_add_u32_e32 v8, s23, v6
	v_ashrrev_i32_e32 v9, 31, v8
	v_lshlrev_b64 v[8:9], 3, v[8:9]
	v_mov_b32_e32 v10, s17
	v_add_co_u32_e64 v8, s[0:1], s16, v8
	v_addc_co_u32_e64 v9, s[0:1], v10, v9, s[0:1]
	global_load_dwordx2 v[8:9], v[8:9], off
	v_add_u32_e32 v10, v5, v0
	v_ashrrev_i32_e32 v11, 31, v10
	v_lshlrev_b64 v[12:13], 2, v[10:11]
	v_mov_b32_e32 v14, s15
	v_add_co_u32_e64 v12, s[0:1], s14, v12
	v_addc_co_u32_e64 v13, s[0:1], v14, v13, s[0:1]
	v_lshlrev_b64 v[10:11], 3, v[10:11]
	global_store_dword v[12:13], v7, off
	v_mov_b32_e32 v12, s7
	v_add_co_u32_e64 v10, s[0:1], s6, v10
	v_addc_co_u32_e64 v11, s[0:1], v12, v11, s[0:1]
	s_waitcnt vmcnt(1)
	global_store_dwordx2 v[10:11], v[8:9], off
.LBB135_11:                             ;   in Loop: Header=BB135_9 Depth=1
	s_or_b64 exec, exec, s[18:19]
	s_and_saveexec_b64 s[18:19], s[2:3]
	s_cbranch_execz .LBB135_8
; %bb.12:                               ;   in Loop: Header=BB135_9 Depth=1
	v_add_u32_e32 v8, s23, v4
	v_add3_u32 v9, v2, s23, 32
	v_cndmask_b32_e32 v8, v9, v8, vcc
	v_ashrrev_i32_e32 v9, 31, v8
	v_lshlrev_b64 v[8:9], 3, v[8:9]
	v_mov_b32_e32 v10, s17
	v_add_co_u32_e64 v8, s[0:1], s16, v8
	v_addc_co_u32_e64 v9, s[0:1], v10, v9, s[0:1]
	global_load_dwordx2 v[8:9], v[8:9], off
	v_add_u32_e32 v10, v3, v0
	v_ashrrev_i32_e32 v11, 31, v10
	v_lshlrev_b64 v[12:13], 2, v[10:11]
	v_mov_b32_e32 v14, s15
	v_add_co_u32_e64 v12, s[0:1], s14, v12
	v_addc_co_u32_e64 v13, s[0:1], v14, v13, s[0:1]
	v_lshlrev_b64 v[10:11], 3, v[10:11]
	global_store_dword v[12:13], v7, off
	v_mov_b32_e32 v7, s7
	v_add_co_u32_e64 v10, s[0:1], s6, v10
	v_addc_co_u32_e64 v11, s[0:1], v7, v11, s[0:1]
	s_waitcnt vmcnt(1)
	global_store_dwordx2 v[10:11], v[8:9], off
	s_branch .LBB135_8
.LBB135_13:
	s_endpgm
	.section	.rodata,"a",@progbits
	.p2align	6, 0x0
	.amdhsa_kernel _ZN9rocsparseL37gebsr2csr_block_per_row_33_128_kernelILi1024ELi64ELi8ELi32ELi8E21rocsparse_complex_numIfEEEv20rocsparse_direction_ii21rocsparse_index_base_PKT4_PKiS9_iiS4_PS5_PiSB_
		.amdhsa_group_segment_fixed_size 0
		.amdhsa_private_segment_fixed_size 0
		.amdhsa_kernarg_size 80
		.amdhsa_user_sgpr_count 6
		.amdhsa_user_sgpr_private_segment_buffer 1
		.amdhsa_user_sgpr_dispatch_ptr 0
		.amdhsa_user_sgpr_queue_ptr 0
		.amdhsa_user_sgpr_kernarg_segment_ptr 1
		.amdhsa_user_sgpr_dispatch_id 0
		.amdhsa_user_sgpr_flat_scratch_init 0
		.amdhsa_user_sgpr_kernarg_preload_length 0
		.amdhsa_user_sgpr_kernarg_preload_offset 0
		.amdhsa_user_sgpr_private_segment_size 0
		.amdhsa_uses_dynamic_stack 0
		.amdhsa_system_sgpr_private_segment_wavefront_offset 0
		.amdhsa_system_sgpr_workgroup_id_x 1
		.amdhsa_system_sgpr_workgroup_id_y 0
		.amdhsa_system_sgpr_workgroup_id_z 0
		.amdhsa_system_sgpr_workgroup_info 0
		.amdhsa_system_vgpr_workitem_id 0
		.amdhsa_next_free_vgpr 15
		.amdhsa_next_free_sgpr 29
		.amdhsa_accum_offset 16
		.amdhsa_reserve_vcc 1
		.amdhsa_reserve_flat_scratch 0
		.amdhsa_float_round_mode_32 0
		.amdhsa_float_round_mode_16_64 0
		.amdhsa_float_denorm_mode_32 3
		.amdhsa_float_denorm_mode_16_64 3
		.amdhsa_dx10_clamp 1
		.amdhsa_ieee_mode 1
		.amdhsa_fp16_overflow 0
		.amdhsa_tg_split 0
		.amdhsa_exception_fp_ieee_invalid_op 0
		.amdhsa_exception_fp_denorm_src 0
		.amdhsa_exception_fp_ieee_div_zero 0
		.amdhsa_exception_fp_ieee_overflow 0
		.amdhsa_exception_fp_ieee_underflow 0
		.amdhsa_exception_fp_ieee_inexact 0
		.amdhsa_exception_int_div_zero 0
	.end_amdhsa_kernel
	.section	.text._ZN9rocsparseL37gebsr2csr_block_per_row_33_128_kernelILi1024ELi64ELi8ELi32ELi8E21rocsparse_complex_numIfEEEv20rocsparse_direction_ii21rocsparse_index_base_PKT4_PKiS9_iiS4_PS5_PiSB_,"axG",@progbits,_ZN9rocsparseL37gebsr2csr_block_per_row_33_128_kernelILi1024ELi64ELi8ELi32ELi8E21rocsparse_complex_numIfEEEv20rocsparse_direction_ii21rocsparse_index_base_PKT4_PKiS9_iiS4_PS5_PiSB_,comdat
.Lfunc_end135:
	.size	_ZN9rocsparseL37gebsr2csr_block_per_row_33_128_kernelILi1024ELi64ELi8ELi32ELi8E21rocsparse_complex_numIfEEEv20rocsparse_direction_ii21rocsparse_index_base_PKT4_PKiS9_iiS4_PS5_PiSB_, .Lfunc_end135-_ZN9rocsparseL37gebsr2csr_block_per_row_33_128_kernelILi1024ELi64ELi8ELi32ELi8E21rocsparse_complex_numIfEEEv20rocsparse_direction_ii21rocsparse_index_base_PKT4_PKiS9_iiS4_PS5_PiSB_
                                        ; -- End function
	.section	.AMDGPU.csdata,"",@progbits
; Kernel info:
; codeLenInByte = 848
; NumSgprs: 33
; NumVgprs: 15
; NumAgprs: 0
; TotalNumVgprs: 15
; ScratchSize: 0
; MemoryBound: 0
; FloatMode: 240
; IeeeMode: 1
; LDSByteSize: 0 bytes/workgroup (compile time only)
; SGPRBlocks: 4
; VGPRBlocks: 1
; NumSGPRsForWavesPerEU: 33
; NumVGPRsForWavesPerEU: 15
; AccumOffset: 16
; Occupancy: 8
; WaveLimiterHint : 1
; COMPUTE_PGM_RSRC2:SCRATCH_EN: 0
; COMPUTE_PGM_RSRC2:USER_SGPR: 6
; COMPUTE_PGM_RSRC2:TRAP_HANDLER: 0
; COMPUTE_PGM_RSRC2:TGID_X_EN: 1
; COMPUTE_PGM_RSRC2:TGID_Y_EN: 0
; COMPUTE_PGM_RSRC2:TGID_Z_EN: 0
; COMPUTE_PGM_RSRC2:TIDIG_COMP_CNT: 0
; COMPUTE_PGM_RSRC3_GFX90A:ACCUM_OFFSET: 3
; COMPUTE_PGM_RSRC3_GFX90A:TG_SPLIT: 0
	.section	.text._ZN9rocsparseL37gebsr2csr_block_per_row_33_128_kernelILi1024ELi64ELi16ELi32ELi16E21rocsparse_complex_numIfEEEv20rocsparse_direction_ii21rocsparse_index_base_PKT4_PKiS9_iiS4_PS5_PiSB_,"axG",@progbits,_ZN9rocsparseL37gebsr2csr_block_per_row_33_128_kernelILi1024ELi64ELi16ELi32ELi16E21rocsparse_complex_numIfEEEv20rocsparse_direction_ii21rocsparse_index_base_PKT4_PKiS9_iiS4_PS5_PiSB_,comdat
	.globl	_ZN9rocsparseL37gebsr2csr_block_per_row_33_128_kernelILi1024ELi64ELi16ELi32ELi16E21rocsparse_complex_numIfEEEv20rocsparse_direction_ii21rocsparse_index_base_PKT4_PKiS9_iiS4_PS5_PiSB_ ; -- Begin function _ZN9rocsparseL37gebsr2csr_block_per_row_33_128_kernelILi1024ELi64ELi16ELi32ELi16E21rocsparse_complex_numIfEEEv20rocsparse_direction_ii21rocsparse_index_base_PKT4_PKiS9_iiS4_PS5_PiSB_
	.p2align	8
	.type	_ZN9rocsparseL37gebsr2csr_block_per_row_33_128_kernelILi1024ELi64ELi16ELi32ELi16E21rocsparse_complex_numIfEEEv20rocsparse_direction_ii21rocsparse_index_base_PKT4_PKiS9_iiS4_PS5_PiSB_,@function
_ZN9rocsparseL37gebsr2csr_block_per_row_33_128_kernelILi1024ELi64ELi16ELi32ELi16E21rocsparse_complex_numIfEEEv20rocsparse_direction_ii21rocsparse_index_base_PKT4_PKiS9_iiS4_PS5_PiSB_: ; @_ZN9rocsparseL37gebsr2csr_block_per_row_33_128_kernelILi1024ELi64ELi16ELi32ELi16E21rocsparse_complex_numIfEEEv20rocsparse_direction_ii21rocsparse_index_base_PKT4_PKiS9_iiS4_PS5_PiSB_
; %bb.0:
	s_load_dwordx2 s[0:1], s[4:5], 0x18
	s_load_dwordx4 s[8:11], s[4:5], 0x28
	s_load_dwordx2 s[14:15], s[4:5], 0x40
	s_ashr_i32 s7, s6, 31
	s_lshl_b64 s[2:3], s[6:7], 2
	s_waitcnt lgkmcnt(0)
	s_add_u32 s0, s0, s2
	s_addc_u32 s1, s1, s3
	s_load_dwordx2 s[18:19], s[0:1], 0x0
	v_or_b32_e32 v1, s6, v0
	v_cmp_eq_u32_e32 vcc, 0, v1
	s_and_saveexec_b64 s[0:1], vcc
	s_cbranch_execz .LBB136_2
; %bb.1:
	v_mov_b32_e32 v1, 0
	v_mov_b32_e32 v2, s10
	global_store_dword v1, v2, s[14:15]
.LBB136_2:
	s_or_b64 exec, exec, s[0:1]
	s_load_dword s20, s[4:5], 0xc
	v_lshrrev_b32_e32 v4, 4, v0
	s_mul_i32 s16, s6, s8
	s_waitcnt lgkmcnt(0)
	s_sub_i32 s12, s18, s20
	s_sub_i32 s21, s19, s20
	s_mul_i32 s11, s12, s9
	s_sub_i32 s13, s21, s12
	s_mul_i32 s0, s11, s8
	s_mul_i32 s17, s13, s9
	s_add_i32 s22, s0, s10
	s_add_i32 s22, s22, s17
	v_cmp_gt_i32_e64 s[0:1], s8, v4
	s_and_saveexec_b64 s[2:3], s[0:1]
	s_cbranch_execz .LBB136_4
; %bb.3:
	v_add_u32_e32 v2, s16, v4
	v_ashrrev_i32_e32 v3, 31, v2
	v_lshlrev_b64 v[2:3], 2, v[2:3]
	v_mul_lo_u32 v1, v4, s17
	v_mov_b32_e32 v5, s15
	v_add_co_u32_e32 v2, vcc, s14, v2
	v_add_u32_e32 v1, s22, v1
	v_addc_co_u32_e32 v3, vcc, v5, v3, vcc
	global_store_dword v[2:3], v1, off offset:4
.LBB136_4:
	s_or_b64 exec, exec, s[2:3]
	v_add_u32_e32 v1, 32, v4
	v_cmp_gt_i32_e64 s[2:3], s8, v1
	s_and_saveexec_b64 s[6:7], s[2:3]
	s_cbranch_execz .LBB136_6
; %bb.5:
	s_add_u32 s14, s14, 4
	s_addc_u32 s15, s15, 0
	v_mul_lo_u32 v1, v1, s17
	s_ashr_i32 s17, s16, 31
	v_mov_b32_e32 v3, s17
	v_add_co_u32_e32 v2, vcc, s16, v4
	v_addc_co_u32_e32 v3, vcc, 0, v3, vcc
	v_lshlrev_b64 v[2:3], 2, v[2:3]
	v_mov_b32_e32 v5, s15
	v_add_co_u32_e32 v2, vcc, s14, v2
	v_add_u32_e32 v1, s22, v1
	v_addc_co_u32_e32 v3, vcc, v5, v3, vcc
	global_store_dword v[2:3], v1, off offset:128
.LBB136_6:
	s_or_b64 exec, exec, s[6:7]
	s_cmp_lt_i32 s18, s19
	s_cbranch_scc0 .LBB136_13
; %bb.7:
	s_load_dwordx2 s[24:25], s[4:5], 0x20
	s_load_dwordx2 s[6:7], s[4:5], 0x38
	;; [unrolled: 1-line block ×4, first 2 shown]
	s_load_dword s26, s[4:5], 0x0
	v_and_b32_e32 v0, 15, v0
	s_mul_i32 s28, s8, s12
	v_add_u32_e32 v5, s28, v4
	v_add_u32_e32 v2, s11, v0
	;; [unrolled: 1-line block ×3, first 2 shown]
	v_mad_u64_u32 v[2:3], s[10:11], s8, v2, v[4:5]
	v_cmp_gt_i32_e64 s[4:5], s9, v0
	s_waitcnt lgkmcnt(0)
	s_cmp_eq_u32 s26, 0
	v_mul_lo_u32 v3, v4, s13
	v_add_u32_e32 v4, 32, v5
	v_mad_u64_u32 v[6:7], s[26:27], s9, v5, v[0:1]
	s_cselect_b64 vcc, -1, 0
	s_and_b64 s[10:11], s[4:5], s[0:1]
	v_mad_u64_u32 v[4:5], s[0:1], s9, v4, v[0:1]
	v_add_u32_e32 v5, s28, v3
	v_lshl_add_u32 v3, s19, 5, v5
	s_lshl_b32 s0, s18, 5
	s_ashr_i32 s13, s12, 31
	s_and_b64 s[2:3], s[4:5], s[2:3]
	v_subrev_u32_e32 v3, s0, v3
	s_lshl_b64 s[0:1], s[12:13], 2
	s_add_u32 s4, s24, s0
	s_mul_i32 s22, s9, s8
	s_mov_b32 s23, 0
	v_mul_lo_u32 v3, s9, v3
	v_mul_lo_u32 v5, s9, v5
	s_addc_u32 s5, s25, s1
	v_cndmask_b32_e32 v6, v2, v6, vcc
	s_branch .LBB136_9
.LBB136_8:                              ;   in Loop: Header=BB136_9 Depth=1
	s_or_b64 exec, exec, s[18:19]
	s_add_i32 s12, s12, 1
	s_add_i32 s23, s23, s22
	s_add_u32 s4, s4, 4
	s_addc_u32 s5, s5, 0
	s_cmp_ge_i32 s12, s21
	v_add_u32_e32 v0, s9, v0
	s_cbranch_scc1 .LBB136_13
.LBB136_9:                              ; =>This Inner Loop Header: Depth=1
	s_load_dword s0, s[4:5], 0x0
	s_waitcnt lgkmcnt(0)
	s_sub_i32 s0, s0, s20
	s_mul_i32 s0, s0, s9
	v_add_u32_e32 v7, s0, v1
	s_and_saveexec_b64 s[18:19], s[10:11]
	s_cbranch_execz .LBB136_11
; %bb.10:                               ;   in Loop: Header=BB136_9 Depth=1
	v_add_u32_e32 v8, s23, v6
	v_ashrrev_i32_e32 v9, 31, v8
	v_lshlrev_b64 v[8:9], 3, v[8:9]
	v_mov_b32_e32 v10, s17
	v_add_co_u32_e64 v8, s[0:1], s16, v8
	v_addc_co_u32_e64 v9, s[0:1], v10, v9, s[0:1]
	global_load_dwordx2 v[8:9], v[8:9], off
	v_add_u32_e32 v10, v5, v0
	v_ashrrev_i32_e32 v11, 31, v10
	v_lshlrev_b64 v[12:13], 2, v[10:11]
	v_mov_b32_e32 v14, s15
	v_add_co_u32_e64 v12, s[0:1], s14, v12
	v_addc_co_u32_e64 v13, s[0:1], v14, v13, s[0:1]
	v_lshlrev_b64 v[10:11], 3, v[10:11]
	global_store_dword v[12:13], v7, off
	v_mov_b32_e32 v12, s7
	v_add_co_u32_e64 v10, s[0:1], s6, v10
	v_addc_co_u32_e64 v11, s[0:1], v12, v11, s[0:1]
	s_waitcnt vmcnt(1)
	global_store_dwordx2 v[10:11], v[8:9], off
.LBB136_11:                             ;   in Loop: Header=BB136_9 Depth=1
	s_or_b64 exec, exec, s[18:19]
	s_and_saveexec_b64 s[18:19], s[2:3]
	s_cbranch_execz .LBB136_8
; %bb.12:                               ;   in Loop: Header=BB136_9 Depth=1
	v_add_u32_e32 v8, s23, v4
	v_add3_u32 v9, v2, s23, 32
	v_cndmask_b32_e32 v8, v9, v8, vcc
	v_ashrrev_i32_e32 v9, 31, v8
	v_lshlrev_b64 v[8:9], 3, v[8:9]
	v_mov_b32_e32 v10, s17
	v_add_co_u32_e64 v8, s[0:1], s16, v8
	v_addc_co_u32_e64 v9, s[0:1], v10, v9, s[0:1]
	global_load_dwordx2 v[8:9], v[8:9], off
	v_add_u32_e32 v10, v3, v0
	v_ashrrev_i32_e32 v11, 31, v10
	v_lshlrev_b64 v[12:13], 2, v[10:11]
	v_mov_b32_e32 v14, s15
	v_add_co_u32_e64 v12, s[0:1], s14, v12
	v_addc_co_u32_e64 v13, s[0:1], v14, v13, s[0:1]
	v_lshlrev_b64 v[10:11], 3, v[10:11]
	global_store_dword v[12:13], v7, off
	v_mov_b32_e32 v7, s7
	v_add_co_u32_e64 v10, s[0:1], s6, v10
	v_addc_co_u32_e64 v11, s[0:1], v7, v11, s[0:1]
	s_waitcnt vmcnt(1)
	global_store_dwordx2 v[10:11], v[8:9], off
	s_branch .LBB136_8
.LBB136_13:
	s_endpgm
	.section	.rodata,"a",@progbits
	.p2align	6, 0x0
	.amdhsa_kernel _ZN9rocsparseL37gebsr2csr_block_per_row_33_128_kernelILi1024ELi64ELi16ELi32ELi16E21rocsparse_complex_numIfEEEv20rocsparse_direction_ii21rocsparse_index_base_PKT4_PKiS9_iiS4_PS5_PiSB_
		.amdhsa_group_segment_fixed_size 0
		.amdhsa_private_segment_fixed_size 0
		.amdhsa_kernarg_size 80
		.amdhsa_user_sgpr_count 6
		.amdhsa_user_sgpr_private_segment_buffer 1
		.amdhsa_user_sgpr_dispatch_ptr 0
		.amdhsa_user_sgpr_queue_ptr 0
		.amdhsa_user_sgpr_kernarg_segment_ptr 1
		.amdhsa_user_sgpr_dispatch_id 0
		.amdhsa_user_sgpr_flat_scratch_init 0
		.amdhsa_user_sgpr_kernarg_preload_length 0
		.amdhsa_user_sgpr_kernarg_preload_offset 0
		.amdhsa_user_sgpr_private_segment_size 0
		.amdhsa_uses_dynamic_stack 0
		.amdhsa_system_sgpr_private_segment_wavefront_offset 0
		.amdhsa_system_sgpr_workgroup_id_x 1
		.amdhsa_system_sgpr_workgroup_id_y 0
		.amdhsa_system_sgpr_workgroup_id_z 0
		.amdhsa_system_sgpr_workgroup_info 0
		.amdhsa_system_vgpr_workitem_id 0
		.amdhsa_next_free_vgpr 15
		.amdhsa_next_free_sgpr 29
		.amdhsa_accum_offset 16
		.amdhsa_reserve_vcc 1
		.amdhsa_reserve_flat_scratch 0
		.amdhsa_float_round_mode_32 0
		.amdhsa_float_round_mode_16_64 0
		.amdhsa_float_denorm_mode_32 3
		.amdhsa_float_denorm_mode_16_64 3
		.amdhsa_dx10_clamp 1
		.amdhsa_ieee_mode 1
		.amdhsa_fp16_overflow 0
		.amdhsa_tg_split 0
		.amdhsa_exception_fp_ieee_invalid_op 0
		.amdhsa_exception_fp_denorm_src 0
		.amdhsa_exception_fp_ieee_div_zero 0
		.amdhsa_exception_fp_ieee_overflow 0
		.amdhsa_exception_fp_ieee_underflow 0
		.amdhsa_exception_fp_ieee_inexact 0
		.amdhsa_exception_int_div_zero 0
	.end_amdhsa_kernel
	.section	.text._ZN9rocsparseL37gebsr2csr_block_per_row_33_128_kernelILi1024ELi64ELi16ELi32ELi16E21rocsparse_complex_numIfEEEv20rocsparse_direction_ii21rocsparse_index_base_PKT4_PKiS9_iiS4_PS5_PiSB_,"axG",@progbits,_ZN9rocsparseL37gebsr2csr_block_per_row_33_128_kernelILi1024ELi64ELi16ELi32ELi16E21rocsparse_complex_numIfEEEv20rocsparse_direction_ii21rocsparse_index_base_PKT4_PKiS9_iiS4_PS5_PiSB_,comdat
.Lfunc_end136:
	.size	_ZN9rocsparseL37gebsr2csr_block_per_row_33_128_kernelILi1024ELi64ELi16ELi32ELi16E21rocsparse_complex_numIfEEEv20rocsparse_direction_ii21rocsparse_index_base_PKT4_PKiS9_iiS4_PS5_PiSB_, .Lfunc_end136-_ZN9rocsparseL37gebsr2csr_block_per_row_33_128_kernelILi1024ELi64ELi16ELi32ELi16E21rocsparse_complex_numIfEEEv20rocsparse_direction_ii21rocsparse_index_base_PKT4_PKiS9_iiS4_PS5_PiSB_
                                        ; -- End function
	.section	.AMDGPU.csdata,"",@progbits
; Kernel info:
; codeLenInByte = 848
; NumSgprs: 33
; NumVgprs: 15
; NumAgprs: 0
; TotalNumVgprs: 15
; ScratchSize: 0
; MemoryBound: 0
; FloatMode: 240
; IeeeMode: 1
; LDSByteSize: 0 bytes/workgroup (compile time only)
; SGPRBlocks: 4
; VGPRBlocks: 1
; NumSGPRsForWavesPerEU: 33
; NumVGPRsForWavesPerEU: 15
; AccumOffset: 16
; Occupancy: 8
; WaveLimiterHint : 1
; COMPUTE_PGM_RSRC2:SCRATCH_EN: 0
; COMPUTE_PGM_RSRC2:USER_SGPR: 6
; COMPUTE_PGM_RSRC2:TRAP_HANDLER: 0
; COMPUTE_PGM_RSRC2:TGID_X_EN: 1
; COMPUTE_PGM_RSRC2:TGID_Y_EN: 0
; COMPUTE_PGM_RSRC2:TGID_Z_EN: 0
; COMPUTE_PGM_RSRC2:TIDIG_COMP_CNT: 0
; COMPUTE_PGM_RSRC3_GFX90A:ACCUM_OFFSET: 3
; COMPUTE_PGM_RSRC3_GFX90A:TG_SPLIT: 0
	.section	.text._ZN9rocsparseL37gebsr2csr_block_per_row_33_128_kernelILi1024ELi64ELi32ELi32ELi32E21rocsparse_complex_numIfEEEv20rocsparse_direction_ii21rocsparse_index_base_PKT4_PKiS9_iiS4_PS5_PiSB_,"axG",@progbits,_ZN9rocsparseL37gebsr2csr_block_per_row_33_128_kernelILi1024ELi64ELi32ELi32ELi32E21rocsparse_complex_numIfEEEv20rocsparse_direction_ii21rocsparse_index_base_PKT4_PKiS9_iiS4_PS5_PiSB_,comdat
	.globl	_ZN9rocsparseL37gebsr2csr_block_per_row_33_128_kernelILi1024ELi64ELi32ELi32ELi32E21rocsparse_complex_numIfEEEv20rocsparse_direction_ii21rocsparse_index_base_PKT4_PKiS9_iiS4_PS5_PiSB_ ; -- Begin function _ZN9rocsparseL37gebsr2csr_block_per_row_33_128_kernelILi1024ELi64ELi32ELi32ELi32E21rocsparse_complex_numIfEEEv20rocsparse_direction_ii21rocsparse_index_base_PKT4_PKiS9_iiS4_PS5_PiSB_
	.p2align	8
	.type	_ZN9rocsparseL37gebsr2csr_block_per_row_33_128_kernelILi1024ELi64ELi32ELi32ELi32E21rocsparse_complex_numIfEEEv20rocsparse_direction_ii21rocsparse_index_base_PKT4_PKiS9_iiS4_PS5_PiSB_,@function
_ZN9rocsparseL37gebsr2csr_block_per_row_33_128_kernelILi1024ELi64ELi32ELi32ELi32E21rocsparse_complex_numIfEEEv20rocsparse_direction_ii21rocsparse_index_base_PKT4_PKiS9_iiS4_PS5_PiSB_: ; @_ZN9rocsparseL37gebsr2csr_block_per_row_33_128_kernelILi1024ELi64ELi32ELi32ELi32E21rocsparse_complex_numIfEEEv20rocsparse_direction_ii21rocsparse_index_base_PKT4_PKiS9_iiS4_PS5_PiSB_
; %bb.0:
	s_load_dwordx2 s[0:1], s[4:5], 0x18
	s_load_dwordx4 s[8:11], s[4:5], 0x28
	s_load_dwordx2 s[14:15], s[4:5], 0x40
	s_ashr_i32 s7, s6, 31
	s_lshl_b64 s[2:3], s[6:7], 2
	s_waitcnt lgkmcnt(0)
	s_add_u32 s0, s0, s2
	s_addc_u32 s1, s1, s3
	s_load_dwordx2 s[18:19], s[0:1], 0x0
	v_or_b32_e32 v1, s6, v0
	v_cmp_eq_u32_e32 vcc, 0, v1
	s_and_saveexec_b64 s[0:1], vcc
	s_cbranch_execz .LBB137_2
; %bb.1:
	v_mov_b32_e32 v1, 0
	v_mov_b32_e32 v2, s10
	global_store_dword v1, v2, s[14:15]
.LBB137_2:
	s_or_b64 exec, exec, s[0:1]
	s_load_dword s20, s[4:5], 0xc
	v_lshrrev_b32_e32 v4, 5, v0
	s_mul_i32 s16, s6, s8
	s_waitcnt lgkmcnt(0)
	s_sub_i32 s12, s18, s20
	s_sub_i32 s21, s19, s20
	s_mul_i32 s11, s12, s9
	s_sub_i32 s13, s21, s12
	s_mul_i32 s0, s11, s8
	s_mul_i32 s17, s13, s9
	s_add_i32 s22, s0, s10
	s_add_i32 s22, s22, s17
	v_cmp_gt_i32_e64 s[0:1], s8, v4
	s_and_saveexec_b64 s[2:3], s[0:1]
	s_cbranch_execz .LBB137_4
; %bb.3:
	v_add_u32_e32 v2, s16, v4
	v_ashrrev_i32_e32 v3, 31, v2
	v_lshlrev_b64 v[2:3], 2, v[2:3]
	v_mul_lo_u32 v1, v4, s17
	v_mov_b32_e32 v5, s15
	v_add_co_u32_e32 v2, vcc, s14, v2
	v_add_u32_e32 v1, s22, v1
	v_addc_co_u32_e32 v3, vcc, v5, v3, vcc
	global_store_dword v[2:3], v1, off offset:4
.LBB137_4:
	s_or_b64 exec, exec, s[2:3]
	v_or_b32_e32 v1, 32, v4
	v_cmp_gt_i32_e64 s[2:3], s8, v1
	s_and_saveexec_b64 s[6:7], s[2:3]
	s_cbranch_execz .LBB137_6
; %bb.5:
	s_add_u32 s14, s14, 4
	s_addc_u32 s15, s15, 0
	v_mul_lo_u32 v1, v1, s17
	s_ashr_i32 s17, s16, 31
	v_mov_b32_e32 v3, s17
	v_add_co_u32_e32 v2, vcc, s16, v4
	v_addc_co_u32_e32 v3, vcc, 0, v3, vcc
	v_lshlrev_b64 v[2:3], 2, v[2:3]
	v_mov_b32_e32 v5, s15
	v_add_co_u32_e32 v2, vcc, s14, v2
	v_add_u32_e32 v1, s22, v1
	v_addc_co_u32_e32 v3, vcc, v5, v3, vcc
	global_store_dword v[2:3], v1, off offset:128
.LBB137_6:
	s_or_b64 exec, exec, s[6:7]
	s_cmp_lt_i32 s18, s19
	s_cbranch_scc0 .LBB137_13
; %bb.7:
	s_load_dwordx2 s[24:25], s[4:5], 0x20
	s_load_dwordx2 s[6:7], s[4:5], 0x38
	;; [unrolled: 1-line block ×4, first 2 shown]
	s_load_dword s26, s[4:5], 0x0
	v_and_b32_e32 v0, 31, v0
	s_mul_i32 s28, s8, s12
	v_add_u32_e32 v5, s28, v4
	v_add_u32_e32 v2, s11, v0
	;; [unrolled: 1-line block ×3, first 2 shown]
	v_mad_u64_u32 v[2:3], s[10:11], s8, v2, v[4:5]
	v_cmp_gt_i32_e64 s[4:5], s9, v0
	s_waitcnt lgkmcnt(0)
	s_cmp_eq_u32 s26, 0
	v_mul_lo_u32 v3, v4, s13
	v_add_u32_e32 v4, 32, v5
	v_mad_u64_u32 v[6:7], s[26:27], s9, v5, v[0:1]
	s_cselect_b64 vcc, -1, 0
	s_and_b64 s[10:11], s[4:5], s[0:1]
	v_mad_u64_u32 v[4:5], s[0:1], s9, v4, v[0:1]
	v_add_u32_e32 v5, s28, v3
	v_lshl_add_u32 v3, s19, 5, v5
	s_lshl_b32 s0, s18, 5
	s_ashr_i32 s13, s12, 31
	s_and_b64 s[2:3], s[4:5], s[2:3]
	v_subrev_u32_e32 v3, s0, v3
	s_lshl_b64 s[0:1], s[12:13], 2
	s_add_u32 s4, s24, s0
	s_mul_i32 s22, s9, s8
	s_mov_b32 s23, 0
	v_mul_lo_u32 v3, s9, v3
	v_mul_lo_u32 v5, s9, v5
	s_addc_u32 s5, s25, s1
	v_cndmask_b32_e32 v6, v2, v6, vcc
	s_branch .LBB137_9
.LBB137_8:                              ;   in Loop: Header=BB137_9 Depth=1
	s_or_b64 exec, exec, s[18:19]
	s_add_i32 s12, s12, 1
	s_add_i32 s23, s23, s22
	s_add_u32 s4, s4, 4
	s_addc_u32 s5, s5, 0
	s_cmp_ge_i32 s12, s21
	v_add_u32_e32 v0, s9, v0
	s_cbranch_scc1 .LBB137_13
.LBB137_9:                              ; =>This Inner Loop Header: Depth=1
	s_load_dword s0, s[4:5], 0x0
	s_waitcnt lgkmcnt(0)
	s_sub_i32 s0, s0, s20
	s_mul_i32 s0, s0, s9
	v_add_u32_e32 v7, s0, v1
	s_and_saveexec_b64 s[18:19], s[10:11]
	s_cbranch_execz .LBB137_11
; %bb.10:                               ;   in Loop: Header=BB137_9 Depth=1
	v_add_u32_e32 v8, s23, v6
	v_ashrrev_i32_e32 v9, 31, v8
	v_lshlrev_b64 v[8:9], 3, v[8:9]
	v_mov_b32_e32 v10, s17
	v_add_co_u32_e64 v8, s[0:1], s16, v8
	v_addc_co_u32_e64 v9, s[0:1], v10, v9, s[0:1]
	global_load_dwordx2 v[8:9], v[8:9], off
	v_add_u32_e32 v10, v5, v0
	v_ashrrev_i32_e32 v11, 31, v10
	v_lshlrev_b64 v[12:13], 2, v[10:11]
	v_mov_b32_e32 v14, s15
	v_add_co_u32_e64 v12, s[0:1], s14, v12
	v_addc_co_u32_e64 v13, s[0:1], v14, v13, s[0:1]
	v_lshlrev_b64 v[10:11], 3, v[10:11]
	global_store_dword v[12:13], v7, off
	v_mov_b32_e32 v12, s7
	v_add_co_u32_e64 v10, s[0:1], s6, v10
	v_addc_co_u32_e64 v11, s[0:1], v12, v11, s[0:1]
	s_waitcnt vmcnt(1)
	global_store_dwordx2 v[10:11], v[8:9], off
.LBB137_11:                             ;   in Loop: Header=BB137_9 Depth=1
	s_or_b64 exec, exec, s[18:19]
	s_and_saveexec_b64 s[18:19], s[2:3]
	s_cbranch_execz .LBB137_8
; %bb.12:                               ;   in Loop: Header=BB137_9 Depth=1
	v_add_u32_e32 v8, s23, v4
	v_add3_u32 v9, v2, s23, 32
	v_cndmask_b32_e32 v8, v9, v8, vcc
	v_ashrrev_i32_e32 v9, 31, v8
	v_lshlrev_b64 v[8:9], 3, v[8:9]
	v_mov_b32_e32 v10, s17
	v_add_co_u32_e64 v8, s[0:1], s16, v8
	v_addc_co_u32_e64 v9, s[0:1], v10, v9, s[0:1]
	global_load_dwordx2 v[8:9], v[8:9], off
	v_add_u32_e32 v10, v3, v0
	v_ashrrev_i32_e32 v11, 31, v10
	v_lshlrev_b64 v[12:13], 2, v[10:11]
	v_mov_b32_e32 v14, s15
	v_add_co_u32_e64 v12, s[0:1], s14, v12
	v_addc_co_u32_e64 v13, s[0:1], v14, v13, s[0:1]
	v_lshlrev_b64 v[10:11], 3, v[10:11]
	global_store_dword v[12:13], v7, off
	v_mov_b32_e32 v7, s7
	v_add_co_u32_e64 v10, s[0:1], s6, v10
	v_addc_co_u32_e64 v11, s[0:1], v7, v11, s[0:1]
	s_waitcnt vmcnt(1)
	global_store_dwordx2 v[10:11], v[8:9], off
	s_branch .LBB137_8
.LBB137_13:
	s_endpgm
	.section	.rodata,"a",@progbits
	.p2align	6, 0x0
	.amdhsa_kernel _ZN9rocsparseL37gebsr2csr_block_per_row_33_128_kernelILi1024ELi64ELi32ELi32ELi32E21rocsparse_complex_numIfEEEv20rocsparse_direction_ii21rocsparse_index_base_PKT4_PKiS9_iiS4_PS5_PiSB_
		.amdhsa_group_segment_fixed_size 0
		.amdhsa_private_segment_fixed_size 0
		.amdhsa_kernarg_size 80
		.amdhsa_user_sgpr_count 6
		.amdhsa_user_sgpr_private_segment_buffer 1
		.amdhsa_user_sgpr_dispatch_ptr 0
		.amdhsa_user_sgpr_queue_ptr 0
		.amdhsa_user_sgpr_kernarg_segment_ptr 1
		.amdhsa_user_sgpr_dispatch_id 0
		.amdhsa_user_sgpr_flat_scratch_init 0
		.amdhsa_user_sgpr_kernarg_preload_length 0
		.amdhsa_user_sgpr_kernarg_preload_offset 0
		.amdhsa_user_sgpr_private_segment_size 0
		.amdhsa_uses_dynamic_stack 0
		.amdhsa_system_sgpr_private_segment_wavefront_offset 0
		.amdhsa_system_sgpr_workgroup_id_x 1
		.amdhsa_system_sgpr_workgroup_id_y 0
		.amdhsa_system_sgpr_workgroup_id_z 0
		.amdhsa_system_sgpr_workgroup_info 0
		.amdhsa_system_vgpr_workitem_id 0
		.amdhsa_next_free_vgpr 15
		.amdhsa_next_free_sgpr 29
		.amdhsa_accum_offset 16
		.amdhsa_reserve_vcc 1
		.amdhsa_reserve_flat_scratch 0
		.amdhsa_float_round_mode_32 0
		.amdhsa_float_round_mode_16_64 0
		.amdhsa_float_denorm_mode_32 3
		.amdhsa_float_denorm_mode_16_64 3
		.amdhsa_dx10_clamp 1
		.amdhsa_ieee_mode 1
		.amdhsa_fp16_overflow 0
		.amdhsa_tg_split 0
		.amdhsa_exception_fp_ieee_invalid_op 0
		.amdhsa_exception_fp_denorm_src 0
		.amdhsa_exception_fp_ieee_div_zero 0
		.amdhsa_exception_fp_ieee_overflow 0
		.amdhsa_exception_fp_ieee_underflow 0
		.amdhsa_exception_fp_ieee_inexact 0
		.amdhsa_exception_int_div_zero 0
	.end_amdhsa_kernel
	.section	.text._ZN9rocsparseL37gebsr2csr_block_per_row_33_128_kernelILi1024ELi64ELi32ELi32ELi32E21rocsparse_complex_numIfEEEv20rocsparse_direction_ii21rocsparse_index_base_PKT4_PKiS9_iiS4_PS5_PiSB_,"axG",@progbits,_ZN9rocsparseL37gebsr2csr_block_per_row_33_128_kernelILi1024ELi64ELi32ELi32ELi32E21rocsparse_complex_numIfEEEv20rocsparse_direction_ii21rocsparse_index_base_PKT4_PKiS9_iiS4_PS5_PiSB_,comdat
.Lfunc_end137:
	.size	_ZN9rocsparseL37gebsr2csr_block_per_row_33_128_kernelILi1024ELi64ELi32ELi32ELi32E21rocsparse_complex_numIfEEEv20rocsparse_direction_ii21rocsparse_index_base_PKT4_PKiS9_iiS4_PS5_PiSB_, .Lfunc_end137-_ZN9rocsparseL37gebsr2csr_block_per_row_33_128_kernelILi1024ELi64ELi32ELi32ELi32E21rocsparse_complex_numIfEEEv20rocsparse_direction_ii21rocsparse_index_base_PKT4_PKiS9_iiS4_PS5_PiSB_
                                        ; -- End function
	.section	.AMDGPU.csdata,"",@progbits
; Kernel info:
; codeLenInByte = 848
; NumSgprs: 33
; NumVgprs: 15
; NumAgprs: 0
; TotalNumVgprs: 15
; ScratchSize: 0
; MemoryBound: 0
; FloatMode: 240
; IeeeMode: 1
; LDSByteSize: 0 bytes/workgroup (compile time only)
; SGPRBlocks: 4
; VGPRBlocks: 1
; NumSGPRsForWavesPerEU: 33
; NumVGPRsForWavesPerEU: 15
; AccumOffset: 16
; Occupancy: 8
; WaveLimiterHint : 1
; COMPUTE_PGM_RSRC2:SCRATCH_EN: 0
; COMPUTE_PGM_RSRC2:USER_SGPR: 6
; COMPUTE_PGM_RSRC2:TRAP_HANDLER: 0
; COMPUTE_PGM_RSRC2:TGID_X_EN: 1
; COMPUTE_PGM_RSRC2:TGID_Y_EN: 0
; COMPUTE_PGM_RSRC2:TGID_Z_EN: 0
; COMPUTE_PGM_RSRC2:TIDIG_COMP_CNT: 0
; COMPUTE_PGM_RSRC3_GFX90A:ACCUM_OFFSET: 3
; COMPUTE_PGM_RSRC3_GFX90A:TG_SPLIT: 0
	.section	.text._ZN9rocsparseL37gebsr2csr_block_per_row_33_128_kernelILi1024ELi64ELi64ELi32ELi32E21rocsparse_complex_numIfEEEv20rocsparse_direction_ii21rocsparse_index_base_PKT4_PKiS9_iiS4_PS5_PiSB_,"axG",@progbits,_ZN9rocsparseL37gebsr2csr_block_per_row_33_128_kernelILi1024ELi64ELi64ELi32ELi32E21rocsparse_complex_numIfEEEv20rocsparse_direction_ii21rocsparse_index_base_PKT4_PKiS9_iiS4_PS5_PiSB_,comdat
	.globl	_ZN9rocsparseL37gebsr2csr_block_per_row_33_128_kernelILi1024ELi64ELi64ELi32ELi32E21rocsparse_complex_numIfEEEv20rocsparse_direction_ii21rocsparse_index_base_PKT4_PKiS9_iiS4_PS5_PiSB_ ; -- Begin function _ZN9rocsparseL37gebsr2csr_block_per_row_33_128_kernelILi1024ELi64ELi64ELi32ELi32E21rocsparse_complex_numIfEEEv20rocsparse_direction_ii21rocsparse_index_base_PKT4_PKiS9_iiS4_PS5_PiSB_
	.p2align	8
	.type	_ZN9rocsparseL37gebsr2csr_block_per_row_33_128_kernelILi1024ELi64ELi64ELi32ELi32E21rocsparse_complex_numIfEEEv20rocsparse_direction_ii21rocsparse_index_base_PKT4_PKiS9_iiS4_PS5_PiSB_,@function
_ZN9rocsparseL37gebsr2csr_block_per_row_33_128_kernelILi1024ELi64ELi64ELi32ELi32E21rocsparse_complex_numIfEEEv20rocsparse_direction_ii21rocsparse_index_base_PKT4_PKiS9_iiS4_PS5_PiSB_: ; @_ZN9rocsparseL37gebsr2csr_block_per_row_33_128_kernelILi1024ELi64ELi64ELi32ELi32E21rocsparse_complex_numIfEEEv20rocsparse_direction_ii21rocsparse_index_base_PKT4_PKiS9_iiS4_PS5_PiSB_
; %bb.0:
	s_load_dwordx2 s[0:1], s[4:5], 0x18
	s_load_dwordx4 s[8:11], s[4:5], 0x28
	s_load_dwordx2 s[14:15], s[4:5], 0x40
	s_ashr_i32 s7, s6, 31
	s_lshl_b64 s[2:3], s[6:7], 2
	s_waitcnt lgkmcnt(0)
	s_add_u32 s0, s0, s2
	s_addc_u32 s1, s1, s3
	s_load_dwordx2 s[24:25], s[0:1], 0x0
	v_or_b32_e32 v1, s6, v0
	v_cmp_eq_u32_e32 vcc, 0, v1
	s_and_saveexec_b64 s[0:1], vcc
	s_cbranch_execz .LBB138_2
; %bb.1:
	v_mov_b32_e32 v1, 0
	v_mov_b32_e32 v2, s10
	global_store_dword v1, v2, s[14:15]
.LBB138_2:
	s_or_b64 exec, exec, s[0:1]
	s_load_dword s11, s[4:5], 0xc
	v_lshrrev_b32_e32 v1, 5, v0
	s_mul_i32 s16, s6, s8
	s_waitcnt lgkmcnt(0)
	s_sub_i32 s12, s24, s11
	s_sub_i32 s26, s25, s11
	s_mul_i32 s13, s12, s9
	s_sub_i32 s20, s26, s12
	s_mul_i32 s0, s13, s8
	s_mul_i32 s17, s20, s9
	s_add_i32 s18, s0, s10
	s_add_i32 s18, s18, s17
	v_cmp_gt_i32_e64 s[0:1], s8, v1
	s_and_saveexec_b64 s[2:3], s[0:1]
	s_cbranch_execz .LBB138_4
; %bb.3:
	v_mul_lo_u32 v2, v1, s17
	v_add_u32_e32 v4, s18, v2
	v_add_u32_e32 v2, s16, v1
	v_ashrrev_i32_e32 v3, 31, v2
	v_lshlrev_b64 v[2:3], 2, v[2:3]
	v_mov_b32_e32 v5, s15
	v_add_co_u32_e32 v2, vcc, s14, v2
	v_addc_co_u32_e32 v3, vcc, v5, v3, vcc
	global_store_dword v[2:3], v4, off offset:4
.LBB138_4:
	s_or_b64 exec, exec, s[2:3]
	v_or_b32_e32 v2, 32, v1
	v_cmp_gt_i32_e64 s[2:3], s8, v2
	s_and_saveexec_b64 s[6:7], s[2:3]
	s_cbranch_execz .LBB138_6
; %bb.5:
	s_add_u32 s14, s14, 4
	s_addc_u32 s15, s15, 0
	v_mul_lo_u32 v2, v2, s17
	s_ashr_i32 s17, s16, 31
	v_add_u32_e32 v4, s18, v2
	v_mov_b32_e32 v3, s17
	v_add_co_u32_e32 v2, vcc, s16, v1
	v_addc_co_u32_e32 v3, vcc, 0, v3, vcc
	v_lshlrev_b64 v[2:3], 2, v[2:3]
	v_mov_b32_e32 v5, s15
	v_add_co_u32_e32 v2, vcc, s14, v2
	v_addc_co_u32_e32 v3, vcc, v5, v3, vcc
	global_store_dword v[2:3], v4, off offset:128
.LBB138_6:
	s_or_b64 exec, exec, s[6:7]
	s_cmp_lt_i32 s24, s25
	s_cbranch_scc0 .LBB138_17
; %bb.7:
	s_load_dwordx2 s[28:29], s[4:5], 0x20
	s_load_dwordx2 s[14:15], s[4:5], 0x38
	s_load_dword s6, s[4:5], 0x0
	s_load_dwordx2 s[16:17], s[4:5], 0x10
	s_load_dwordx2 s[18:19], s[4:5], 0x48
	v_and_b32_e32 v0, 31, v0
	v_or_b32_e32 v2, 32, v0
	s_waitcnt lgkmcnt(0)
	s_cmp_eq_u32 s6, 0
	v_cmp_gt_i32_e64 s[4:5], s9, v0
	v_cmp_gt_i32_e64 s[6:7], s9, v2
	s_cselect_b64 vcc, -1, 0
	v_mul_lo_u32 v7, v1, s20
	s_and_b64 s[20:21], s[0:1], s[4:5]
	s_and_b64 s[22:23], s[0:1], s[6:7]
	s_mul_i32 s0, s8, s12
	v_add_u32_e32 v8, s0, v7
	v_add_u32_e32 v4, s0, v1
	;; [unrolled: 1-line block ×3, first 2 shown]
	v_lshl_add_u32 v7, s25, 5, v8
	s_lshl_b32 s0, s24, 5
	s_ashr_i32 s13, s12, 31
	s_and_b64 s[4:5], s[2:3], s[4:5]
	s_and_b64 s[2:3], s[2:3], s[6:7]
	v_subrev_u32_e32 v7, s0, v7
	s_lshl_b64 s[0:1], s[12:13], 2
	v_add_u32_e32 v3, 32, v4
	v_add_u32_e32 v5, 32, v6
	s_add_u32 s6, s28, s0
	s_mul_i32 s27, s9, s8
	v_mul_lo_u32 v3, s9, v3
	v_mul_lo_u32 v4, s9, v4
	;; [unrolled: 1-line block ×6, first 2 shown]
	s_addc_u32 s7, s29, s1
	s_branch .LBB138_9
.LBB138_8:                              ;   in Loop: Header=BB138_9 Depth=1
	s_or_b64 exec, exec, s[24:25]
	s_add_i32 s12, s12, 1
	s_add_u32 s6, s6, 4
	s_addc_u32 s7, s7, 0
	v_add_u32_e32 v3, s27, v3
	v_add_u32_e32 v4, s27, v4
	;; [unrolled: 1-line block ×4, first 2 shown]
	s_cmp_ge_i32 s12, s26
	v_add_u32_e32 v8, s9, v8
	s_cbranch_scc1 .LBB138_17
.LBB138_9:                              ; =>This Inner Loop Header: Depth=1
	s_load_dword s0, s[6:7], 0x0
	s_waitcnt lgkmcnt(0)
	s_sub_i32 s0, s0, s11
	s_mul_i32 s8, s0, s9
	s_add_i32 s8, s8, s10
	v_add_u32_e32 v9, s8, v0
	s_and_saveexec_b64 s[24:25], s[20:21]
	s_cbranch_execz .LBB138_11
; %bb.10:                               ;   in Loop: Header=BB138_9 Depth=1
	v_add_u32_e32 v10, v0, v4
	v_add_u32_e32 v11, v6, v1
	v_cndmask_b32_e32 v10, v11, v10, vcc
	v_ashrrev_i32_e32 v11, 31, v10
	v_lshlrev_b64 v[10:11], 3, v[10:11]
	v_mov_b32_e32 v12, s17
	v_add_co_u32_e64 v10, s[0:1], s16, v10
	v_addc_co_u32_e64 v11, s[0:1], v12, v11, s[0:1]
	global_load_dwordx2 v[10:11], v[10:11], off
	v_add_u32_e32 v12, v0, v8
	v_ashrrev_i32_e32 v13, 31, v12
	v_lshlrev_b64 v[14:15], 2, v[12:13]
	v_mov_b32_e32 v16, s19
	v_add_co_u32_e64 v14, s[0:1], s18, v14
	v_addc_co_u32_e64 v15, s[0:1], v16, v15, s[0:1]
	v_lshlrev_b64 v[12:13], 3, v[12:13]
	global_store_dword v[14:15], v9, off
	v_mov_b32_e32 v14, s15
	v_add_co_u32_e64 v12, s[0:1], s14, v12
	v_addc_co_u32_e64 v13, s[0:1], v14, v13, s[0:1]
	s_waitcnt vmcnt(1)
	global_store_dwordx2 v[12:13], v[10:11], off
.LBB138_11:                             ;   in Loop: Header=BB138_9 Depth=1
	s_or_b64 exec, exec, s[24:25]
	v_add_u32_e32 v10, s8, v2
	v_add_u32_e32 v11, v5, v1
	s_and_saveexec_b64 s[24:25], s[22:23]
	s_cbranch_execnz .LBB138_14
; %bb.12:                               ;   in Loop: Header=BB138_9 Depth=1
	s_or_b64 exec, exec, s[24:25]
	v_add_u32_e32 v12, v0, v3
	s_and_saveexec_b64 s[24:25], s[4:5]
	s_cbranch_execnz .LBB138_15
.LBB138_13:                             ;   in Loop: Header=BB138_9 Depth=1
	s_or_b64 exec, exec, s[24:25]
	s_and_saveexec_b64 s[24:25], s[2:3]
	s_cbranch_execz .LBB138_8
	s_branch .LBB138_16
.LBB138_14:                             ;   in Loop: Header=BB138_9 Depth=1
	v_add3_u32 v12, v0, v4, 32
	v_cndmask_b32_e32 v12, v11, v12, vcc
	v_ashrrev_i32_e32 v13, 31, v12
	v_lshlrev_b64 v[12:13], 3, v[12:13]
	v_mov_b32_e32 v14, s17
	v_add_co_u32_e64 v12, s[0:1], s16, v12
	v_addc_co_u32_e64 v13, s[0:1], v14, v13, s[0:1]
	global_load_dwordx2 v[12:13], v[12:13], off
	v_add3_u32 v14, v0, v8, 32
	v_ashrrev_i32_e32 v15, 31, v14
	v_lshlrev_b64 v[16:17], 2, v[14:15]
	v_mov_b32_e32 v18, s19
	v_add_co_u32_e64 v16, s[0:1], s18, v16
	v_addc_co_u32_e64 v17, s[0:1], v18, v17, s[0:1]
	v_lshlrev_b64 v[14:15], 3, v[14:15]
	global_store_dword v[16:17], v10, off
	v_mov_b32_e32 v16, s15
	v_add_co_u32_e64 v14, s[0:1], s14, v14
	v_addc_co_u32_e64 v15, s[0:1], v16, v15, s[0:1]
	s_waitcnt vmcnt(1)
	global_store_dwordx2 v[14:15], v[12:13], off
	s_or_b64 exec, exec, s[24:25]
	v_add_u32_e32 v12, v0, v3
	s_and_saveexec_b64 s[24:25], s[4:5]
	s_cbranch_execz .LBB138_13
.LBB138_15:                             ;   in Loop: Header=BB138_9 Depth=1
	v_add3_u32 v13, v6, v1, 32
	v_cndmask_b32_e32 v14, v13, v12, vcc
	v_ashrrev_i32_e32 v15, 31, v14
	v_lshlrev_b64 v[14:15], 3, v[14:15]
	v_mov_b32_e32 v13, s17
	v_add_co_u32_e64 v14, s[0:1], s16, v14
	v_addc_co_u32_e64 v15, s[0:1], v13, v15, s[0:1]
	global_load_dwordx2 v[14:15], v[14:15], off
	v_add_u32_e32 v16, v0, v7
	v_ashrrev_i32_e32 v17, 31, v16
	v_lshlrev_b64 v[18:19], 2, v[16:17]
	v_mov_b32_e32 v13, s19
	v_add_co_u32_e64 v18, s[0:1], s18, v18
	v_addc_co_u32_e64 v19, s[0:1], v13, v19, s[0:1]
	v_lshlrev_b64 v[16:17], 3, v[16:17]
	global_store_dword v[18:19], v9, off
	v_mov_b32_e32 v9, s15
	v_add_co_u32_e64 v16, s[0:1], s14, v16
	v_addc_co_u32_e64 v17, s[0:1], v9, v17, s[0:1]
	s_waitcnt vmcnt(1)
	global_store_dwordx2 v[16:17], v[14:15], off
	s_or_b64 exec, exec, s[24:25]
	s_and_saveexec_b64 s[24:25], s[2:3]
	s_cbranch_execz .LBB138_8
.LBB138_16:                             ;   in Loop: Header=BB138_9 Depth=1
	v_cndmask_b32_e32 v9, v11, v12, vcc
	v_add_u32_e32 v12, 32, v9
	v_ashrrev_i32_e32 v13, 31, v12
	v_lshlrev_b64 v[12:13], 3, v[12:13]
	v_mov_b32_e32 v9, s17
	v_add_co_u32_e64 v12, s[0:1], s16, v12
	v_addc_co_u32_e64 v13, s[0:1], v9, v13, s[0:1]
	global_load_dwordx2 v[12:13], v[12:13], off
	v_add3_u32 v14, v0, v7, 32
	v_ashrrev_i32_e32 v15, 31, v14
	v_lshlrev_b64 v[16:17], 2, v[14:15]
	v_mov_b32_e32 v9, s19
	v_add_co_u32_e64 v16, s[0:1], s18, v16
	v_addc_co_u32_e64 v17, s[0:1], v9, v17, s[0:1]
	global_store_dword v[16:17], v10, off
	v_lshlrev_b64 v[10:11], 3, v[14:15]
	v_mov_b32_e32 v9, s15
	v_add_co_u32_e64 v10, s[0:1], s14, v10
	v_addc_co_u32_e64 v11, s[0:1], v9, v11, s[0:1]
	s_waitcnt vmcnt(1)
	global_store_dwordx2 v[10:11], v[12:13], off
	s_branch .LBB138_8
.LBB138_17:
	s_endpgm
	.section	.rodata,"a",@progbits
	.p2align	6, 0x0
	.amdhsa_kernel _ZN9rocsparseL37gebsr2csr_block_per_row_33_128_kernelILi1024ELi64ELi64ELi32ELi32E21rocsparse_complex_numIfEEEv20rocsparse_direction_ii21rocsparse_index_base_PKT4_PKiS9_iiS4_PS5_PiSB_
		.amdhsa_group_segment_fixed_size 0
		.amdhsa_private_segment_fixed_size 0
		.amdhsa_kernarg_size 80
		.amdhsa_user_sgpr_count 6
		.amdhsa_user_sgpr_private_segment_buffer 1
		.amdhsa_user_sgpr_dispatch_ptr 0
		.amdhsa_user_sgpr_queue_ptr 0
		.amdhsa_user_sgpr_kernarg_segment_ptr 1
		.amdhsa_user_sgpr_dispatch_id 0
		.amdhsa_user_sgpr_flat_scratch_init 0
		.amdhsa_user_sgpr_kernarg_preload_length 0
		.amdhsa_user_sgpr_kernarg_preload_offset 0
		.amdhsa_user_sgpr_private_segment_size 0
		.amdhsa_uses_dynamic_stack 0
		.amdhsa_system_sgpr_private_segment_wavefront_offset 0
		.amdhsa_system_sgpr_workgroup_id_x 1
		.amdhsa_system_sgpr_workgroup_id_y 0
		.amdhsa_system_sgpr_workgroup_id_z 0
		.amdhsa_system_sgpr_workgroup_info 0
		.amdhsa_system_vgpr_workitem_id 0
		.amdhsa_next_free_vgpr 20
		.amdhsa_next_free_sgpr 30
		.amdhsa_accum_offset 20
		.amdhsa_reserve_vcc 1
		.amdhsa_reserve_flat_scratch 0
		.amdhsa_float_round_mode_32 0
		.amdhsa_float_round_mode_16_64 0
		.amdhsa_float_denorm_mode_32 3
		.amdhsa_float_denorm_mode_16_64 3
		.amdhsa_dx10_clamp 1
		.amdhsa_ieee_mode 1
		.amdhsa_fp16_overflow 0
		.amdhsa_tg_split 0
		.amdhsa_exception_fp_ieee_invalid_op 0
		.amdhsa_exception_fp_denorm_src 0
		.amdhsa_exception_fp_ieee_div_zero 0
		.amdhsa_exception_fp_ieee_overflow 0
		.amdhsa_exception_fp_ieee_underflow 0
		.amdhsa_exception_fp_ieee_inexact 0
		.amdhsa_exception_int_div_zero 0
	.end_amdhsa_kernel
	.section	.text._ZN9rocsparseL37gebsr2csr_block_per_row_33_128_kernelILi1024ELi64ELi64ELi32ELi32E21rocsparse_complex_numIfEEEv20rocsparse_direction_ii21rocsparse_index_base_PKT4_PKiS9_iiS4_PS5_PiSB_,"axG",@progbits,_ZN9rocsparseL37gebsr2csr_block_per_row_33_128_kernelILi1024ELi64ELi64ELi32ELi32E21rocsparse_complex_numIfEEEv20rocsparse_direction_ii21rocsparse_index_base_PKT4_PKiS9_iiS4_PS5_PiSB_,comdat
.Lfunc_end138:
	.size	_ZN9rocsparseL37gebsr2csr_block_per_row_33_128_kernelILi1024ELi64ELi64ELi32ELi32E21rocsparse_complex_numIfEEEv20rocsparse_direction_ii21rocsparse_index_base_PKT4_PKiS9_iiS4_PS5_PiSB_, .Lfunc_end138-_ZN9rocsparseL37gebsr2csr_block_per_row_33_128_kernelILi1024ELi64ELi64ELi32ELi32E21rocsparse_complex_numIfEEEv20rocsparse_direction_ii21rocsparse_index_base_PKT4_PKiS9_iiS4_PS5_PiSB_
                                        ; -- End function
	.section	.AMDGPU.csdata,"",@progbits
; Kernel info:
; codeLenInByte = 1232
; NumSgprs: 34
; NumVgprs: 20
; NumAgprs: 0
; TotalNumVgprs: 20
; ScratchSize: 0
; MemoryBound: 0
; FloatMode: 240
; IeeeMode: 1
; LDSByteSize: 0 bytes/workgroup (compile time only)
; SGPRBlocks: 4
; VGPRBlocks: 2
; NumSGPRsForWavesPerEU: 34
; NumVGPRsForWavesPerEU: 20
; AccumOffset: 20
; Occupancy: 8
; WaveLimiterHint : 1
; COMPUTE_PGM_RSRC2:SCRATCH_EN: 0
; COMPUTE_PGM_RSRC2:USER_SGPR: 6
; COMPUTE_PGM_RSRC2:TRAP_HANDLER: 0
; COMPUTE_PGM_RSRC2:TGID_X_EN: 1
; COMPUTE_PGM_RSRC2:TGID_Y_EN: 0
; COMPUTE_PGM_RSRC2:TGID_Z_EN: 0
; COMPUTE_PGM_RSRC2:TIDIG_COMP_CNT: 0
; COMPUTE_PGM_RSRC3_GFX90A:ACCUM_OFFSET: 4
; COMPUTE_PGM_RSRC3_GFX90A:TG_SPLIT: 0
	.section	.text._ZN9rocsparseL37gebsr2csr_block_per_row_33_128_kernelILi1024ELi64ELi128ELi32ELi32E21rocsparse_complex_numIfEEEv20rocsparse_direction_ii21rocsparse_index_base_PKT4_PKiS9_iiS4_PS5_PiSB_,"axG",@progbits,_ZN9rocsparseL37gebsr2csr_block_per_row_33_128_kernelILi1024ELi64ELi128ELi32ELi32E21rocsparse_complex_numIfEEEv20rocsparse_direction_ii21rocsparse_index_base_PKT4_PKiS9_iiS4_PS5_PiSB_,comdat
	.globl	_ZN9rocsparseL37gebsr2csr_block_per_row_33_128_kernelILi1024ELi64ELi128ELi32ELi32E21rocsparse_complex_numIfEEEv20rocsparse_direction_ii21rocsparse_index_base_PKT4_PKiS9_iiS4_PS5_PiSB_ ; -- Begin function _ZN9rocsparseL37gebsr2csr_block_per_row_33_128_kernelILi1024ELi64ELi128ELi32ELi32E21rocsparse_complex_numIfEEEv20rocsparse_direction_ii21rocsparse_index_base_PKT4_PKiS9_iiS4_PS5_PiSB_
	.p2align	8
	.type	_ZN9rocsparseL37gebsr2csr_block_per_row_33_128_kernelILi1024ELi64ELi128ELi32ELi32E21rocsparse_complex_numIfEEEv20rocsparse_direction_ii21rocsparse_index_base_PKT4_PKiS9_iiS4_PS5_PiSB_,@function
_ZN9rocsparseL37gebsr2csr_block_per_row_33_128_kernelILi1024ELi64ELi128ELi32ELi32E21rocsparse_complex_numIfEEEv20rocsparse_direction_ii21rocsparse_index_base_PKT4_PKiS9_iiS4_PS5_PiSB_: ; @_ZN9rocsparseL37gebsr2csr_block_per_row_33_128_kernelILi1024ELi64ELi128ELi32ELi32E21rocsparse_complex_numIfEEEv20rocsparse_direction_ii21rocsparse_index_base_PKT4_PKiS9_iiS4_PS5_PiSB_
; %bb.0:
	s_load_dwordx2 s[0:1], s[4:5], 0x18
	s_load_dwordx4 s[12:15], s[4:5], 0x28
	s_load_dwordx2 s[8:9], s[4:5], 0x40
	s_ashr_i32 s7, s6, 31
	s_lshl_b64 s[2:3], s[6:7], 2
	s_waitcnt lgkmcnt(0)
	s_add_u32 s0, s0, s2
	s_addc_u32 s1, s1, s3
	s_load_dwordx2 s[34:35], s[0:1], 0x0
	v_or_b32_e32 v1, s6, v0
	v_cmp_eq_u32_e32 vcc, 0, v1
	s_and_saveexec_b64 s[0:1], vcc
	s_cbranch_execz .LBB139_2
; %bb.1:
	v_mov_b32_e32 v1, 0
	v_mov_b32_e32 v2, s14
	global_store_dword v1, v2, s[8:9]
.LBB139_2:
	s_or_b64 exec, exec, s[0:1]
	s_load_dword s15, s[4:5], 0xc
	v_lshrrev_b32_e32 v6, 5, v0
	s_mul_i32 s11, s6, s12
	s_waitcnt lgkmcnt(0)
	s_sub_i32 s16, s34, s15
	s_sub_i32 s33, s35, s15
	s_mul_i32 s17, s16, s13
	s_sub_i32 s10, s33, s16
	s_mul_i32 s0, s17, s12
	s_mul_i32 s18, s10, s13
	s_add_i32 s19, s0, s14
	s_add_i32 s19, s19, s18
	v_cmp_gt_i32_e64 s[0:1], s12, v6
	s_and_saveexec_b64 s[2:3], s[0:1]
	s_cbranch_execz .LBB139_4
; %bb.3:
	v_add_u32_e32 v2, s11, v6
	v_ashrrev_i32_e32 v3, 31, v2
	v_lshlrev_b64 v[2:3], 2, v[2:3]
	v_mul_lo_u32 v1, v6, s18
	v_mov_b32_e32 v4, s9
	v_add_co_u32_e32 v2, vcc, s8, v2
	v_add_u32_e32 v1, s19, v1
	v_addc_co_u32_e32 v3, vcc, v4, v3, vcc
	global_store_dword v[2:3], v1, off offset:4
.LBB139_4:
	s_or_b64 exec, exec, s[2:3]
	v_or_b32_e32 v1, 32, v6
	v_cmp_gt_i32_e64 s[2:3], s12, v1
	s_and_saveexec_b64 s[6:7], s[2:3]
	s_cbranch_execz .LBB139_6
; %bb.5:
	s_add_u32 s8, s8, 4
	s_addc_u32 s9, s9, 0
	v_mul_lo_u32 v1, v1, s18
	s_ashr_i32 s18, s11, 31
	v_mov_b32_e32 v3, s18
	v_add_co_u32_e32 v2, vcc, s11, v6
	v_addc_co_u32_e32 v3, vcc, 0, v3, vcc
	v_lshlrev_b64 v[2:3], 2, v[2:3]
	v_mov_b32_e32 v4, s9
	v_add_co_u32_e32 v2, vcc, s8, v2
	v_add_u32_e32 v1, s19, v1
	v_addc_co_u32_e32 v3, vcc, v4, v3, vcc
	global_store_dword v[2:3], v1, off offset:128
.LBB139_6:
	s_or_b64 exec, exec, s[6:7]
	s_cmp_lt_i32 s34, s35
	s_cbranch_scc0 .LBB139_25
; %bb.7:
	s_load_dwordx2 s[40:41], s[4:5], 0x20
	s_load_dwordx2 s[18:19], s[4:5], 0x38
	;; [unrolled: 1-line block ×3, first 2 shown]
	s_load_dword s6, s[4:5], 0x0
	s_load_dwordx2 s[22:23], s[4:5], 0x48
	v_and_b32_e32 v8, 31, v0
	v_or_b32_e32 v9, 32, v8
	v_or_b32_e32 v10, 64, v8
	;; [unrolled: 1-line block ×3, first 2 shown]
	s_waitcnt lgkmcnt(0)
	s_cmp_eq_u32 s6, 0
	v_mul_lo_u32 v14, v6, s10
	v_cmp_gt_i32_e64 s[4:5], s13, v8
	v_cmp_gt_i32_e64 s[6:7], s13, v9
	;; [unrolled: 1-line block ×4, first 2 shown]
	s_cselect_b64 vcc, -1, 0
	s_and_b64 s[24:25], s[0:1], s[4:5]
	s_and_b64 s[26:27], s[0:1], s[6:7]
	;; [unrolled: 1-line block ×8, first 2 shown]
	s_mul_i32 s10, s12, s16
	v_add_u32_e32 v0, s10, v6
	v_add_u32_e32 v7, s17, v8
	;; [unrolled: 1-line block ×3, first 2 shown]
	v_mul_lo_u32 v13, s13, v0
	v_add_u32_e32 v0, 0x60, v7
	v_mul_lo_u32 v12, s13, v1
	v_mad_u64_u32 v[0:1], s[0:1], s12, v0, v[6:7]
	v_add_u32_e32 v1, 64, v7
	v_mad_u64_u32 v[2:3], s[0:1], s12, v1, v[6:7]
	v_add_u32_e32 v1, 32, v7
	v_mad_u64_u32 v[4:5], s[0:1], s12, v1, v[6:7]
	v_mad_u64_u32 v[6:7], s[0:1], s12, v7, v[6:7]
	v_add_u32_e32 v3, s10, v14
	v_lshl_add_u32 v1, s35, 5, v3
	s_lshl_b32 s0, s34, 5
	s_ashr_i32 s17, s16, 31
	v_subrev_u32_e32 v1, s0, v1
	s_lshl_b64 s[0:1], s[16:17], 2
	s_add_u32 s10, s40, s0
	s_mul_i32 s36, s13, s12
	s_mov_b32 s37, 0
	s_movk_i32 s38, 0x60
	v_mul_lo_u32 v1, s13, v1
	v_mul_lo_u32 v3, s13, v3
	s_addc_u32 s11, s41, s1
	s_branch .LBB139_9
.LBB139_8:                              ;   in Loop: Header=BB139_9 Depth=1
	s_or_b64 exec, exec, s[34:35]
	s_add_i32 s16, s16, 1
	s_add_i32 s37, s37, s36
	s_add_u32 s10, s10, 4
	s_addc_u32 s11, s11, 0
	v_add_u32_e32 v12, s36, v12
	v_add_u32_e32 v13, s36, v13
	v_add_u32_e32 v1, s13, v1
	s_cmp_ge_i32 s16, s33
	v_add_u32_e32 v3, s13, v3
	s_cbranch_scc1 .LBB139_25
.LBB139_9:                              ; =>This Inner Loop Header: Depth=1
	s_load_dword s0, s[10:11], 0x0
	s_waitcnt lgkmcnt(0)
	s_sub_i32 s0, s0, s15
	s_mul_i32 s12, s0, s13
	s_add_i32 s12, s12, s14
	v_add_u32_e32 v5, s12, v8
	s_and_saveexec_b64 s[34:35], s[24:25]
	s_cbranch_execz .LBB139_11
; %bb.10:                               ;   in Loop: Header=BB139_9 Depth=1
	v_add_u32_e32 v7, v8, v13
	v_add_u32_e32 v14, s37, v6
	v_cndmask_b32_e32 v14, v14, v7, vcc
	v_ashrrev_i32_e32 v15, 31, v14
	v_lshlrev_b64 v[14:15], 3, v[14:15]
	v_mov_b32_e32 v7, s21
	v_add_co_u32_e64 v14, s[0:1], s20, v14
	v_addc_co_u32_e64 v15, s[0:1], v7, v15, s[0:1]
	global_load_dwordx2 v[14:15], v[14:15], off
	v_add_u32_e32 v16, v8, v3
	v_ashrrev_i32_e32 v17, 31, v16
	v_lshlrev_b64 v[18:19], 2, v[16:17]
	v_mov_b32_e32 v7, s23
	v_add_co_u32_e64 v18, s[0:1], s22, v18
	v_addc_co_u32_e64 v19, s[0:1], v7, v19, s[0:1]
	v_lshlrev_b64 v[16:17], 3, v[16:17]
	v_mov_b32_e32 v7, s19
	v_add_co_u32_e64 v16, s[0:1], s18, v16
	v_addc_co_u32_e64 v17, s[0:1], v7, v17, s[0:1]
	global_store_dword v[18:19], v5, off
	s_waitcnt vmcnt(1)
	global_store_dwordx2 v[16:17], v[14:15], off
.LBB139_11:                             ;   in Loop: Header=BB139_9 Depth=1
	s_or_b64 exec, exec, s[34:35]
	v_add_u32_e32 v7, s12, v9
	v_add_u32_e32 v16, s37, v4
	s_and_saveexec_b64 s[34:35], s[26:27]
	s_cbranch_execnz .LBB139_18
; %bb.12:                               ;   in Loop: Header=BB139_9 Depth=1
	s_or_b64 exec, exec, s[34:35]
	v_add_u32_e32 v14, s12, v10
	s_and_saveexec_b64 s[34:35], s[28:29]
	s_cbranch_execnz .LBB139_19
.LBB139_13:                             ;   in Loop: Header=BB139_9 Depth=1
	s_or_b64 exec, exec, s[34:35]
	v_add_u32_e32 v15, s12, v11
	s_and_saveexec_b64 s[34:35], s[30:31]
	s_cbranch_execnz .LBB139_20
.LBB139_14:                             ;   in Loop: Header=BB139_9 Depth=1
	s_or_b64 exec, exec, s[34:35]
	v_add_u32_e32 v17, v8, v12
	s_and_saveexec_b64 s[34:35], s[4:5]
	s_cbranch_execnz .LBB139_21
.LBB139_15:                             ;   in Loop: Header=BB139_9 Depth=1
	s_or_b64 exec, exec, s[34:35]
	s_and_saveexec_b64 s[34:35], s[6:7]
	s_cbranch_execnz .LBB139_22
.LBB139_16:                             ;   in Loop: Header=BB139_9 Depth=1
	s_or_b64 exec, exec, s[34:35]
	s_and_saveexec_b64 s[34:35], s[8:9]
	s_cbranch_execnz .LBB139_23
.LBB139_17:                             ;   in Loop: Header=BB139_9 Depth=1
	s_or_b64 exec, exec, s[34:35]
	s_and_saveexec_b64 s[34:35], s[2:3]
	s_cbranch_execz .LBB139_8
	s_branch .LBB139_24
.LBB139_18:                             ;   in Loop: Header=BB139_9 Depth=1
	v_add3_u32 v14, v8, v13, 32
	v_cndmask_b32_e32 v14, v16, v14, vcc
	v_ashrrev_i32_e32 v15, 31, v14
	v_lshlrev_b64 v[14:15], 3, v[14:15]
	v_mov_b32_e32 v17, s21
	v_add_co_u32_e64 v14, s[0:1], s20, v14
	v_addc_co_u32_e64 v15, s[0:1], v17, v15, s[0:1]
	global_load_dwordx2 v[14:15], v[14:15], off
	v_add3_u32 v18, v8, v3, 32
	v_ashrrev_i32_e32 v19, 31, v18
	v_lshlrev_b64 v[20:21], 2, v[18:19]
	v_mov_b32_e32 v17, s23
	v_add_co_u32_e64 v20, s[0:1], s22, v20
	v_addc_co_u32_e64 v21, s[0:1], v17, v21, s[0:1]
	v_lshlrev_b64 v[18:19], 3, v[18:19]
	v_mov_b32_e32 v17, s19
	v_add_co_u32_e64 v18, s[0:1], s18, v18
	v_addc_co_u32_e64 v19, s[0:1], v17, v19, s[0:1]
	global_store_dword v[20:21], v7, off
	s_waitcnt vmcnt(1)
	global_store_dwordx2 v[18:19], v[14:15], off
	s_or_b64 exec, exec, s[34:35]
	v_add_u32_e32 v14, s12, v10
	s_and_saveexec_b64 s[34:35], s[28:29]
	s_cbranch_execz .LBB139_13
.LBB139_19:                             ;   in Loop: Header=BB139_9 Depth=1
	v_add3_u32 v15, v8, v13, 64
	v_add_u32_e32 v17, s37, v2
	v_cndmask_b32_e32 v18, v17, v15, vcc
	v_ashrrev_i32_e32 v19, 31, v18
	v_lshlrev_b64 v[18:19], 3, v[18:19]
	v_mov_b32_e32 v15, s21
	v_add_co_u32_e64 v18, s[0:1], s20, v18
	v_addc_co_u32_e64 v19, s[0:1], v15, v19, s[0:1]
	global_load_dwordx2 v[18:19], v[18:19], off
	v_add3_u32 v20, v8, v3, 64
	v_ashrrev_i32_e32 v21, 31, v20
	v_lshlrev_b64 v[22:23], 2, v[20:21]
	v_mov_b32_e32 v15, s23
	v_add_co_u32_e64 v22, s[0:1], s22, v22
	v_addc_co_u32_e64 v23, s[0:1], v15, v23, s[0:1]
	v_lshlrev_b64 v[20:21], 3, v[20:21]
	v_mov_b32_e32 v15, s19
	v_add_co_u32_e64 v20, s[0:1], s18, v20
	v_addc_co_u32_e64 v21, s[0:1], v15, v21, s[0:1]
	global_store_dword v[22:23], v14, off
	s_waitcnt vmcnt(1)
	global_store_dwordx2 v[20:21], v[18:19], off
	s_or_b64 exec, exec, s[34:35]
	v_add_u32_e32 v15, s12, v11
	s_and_saveexec_b64 s[34:35], s[30:31]
	s_cbranch_execz .LBB139_14
.LBB139_20:                             ;   in Loop: Header=BB139_9 Depth=1
	v_add3_u32 v17, v8, v13, s38
	v_add_u32_e32 v18, s37, v0
	v_cndmask_b32_e32 v18, v18, v17, vcc
	v_ashrrev_i32_e32 v19, 31, v18
	v_lshlrev_b64 v[18:19], 3, v[18:19]
	v_mov_b32_e32 v17, s21
	v_add_co_u32_e64 v18, s[0:1], s20, v18
	v_addc_co_u32_e64 v19, s[0:1], v17, v19, s[0:1]
	global_load_dwordx2 v[18:19], v[18:19], off
	v_add3_u32 v20, v8, v3, s38
	v_ashrrev_i32_e32 v21, 31, v20
	v_lshlrev_b64 v[22:23], 2, v[20:21]
	v_mov_b32_e32 v17, s23
	v_add_co_u32_e64 v22, s[0:1], s22, v22
	v_addc_co_u32_e64 v23, s[0:1], v17, v23, s[0:1]
	v_lshlrev_b64 v[20:21], 3, v[20:21]
	v_mov_b32_e32 v17, s19
	v_add_co_u32_e64 v20, s[0:1], s18, v20
	v_addc_co_u32_e64 v21, s[0:1], v17, v21, s[0:1]
	global_store_dword v[22:23], v15, off
	s_waitcnt vmcnt(1)
	global_store_dwordx2 v[20:21], v[18:19], off
	s_or_b64 exec, exec, s[34:35]
	v_add_u32_e32 v17, v8, v12
	s_and_saveexec_b64 s[34:35], s[4:5]
	s_cbranch_execz .LBB139_15
.LBB139_21:                             ;   in Loop: Header=BB139_9 Depth=1
	v_add3_u32 v18, v6, s37, 32
	v_cndmask_b32_e32 v18, v18, v17, vcc
	v_ashrrev_i32_e32 v19, 31, v18
	v_lshlrev_b64 v[18:19], 3, v[18:19]
	v_mov_b32_e32 v20, s21
	v_add_co_u32_e64 v18, s[0:1], s20, v18
	v_addc_co_u32_e64 v19, s[0:1], v20, v19, s[0:1]
	global_load_dwordx2 v[18:19], v[18:19], off
	v_add_u32_e32 v20, v8, v1
	v_ashrrev_i32_e32 v21, 31, v20
	v_lshlrev_b64 v[22:23], 2, v[20:21]
	v_mov_b32_e32 v24, s23
	v_add_co_u32_e64 v22, s[0:1], s22, v22
	v_addc_co_u32_e64 v23, s[0:1], v24, v23, s[0:1]
	v_lshlrev_b64 v[20:21], 3, v[20:21]
	global_store_dword v[22:23], v5, off
	v_mov_b32_e32 v5, s19
	v_add_co_u32_e64 v20, s[0:1], s18, v20
	v_addc_co_u32_e64 v21, s[0:1], v5, v21, s[0:1]
	s_waitcnt vmcnt(1)
	global_store_dwordx2 v[20:21], v[18:19], off
	s_or_b64 exec, exec, s[34:35]
	s_and_saveexec_b64 s[34:35], s[6:7]
	s_cbranch_execz .LBB139_16
.LBB139_22:                             ;   in Loop: Header=BB139_9 Depth=1
	v_cndmask_b32_e32 v5, v16, v17, vcc
	v_add_u32_e32 v16, 32, v5
	v_ashrrev_i32_e32 v17, 31, v16
	v_lshlrev_b64 v[16:17], 3, v[16:17]
	v_mov_b32_e32 v5, s21
	v_add_co_u32_e64 v16, s[0:1], s20, v16
	v_addc_co_u32_e64 v17, s[0:1], v5, v17, s[0:1]
	global_load_dwordx2 v[16:17], v[16:17], off
	v_add3_u32 v18, v8, v1, 32
	v_ashrrev_i32_e32 v19, 31, v18
	v_lshlrev_b64 v[20:21], 2, v[18:19]
	v_mov_b32_e32 v5, s23
	v_add_co_u32_e64 v20, s[0:1], s22, v20
	v_addc_co_u32_e64 v21, s[0:1], v5, v21, s[0:1]
	v_lshlrev_b64 v[18:19], 3, v[18:19]
	v_mov_b32_e32 v5, s19
	v_add_co_u32_e64 v18, s[0:1], s18, v18
	v_addc_co_u32_e64 v19, s[0:1], v5, v19, s[0:1]
	global_store_dword v[20:21], v7, off
	s_waitcnt vmcnt(1)
	global_store_dwordx2 v[18:19], v[16:17], off
	s_or_b64 exec, exec, s[34:35]
	s_and_saveexec_b64 s[34:35], s[8:9]
	s_cbranch_execz .LBB139_17
.LBB139_23:                             ;   in Loop: Header=BB139_9 Depth=1
	v_add3_u32 v5, v8, v12, 64
	v_add3_u32 v7, v2, s37, 32
	v_cndmask_b32_e32 v16, v7, v5, vcc
	v_ashrrev_i32_e32 v17, 31, v16
	v_lshlrev_b64 v[16:17], 3, v[16:17]
	v_mov_b32_e32 v5, s21
	v_add_co_u32_e64 v16, s[0:1], s20, v16
	v_addc_co_u32_e64 v17, s[0:1], v5, v17, s[0:1]
	global_load_dwordx2 v[16:17], v[16:17], off
	v_add3_u32 v18, v8, v1, 64
	v_ashrrev_i32_e32 v19, 31, v18
	v_lshlrev_b64 v[20:21], 2, v[18:19]
	v_mov_b32_e32 v5, s23
	v_add_co_u32_e64 v20, s[0:1], s22, v20
	v_addc_co_u32_e64 v21, s[0:1], v5, v21, s[0:1]
	v_lshlrev_b64 v[18:19], 3, v[18:19]
	v_mov_b32_e32 v5, s19
	v_add_co_u32_e64 v18, s[0:1], s18, v18
	v_addc_co_u32_e64 v19, s[0:1], v5, v19, s[0:1]
	global_store_dword v[20:21], v14, off
	s_waitcnt vmcnt(1)
	global_store_dwordx2 v[18:19], v[16:17], off
	s_or_b64 exec, exec, s[34:35]
	s_and_saveexec_b64 s[34:35], s[2:3]
	s_cbranch_execz .LBB139_8
.LBB139_24:                             ;   in Loop: Header=BB139_9 Depth=1
	v_add3_u32 v5, v8, v12, s38
	v_add3_u32 v7, v0, s37, 32
	v_cndmask_b32_e32 v16, v7, v5, vcc
	v_ashrrev_i32_e32 v17, 31, v16
	v_lshlrev_b64 v[16:17], 3, v[16:17]
	v_mov_b32_e32 v5, s21
	v_add_co_u32_e64 v16, s[0:1], s20, v16
	v_addc_co_u32_e64 v17, s[0:1], v5, v17, s[0:1]
	global_load_dwordx2 v[16:17], v[16:17], off
	v_add3_u32 v18, v8, v1, s38
	v_ashrrev_i32_e32 v19, 31, v18
	v_lshlrev_b64 v[20:21], 2, v[18:19]
	v_mov_b32_e32 v5, s23
	v_add_co_u32_e64 v20, s[0:1], s22, v20
	v_addc_co_u32_e64 v21, s[0:1], v5, v21, s[0:1]
	global_store_dword v[20:21], v15, off
	v_lshlrev_b64 v[14:15], 3, v[18:19]
	v_mov_b32_e32 v5, s19
	v_add_co_u32_e64 v14, s[0:1], s18, v14
	v_addc_co_u32_e64 v15, s[0:1], v5, v15, s[0:1]
	s_waitcnt vmcnt(1)
	global_store_dwordx2 v[14:15], v[16:17], off
	s_branch .LBB139_8
.LBB139_25:
	s_endpgm
	.section	.rodata,"a",@progbits
	.p2align	6, 0x0
	.amdhsa_kernel _ZN9rocsparseL37gebsr2csr_block_per_row_33_128_kernelILi1024ELi64ELi128ELi32ELi32E21rocsparse_complex_numIfEEEv20rocsparse_direction_ii21rocsparse_index_base_PKT4_PKiS9_iiS4_PS5_PiSB_
		.amdhsa_group_segment_fixed_size 0
		.amdhsa_private_segment_fixed_size 0
		.amdhsa_kernarg_size 80
		.amdhsa_user_sgpr_count 6
		.amdhsa_user_sgpr_private_segment_buffer 1
		.amdhsa_user_sgpr_dispatch_ptr 0
		.amdhsa_user_sgpr_queue_ptr 0
		.amdhsa_user_sgpr_kernarg_segment_ptr 1
		.amdhsa_user_sgpr_dispatch_id 0
		.amdhsa_user_sgpr_flat_scratch_init 0
		.amdhsa_user_sgpr_kernarg_preload_length 0
		.amdhsa_user_sgpr_kernarg_preload_offset 0
		.amdhsa_user_sgpr_private_segment_size 0
		.amdhsa_uses_dynamic_stack 0
		.amdhsa_system_sgpr_private_segment_wavefront_offset 0
		.amdhsa_system_sgpr_workgroup_id_x 1
		.amdhsa_system_sgpr_workgroup_id_y 0
		.amdhsa_system_sgpr_workgroup_id_z 0
		.amdhsa_system_sgpr_workgroup_info 0
		.amdhsa_system_vgpr_workitem_id 0
		.amdhsa_next_free_vgpr 25
		.amdhsa_next_free_sgpr 42
		.amdhsa_accum_offset 28
		.amdhsa_reserve_vcc 1
		.amdhsa_reserve_flat_scratch 0
		.amdhsa_float_round_mode_32 0
		.amdhsa_float_round_mode_16_64 0
		.amdhsa_float_denorm_mode_32 3
		.amdhsa_float_denorm_mode_16_64 3
		.amdhsa_dx10_clamp 1
		.amdhsa_ieee_mode 1
		.amdhsa_fp16_overflow 0
		.amdhsa_tg_split 0
		.amdhsa_exception_fp_ieee_invalid_op 0
		.amdhsa_exception_fp_denorm_src 0
		.amdhsa_exception_fp_ieee_div_zero 0
		.amdhsa_exception_fp_ieee_overflow 0
		.amdhsa_exception_fp_ieee_underflow 0
		.amdhsa_exception_fp_ieee_inexact 0
		.amdhsa_exception_int_div_zero 0
	.end_amdhsa_kernel
	.section	.text._ZN9rocsparseL37gebsr2csr_block_per_row_33_128_kernelILi1024ELi64ELi128ELi32ELi32E21rocsparse_complex_numIfEEEv20rocsparse_direction_ii21rocsparse_index_base_PKT4_PKiS9_iiS4_PS5_PiSB_,"axG",@progbits,_ZN9rocsparseL37gebsr2csr_block_per_row_33_128_kernelILi1024ELi64ELi128ELi32ELi32E21rocsparse_complex_numIfEEEv20rocsparse_direction_ii21rocsparse_index_base_PKT4_PKiS9_iiS4_PS5_PiSB_,comdat
.Lfunc_end139:
	.size	_ZN9rocsparseL37gebsr2csr_block_per_row_33_128_kernelILi1024ELi64ELi128ELi32ELi32E21rocsparse_complex_numIfEEEv20rocsparse_direction_ii21rocsparse_index_base_PKT4_PKiS9_iiS4_PS5_PiSB_, .Lfunc_end139-_ZN9rocsparseL37gebsr2csr_block_per_row_33_128_kernelILi1024ELi64ELi128ELi32ELi32E21rocsparse_complex_numIfEEEv20rocsparse_direction_ii21rocsparse_index_base_PKT4_PKiS9_iiS4_PS5_PiSB_
                                        ; -- End function
	.section	.AMDGPU.csdata,"",@progbits
; Kernel info:
; codeLenInByte = 2008
; NumSgprs: 46
; NumVgprs: 25
; NumAgprs: 0
; TotalNumVgprs: 25
; ScratchSize: 0
; MemoryBound: 0
; FloatMode: 240
; IeeeMode: 1
; LDSByteSize: 0 bytes/workgroup (compile time only)
; SGPRBlocks: 5
; VGPRBlocks: 3
; NumSGPRsForWavesPerEU: 46
; NumVGPRsForWavesPerEU: 25
; AccumOffset: 28
; Occupancy: 8
; WaveLimiterHint : 1
; COMPUTE_PGM_RSRC2:SCRATCH_EN: 0
; COMPUTE_PGM_RSRC2:USER_SGPR: 6
; COMPUTE_PGM_RSRC2:TRAP_HANDLER: 0
; COMPUTE_PGM_RSRC2:TGID_X_EN: 1
; COMPUTE_PGM_RSRC2:TGID_Y_EN: 0
; COMPUTE_PGM_RSRC2:TGID_Z_EN: 0
; COMPUTE_PGM_RSRC2:TIDIG_COMP_CNT: 0
; COMPUTE_PGM_RSRC3_GFX90A:ACCUM_OFFSET: 6
; COMPUTE_PGM_RSRC3_GFX90A:TG_SPLIT: 0
	.section	.text._ZN9rocsparseL37gebsr2csr_block_per_row_33_128_kernelILi1024ELi128ELi2ELi32ELi2E21rocsparse_complex_numIfEEEv20rocsparse_direction_ii21rocsparse_index_base_PKT4_PKiS9_iiS4_PS5_PiSB_,"axG",@progbits,_ZN9rocsparseL37gebsr2csr_block_per_row_33_128_kernelILi1024ELi128ELi2ELi32ELi2E21rocsparse_complex_numIfEEEv20rocsparse_direction_ii21rocsparse_index_base_PKT4_PKiS9_iiS4_PS5_PiSB_,comdat
	.globl	_ZN9rocsparseL37gebsr2csr_block_per_row_33_128_kernelILi1024ELi128ELi2ELi32ELi2E21rocsparse_complex_numIfEEEv20rocsparse_direction_ii21rocsparse_index_base_PKT4_PKiS9_iiS4_PS5_PiSB_ ; -- Begin function _ZN9rocsparseL37gebsr2csr_block_per_row_33_128_kernelILi1024ELi128ELi2ELi32ELi2E21rocsparse_complex_numIfEEEv20rocsparse_direction_ii21rocsparse_index_base_PKT4_PKiS9_iiS4_PS5_PiSB_
	.p2align	8
	.type	_ZN9rocsparseL37gebsr2csr_block_per_row_33_128_kernelILi1024ELi128ELi2ELi32ELi2E21rocsparse_complex_numIfEEEv20rocsparse_direction_ii21rocsparse_index_base_PKT4_PKiS9_iiS4_PS5_PiSB_,@function
_ZN9rocsparseL37gebsr2csr_block_per_row_33_128_kernelILi1024ELi128ELi2ELi32ELi2E21rocsparse_complex_numIfEEEv20rocsparse_direction_ii21rocsparse_index_base_PKT4_PKiS9_iiS4_PS5_PiSB_: ; @_ZN9rocsparseL37gebsr2csr_block_per_row_33_128_kernelILi1024ELi128ELi2ELi32ELi2E21rocsparse_complex_numIfEEEv20rocsparse_direction_ii21rocsparse_index_base_PKT4_PKiS9_iiS4_PS5_PiSB_
; %bb.0:
	s_load_dwordx2 s[0:1], s[4:5], 0x18
	s_load_dwordx4 s[12:15], s[4:5], 0x28
	s_load_dwordx2 s[2:3], s[4:5], 0x40
	s_ashr_i32 s7, s6, 31
	s_lshl_b64 s[8:9], s[6:7], 2
	s_waitcnt lgkmcnt(0)
	s_add_u32 s0, s0, s8
	s_addc_u32 s1, s1, s9
	s_load_dwordx2 s[22:23], s[0:1], 0x0
	v_or_b32_e32 v1, s6, v0
	v_cmp_eq_u32_e32 vcc, 0, v1
	s_and_saveexec_b64 s[0:1], vcc
	s_cbranch_execz .LBB140_2
; %bb.1:
	v_mov_b32_e32 v1, 0
	v_mov_b32_e32 v2, s14
	global_store_dword v1, v2, s[2:3]
.LBB140_2:
	s_or_b64 exec, exec, s[0:1]
	s_load_dword s24, s[4:5], 0xc
	v_lshrrev_b32_e32 v2, 1, v0
	s_mul_i32 s15, s6, s12
	s_waitcnt lgkmcnt(0)
	s_sub_i32 s10, s22, s24
	s_sub_i32 s25, s23, s24
	s_mul_i32 s11, s10, s13
	s_sub_i32 s27, s25, s10
	s_mul_i32 s0, s11, s12
	s_mul_i32 s18, s27, s13
	s_add_i32 s19, s0, s14
	s_add_i32 s19, s19, s18
	v_cmp_gt_i32_e64 s[0:1], s12, v2
	s_and_saveexec_b64 s[6:7], s[0:1]
	s_cbranch_execz .LBB140_4
; %bb.3:
	v_add_u32_e32 v4, s15, v2
	v_ashrrev_i32_e32 v5, 31, v4
	v_lshlrev_b64 v[4:5], 2, v[4:5]
	v_mul_lo_u32 v1, v2, s18
	v_mov_b32_e32 v3, s3
	v_add_co_u32_e32 v4, vcc, s2, v4
	v_add_u32_e32 v1, s19, v1
	v_addc_co_u32_e32 v5, vcc, v3, v5, vcc
	global_store_dword v[4:5], v1, off offset:4
.LBB140_4:
	s_or_b64 exec, exec, s[6:7]
	s_add_u32 s20, s2, 4
	v_add_u32_e32 v1, 32, v2
	s_addc_u32 s21, s3, 0
	v_cmp_gt_i32_e64 s[2:3], s12, v1
	s_and_saveexec_b64 s[6:7], s[2:3]
	s_cbranch_execz .LBB140_6
; %bb.5:
	s_ashr_i32 s8, s15, 31
	v_mov_b32_e32 v3, s8
	v_add_co_u32_e32 v4, vcc, s15, v2
	v_addc_co_u32_e32 v5, vcc, 0, v3, vcc
	v_lshlrev_b64 v[4:5], 2, v[4:5]
	v_mul_lo_u32 v1, v1, s18
	v_mov_b32_e32 v3, s21
	v_add_co_u32_e32 v4, vcc, s20, v4
	v_add_u32_e32 v1, s19, v1
	v_addc_co_u32_e32 v5, vcc, v3, v5, vcc
	global_store_dword v[4:5], v1, off offset:128
.LBB140_6:
	s_or_b64 exec, exec, s[6:7]
	v_add_u32_e32 v1, 64, v2
	v_cmp_gt_i32_e64 s[6:7], s12, v1
	s_and_saveexec_b64 s[8:9], s[6:7]
	s_cbranch_execz .LBB140_8
; %bb.7:
	s_ashr_i32 s16, s15, 31
	v_mov_b32_e32 v3, s16
	v_add_co_u32_e32 v4, vcc, s15, v2
	v_addc_co_u32_e32 v5, vcc, 0, v3, vcc
	v_lshlrev_b64 v[4:5], 2, v[4:5]
	v_mul_lo_u32 v1, v1, s18
	v_mov_b32_e32 v3, s21
	v_add_co_u32_e32 v4, vcc, s20, v4
	v_add_u32_e32 v1, s19, v1
	v_addc_co_u32_e32 v5, vcc, v3, v5, vcc
	global_store_dword v[4:5], v1, off offset:256
.LBB140_8:
	s_or_b64 exec, exec, s[8:9]
	v_add_u32_e32 v1, 0x60, v2
	v_cmp_gt_i32_e64 s[8:9], s12, v1
	s_and_saveexec_b64 s[16:17], s[8:9]
	s_cbranch_execz .LBB140_10
; %bb.9:
	v_mul_lo_u32 v1, v1, s18
	s_ashr_i32 s18, s15, 31
	v_mov_b32_e32 v3, s18
	v_add_co_u32_e32 v4, vcc, s15, v2
	v_addc_co_u32_e32 v5, vcc, 0, v3, vcc
	v_lshlrev_b64 v[4:5], 2, v[4:5]
	v_mov_b32_e32 v3, s21
	v_add_co_u32_e32 v4, vcc, s20, v4
	v_add_u32_e32 v1, s19, v1
	v_addc_co_u32_e32 v5, vcc, v3, v5, vcc
	global_store_dword v[4:5], v1, off offset:384
.LBB140_10:
	s_or_b64 exec, exec, s[16:17]
	s_cmp_lt_i32 s22, s23
	s_cbranch_scc0 .LBB140_21
; %bb.11:
	s_load_dwordx2 s[28:29], s[4:5], 0x20
	s_load_dwordx2 s[16:17], s[4:5], 0x38
	;; [unrolled: 1-line block ×4, first 2 shown]
	s_load_dword s15, s[4:5], 0x0
	v_and_b32_e32 v3, 1, v0
	v_cmp_gt_i32_e64 s[4:5], s13, v3
	v_add_u32_e32 v4, s14, v3
	v_mul_lo_u32 v9, v2, s27
	s_waitcnt lgkmcnt(0)
	s_cmp_eq_u32 s15, 0
	s_cselect_b64 vcc, -1, 0
	s_and_b64 s[14:15], s[4:5], s[0:1]
	s_and_b64 s[2:3], s[4:5], s[2:3]
	;; [unrolled: 1-line block ×4, first 2 shown]
	s_mul_i32 s8, s12, s10
	v_add_u32_e32 v0, s8, v2
	v_add_u32_e32 v1, 0x60, v0
	v_mul_lo_u32 v5, s13, v1
	v_add_u32_e32 v1, 64, v0
	v_mul_lo_u32 v6, s13, v1
	;; [unrolled: 2-line block ×4, first 2 shown]
	v_mad_u64_u32 v[0:1], s[0:1], s12, v0, v[2:3]
	v_add_u32_e32 v10, s8, v9
	s_mul_i32 s0, s23, 0x60
	v_add_u32_e32 v1, s0, v10
	s_mul_i32 s0, s22, 0x60
	v_subrev_u32_e32 v1, s0, v1
	v_lshl_add_u32 v2, s23, 6, v10
	s_lshl_b32 s0, s22, 6
	v_subrev_u32_e32 v2, s0, v2
	v_lshl_add_u32 v9, s23, 5, v10
	s_lshl_b32 s0, s22, 5
	s_ashr_i32 s11, s10, 31
	v_subrev_u32_e32 v9, s0, v9
	s_lshl_b64 s[0:1], s[10:11], 2
	s_add_u32 s8, s28, s0
	s_mul_i32 s26, s13, s12
	v_mul_lo_u32 v1, s13, v1
	v_mul_lo_u32 v2, s13, v2
	;; [unrolled: 1-line block ×4, first 2 shown]
	s_addc_u32 s9, s29, s1
	s_branch .LBB140_13
.LBB140_12:                             ;   in Loop: Header=BB140_13 Depth=1
	s_or_b64 exec, exec, s[22:23]
	s_add_i32 s10, s10, 1
	s_add_u32 s8, s8, 4
	s_addc_u32 s9, s9, 0
	v_add_u32_e32 v5, s26, v5
	v_add_u32_e32 v6, s26, v6
	;; [unrolled: 1-line block ×8, first 2 shown]
	s_cmp_ge_i32 s10, s25
	v_add_u32_e32 v10, s13, v10
	s_cbranch_scc1 .LBB140_21
.LBB140_13:                             ; =>This Inner Loop Header: Depth=1
	s_load_dword s0, s[8:9], 0x0
	s_waitcnt lgkmcnt(0)
	s_sub_i32 s0, s0, s24
	s_mul_i32 s0, s0, s13
	v_add_u32_e32 v11, s0, v4
	s_and_saveexec_b64 s[22:23], s[14:15]
	s_cbranch_execnz .LBB140_17
; %bb.14:                               ;   in Loop: Header=BB140_13 Depth=1
	s_or_b64 exec, exec, s[22:23]
	s_and_saveexec_b64 s[22:23], s[2:3]
	s_cbranch_execnz .LBB140_18
.LBB140_15:                             ;   in Loop: Header=BB140_13 Depth=1
	s_or_b64 exec, exec, s[22:23]
	s_and_saveexec_b64 s[22:23], s[6:7]
	s_cbranch_execnz .LBB140_19
.LBB140_16:                             ;   in Loop: Header=BB140_13 Depth=1
	s_or_b64 exec, exec, s[22:23]
	s_and_saveexec_b64 s[22:23], s[4:5]
	s_cbranch_execz .LBB140_12
	s_branch .LBB140_20
.LBB140_17:                             ;   in Loop: Header=BB140_13 Depth=1
	v_add_u32_e32 v12, v3, v8
	v_cndmask_b32_e32 v12, v0, v12, vcc
	v_ashrrev_i32_e32 v13, 31, v12
	v_lshlrev_b64 v[12:13], 3, v[12:13]
	v_mov_b32_e32 v14, s21
	v_add_co_u32_e64 v12, s[0:1], s20, v12
	v_addc_co_u32_e64 v13, s[0:1], v14, v13, s[0:1]
	global_load_dwordx2 v[12:13], v[12:13], off
	v_add_u32_e32 v14, v3, v10
	v_ashrrev_i32_e32 v15, 31, v14
	v_lshlrev_b64 v[16:17], 2, v[14:15]
	v_mov_b32_e32 v18, s19
	v_add_co_u32_e64 v16, s[0:1], s18, v16
	v_addc_co_u32_e64 v17, s[0:1], v18, v17, s[0:1]
	v_lshlrev_b64 v[14:15], 3, v[14:15]
	global_store_dword v[16:17], v11, off
	v_mov_b32_e32 v16, s17
	v_add_co_u32_e64 v14, s[0:1], s16, v14
	v_addc_co_u32_e64 v15, s[0:1], v16, v15, s[0:1]
	s_waitcnt vmcnt(1)
	global_store_dwordx2 v[14:15], v[12:13], off
	s_or_b64 exec, exec, s[22:23]
	s_and_saveexec_b64 s[22:23], s[2:3]
	s_cbranch_execz .LBB140_15
.LBB140_18:                             ;   in Loop: Header=BB140_13 Depth=1
	v_add_u32_e32 v12, v3, v7
	v_add_u32_e32 v13, 32, v0
	v_cndmask_b32_e32 v12, v13, v12, vcc
	v_ashrrev_i32_e32 v13, 31, v12
	v_lshlrev_b64 v[12:13], 3, v[12:13]
	v_mov_b32_e32 v14, s21
	v_add_co_u32_e64 v12, s[0:1], s20, v12
	v_addc_co_u32_e64 v13, s[0:1], v14, v13, s[0:1]
	global_load_dwordx2 v[12:13], v[12:13], off
	v_add_u32_e32 v14, v3, v9
	v_ashrrev_i32_e32 v15, 31, v14
	v_lshlrev_b64 v[16:17], 2, v[14:15]
	v_mov_b32_e32 v18, s19
	v_add_co_u32_e64 v16, s[0:1], s18, v16
	v_addc_co_u32_e64 v17, s[0:1], v18, v17, s[0:1]
	v_lshlrev_b64 v[14:15], 3, v[14:15]
	global_store_dword v[16:17], v11, off
	v_mov_b32_e32 v16, s17
	v_add_co_u32_e64 v14, s[0:1], s16, v14
	v_addc_co_u32_e64 v15, s[0:1], v16, v15, s[0:1]
	s_waitcnt vmcnt(1)
	global_store_dwordx2 v[14:15], v[12:13], off
	s_or_b64 exec, exec, s[22:23]
	s_and_saveexec_b64 s[22:23], s[6:7]
	s_cbranch_execz .LBB140_16
.LBB140_19:                             ;   in Loop: Header=BB140_13 Depth=1
	v_add_u32_e32 v12, v3, v6
	v_add_u32_e32 v13, 64, v0
	v_cndmask_b32_e32 v12, v13, v12, vcc
	v_ashrrev_i32_e32 v13, 31, v12
	v_lshlrev_b64 v[12:13], 3, v[12:13]
	v_mov_b32_e32 v14, s21
	v_add_co_u32_e64 v12, s[0:1], s20, v12
	v_addc_co_u32_e64 v13, s[0:1], v14, v13, s[0:1]
	global_load_dwordx2 v[12:13], v[12:13], off
	v_add_u32_e32 v14, v3, v2
	v_ashrrev_i32_e32 v15, 31, v14
	v_lshlrev_b64 v[16:17], 2, v[14:15]
	v_mov_b32_e32 v18, s19
	v_add_co_u32_e64 v16, s[0:1], s18, v16
	v_addc_co_u32_e64 v17, s[0:1], v18, v17, s[0:1]
	v_lshlrev_b64 v[14:15], 3, v[14:15]
	global_store_dword v[16:17], v11, off
	v_mov_b32_e32 v16, s17
	v_add_co_u32_e64 v14, s[0:1], s16, v14
	v_addc_co_u32_e64 v15, s[0:1], v16, v15, s[0:1]
	s_waitcnt vmcnt(1)
	global_store_dwordx2 v[14:15], v[12:13], off
	s_or_b64 exec, exec, s[22:23]
	s_and_saveexec_b64 s[22:23], s[4:5]
	s_cbranch_execz .LBB140_12
.LBB140_20:                             ;   in Loop: Header=BB140_13 Depth=1
	v_add_u32_e32 v12, v3, v5
	v_add_u32_e32 v13, 0x60, v0
	v_cndmask_b32_e32 v12, v13, v12, vcc
	v_ashrrev_i32_e32 v13, 31, v12
	v_lshlrev_b64 v[12:13], 3, v[12:13]
	v_mov_b32_e32 v14, s21
	v_add_co_u32_e64 v12, s[0:1], s20, v12
	v_addc_co_u32_e64 v13, s[0:1], v14, v13, s[0:1]
	global_load_dwordx2 v[12:13], v[12:13], off
	v_add_u32_e32 v14, v3, v1
	v_ashrrev_i32_e32 v15, 31, v14
	v_lshlrev_b64 v[16:17], 2, v[14:15]
	v_mov_b32_e32 v18, s19
	v_add_co_u32_e64 v16, s[0:1], s18, v16
	v_addc_co_u32_e64 v17, s[0:1], v18, v17, s[0:1]
	v_lshlrev_b64 v[14:15], 3, v[14:15]
	global_store_dword v[16:17], v11, off
	v_mov_b32_e32 v11, s17
	v_add_co_u32_e64 v14, s[0:1], s16, v14
	v_addc_co_u32_e64 v15, s[0:1], v11, v15, s[0:1]
	s_waitcnt vmcnt(1)
	global_store_dwordx2 v[14:15], v[12:13], off
	s_branch .LBB140_12
.LBB140_21:
	s_endpgm
	.section	.rodata,"a",@progbits
	.p2align	6, 0x0
	.amdhsa_kernel _ZN9rocsparseL37gebsr2csr_block_per_row_33_128_kernelILi1024ELi128ELi2ELi32ELi2E21rocsparse_complex_numIfEEEv20rocsparse_direction_ii21rocsparse_index_base_PKT4_PKiS9_iiS4_PS5_PiSB_
		.amdhsa_group_segment_fixed_size 0
		.amdhsa_private_segment_fixed_size 0
		.amdhsa_kernarg_size 80
		.amdhsa_user_sgpr_count 6
		.amdhsa_user_sgpr_private_segment_buffer 1
		.amdhsa_user_sgpr_dispatch_ptr 0
		.amdhsa_user_sgpr_queue_ptr 0
		.amdhsa_user_sgpr_kernarg_segment_ptr 1
		.amdhsa_user_sgpr_dispatch_id 0
		.amdhsa_user_sgpr_flat_scratch_init 0
		.amdhsa_user_sgpr_kernarg_preload_length 0
		.amdhsa_user_sgpr_kernarg_preload_offset 0
		.amdhsa_user_sgpr_private_segment_size 0
		.amdhsa_uses_dynamic_stack 0
		.amdhsa_system_sgpr_private_segment_wavefront_offset 0
		.amdhsa_system_sgpr_workgroup_id_x 1
		.amdhsa_system_sgpr_workgroup_id_y 0
		.amdhsa_system_sgpr_workgroup_id_z 0
		.amdhsa_system_sgpr_workgroup_info 0
		.amdhsa_system_vgpr_workitem_id 0
		.amdhsa_next_free_vgpr 19
		.amdhsa_next_free_sgpr 30
		.amdhsa_accum_offset 20
		.amdhsa_reserve_vcc 1
		.amdhsa_reserve_flat_scratch 0
		.amdhsa_float_round_mode_32 0
		.amdhsa_float_round_mode_16_64 0
		.amdhsa_float_denorm_mode_32 3
		.amdhsa_float_denorm_mode_16_64 3
		.amdhsa_dx10_clamp 1
		.amdhsa_ieee_mode 1
		.amdhsa_fp16_overflow 0
		.amdhsa_tg_split 0
		.amdhsa_exception_fp_ieee_invalid_op 0
		.amdhsa_exception_fp_denorm_src 0
		.amdhsa_exception_fp_ieee_div_zero 0
		.amdhsa_exception_fp_ieee_overflow 0
		.amdhsa_exception_fp_ieee_underflow 0
		.amdhsa_exception_fp_ieee_inexact 0
		.amdhsa_exception_int_div_zero 0
	.end_amdhsa_kernel
	.section	.text._ZN9rocsparseL37gebsr2csr_block_per_row_33_128_kernelILi1024ELi128ELi2ELi32ELi2E21rocsparse_complex_numIfEEEv20rocsparse_direction_ii21rocsparse_index_base_PKT4_PKiS9_iiS4_PS5_PiSB_,"axG",@progbits,_ZN9rocsparseL37gebsr2csr_block_per_row_33_128_kernelILi1024ELi128ELi2ELi32ELi2E21rocsparse_complex_numIfEEEv20rocsparse_direction_ii21rocsparse_index_base_PKT4_PKiS9_iiS4_PS5_PiSB_,comdat
.Lfunc_end140:
	.size	_ZN9rocsparseL37gebsr2csr_block_per_row_33_128_kernelILi1024ELi128ELi2ELi32ELi2E21rocsparse_complex_numIfEEEv20rocsparse_direction_ii21rocsparse_index_base_PKT4_PKiS9_iiS4_PS5_PiSB_, .Lfunc_end140-_ZN9rocsparseL37gebsr2csr_block_per_row_33_128_kernelILi1024ELi128ELi2ELi32ELi2E21rocsparse_complex_numIfEEEv20rocsparse_direction_ii21rocsparse_index_base_PKT4_PKiS9_iiS4_PS5_PiSB_
                                        ; -- End function
	.section	.AMDGPU.csdata,"",@progbits
; Kernel info:
; codeLenInByte = 1464
; NumSgprs: 34
; NumVgprs: 19
; NumAgprs: 0
; TotalNumVgprs: 19
; ScratchSize: 0
; MemoryBound: 0
; FloatMode: 240
; IeeeMode: 1
; LDSByteSize: 0 bytes/workgroup (compile time only)
; SGPRBlocks: 4
; VGPRBlocks: 2
; NumSGPRsForWavesPerEU: 34
; NumVGPRsForWavesPerEU: 19
; AccumOffset: 20
; Occupancy: 8
; WaveLimiterHint : 0
; COMPUTE_PGM_RSRC2:SCRATCH_EN: 0
; COMPUTE_PGM_RSRC2:USER_SGPR: 6
; COMPUTE_PGM_RSRC2:TRAP_HANDLER: 0
; COMPUTE_PGM_RSRC2:TGID_X_EN: 1
; COMPUTE_PGM_RSRC2:TGID_Y_EN: 0
; COMPUTE_PGM_RSRC2:TGID_Z_EN: 0
; COMPUTE_PGM_RSRC2:TIDIG_COMP_CNT: 0
; COMPUTE_PGM_RSRC3_GFX90A:ACCUM_OFFSET: 4
; COMPUTE_PGM_RSRC3_GFX90A:TG_SPLIT: 0
	.section	.text._ZN9rocsparseL37gebsr2csr_block_per_row_33_128_kernelILi1024ELi128ELi4ELi32ELi4E21rocsparse_complex_numIfEEEv20rocsparse_direction_ii21rocsparse_index_base_PKT4_PKiS9_iiS4_PS5_PiSB_,"axG",@progbits,_ZN9rocsparseL37gebsr2csr_block_per_row_33_128_kernelILi1024ELi128ELi4ELi32ELi4E21rocsparse_complex_numIfEEEv20rocsparse_direction_ii21rocsparse_index_base_PKT4_PKiS9_iiS4_PS5_PiSB_,comdat
	.globl	_ZN9rocsparseL37gebsr2csr_block_per_row_33_128_kernelILi1024ELi128ELi4ELi32ELi4E21rocsparse_complex_numIfEEEv20rocsparse_direction_ii21rocsparse_index_base_PKT4_PKiS9_iiS4_PS5_PiSB_ ; -- Begin function _ZN9rocsparseL37gebsr2csr_block_per_row_33_128_kernelILi1024ELi128ELi4ELi32ELi4E21rocsparse_complex_numIfEEEv20rocsparse_direction_ii21rocsparse_index_base_PKT4_PKiS9_iiS4_PS5_PiSB_
	.p2align	8
	.type	_ZN9rocsparseL37gebsr2csr_block_per_row_33_128_kernelILi1024ELi128ELi4ELi32ELi4E21rocsparse_complex_numIfEEEv20rocsparse_direction_ii21rocsparse_index_base_PKT4_PKiS9_iiS4_PS5_PiSB_,@function
_ZN9rocsparseL37gebsr2csr_block_per_row_33_128_kernelILi1024ELi128ELi4ELi32ELi4E21rocsparse_complex_numIfEEEv20rocsparse_direction_ii21rocsparse_index_base_PKT4_PKiS9_iiS4_PS5_PiSB_: ; @_ZN9rocsparseL37gebsr2csr_block_per_row_33_128_kernelILi1024ELi128ELi4ELi32ELi4E21rocsparse_complex_numIfEEEv20rocsparse_direction_ii21rocsparse_index_base_PKT4_PKiS9_iiS4_PS5_PiSB_
; %bb.0:
	s_load_dwordx2 s[0:1], s[4:5], 0x18
	s_load_dwordx4 s[12:15], s[4:5], 0x28
	s_load_dwordx2 s[2:3], s[4:5], 0x40
	s_ashr_i32 s7, s6, 31
	s_lshl_b64 s[8:9], s[6:7], 2
	s_waitcnt lgkmcnt(0)
	s_add_u32 s0, s0, s8
	s_addc_u32 s1, s1, s9
	s_load_dwordx2 s[22:23], s[0:1], 0x0
	v_or_b32_e32 v1, s6, v0
	v_cmp_eq_u32_e32 vcc, 0, v1
	s_and_saveexec_b64 s[0:1], vcc
	s_cbranch_execz .LBB141_2
; %bb.1:
	v_mov_b32_e32 v1, 0
	v_mov_b32_e32 v2, s14
	global_store_dword v1, v2, s[2:3]
.LBB141_2:
	s_or_b64 exec, exec, s[0:1]
	s_load_dword s24, s[4:5], 0xc
	v_lshrrev_b32_e32 v2, 2, v0
	s_mul_i32 s15, s6, s12
	s_waitcnt lgkmcnt(0)
	s_sub_i32 s10, s22, s24
	s_sub_i32 s25, s23, s24
	s_mul_i32 s11, s10, s13
	s_sub_i32 s27, s25, s10
	s_mul_i32 s0, s11, s12
	s_mul_i32 s18, s27, s13
	s_add_i32 s19, s0, s14
	s_add_i32 s19, s19, s18
	v_cmp_gt_i32_e64 s[0:1], s12, v2
	s_and_saveexec_b64 s[6:7], s[0:1]
	s_cbranch_execz .LBB141_4
; %bb.3:
	v_add_u32_e32 v4, s15, v2
	v_ashrrev_i32_e32 v5, 31, v4
	v_lshlrev_b64 v[4:5], 2, v[4:5]
	v_mul_lo_u32 v1, v2, s18
	v_mov_b32_e32 v3, s3
	v_add_co_u32_e32 v4, vcc, s2, v4
	v_add_u32_e32 v1, s19, v1
	v_addc_co_u32_e32 v5, vcc, v3, v5, vcc
	global_store_dword v[4:5], v1, off offset:4
.LBB141_4:
	s_or_b64 exec, exec, s[6:7]
	s_add_u32 s20, s2, 4
	v_add_u32_e32 v1, 32, v2
	s_addc_u32 s21, s3, 0
	v_cmp_gt_i32_e64 s[2:3], s12, v1
	s_and_saveexec_b64 s[6:7], s[2:3]
	s_cbranch_execz .LBB141_6
; %bb.5:
	s_ashr_i32 s8, s15, 31
	v_mov_b32_e32 v3, s8
	v_add_co_u32_e32 v4, vcc, s15, v2
	v_addc_co_u32_e32 v5, vcc, 0, v3, vcc
	v_lshlrev_b64 v[4:5], 2, v[4:5]
	v_mul_lo_u32 v1, v1, s18
	v_mov_b32_e32 v3, s21
	v_add_co_u32_e32 v4, vcc, s20, v4
	v_add_u32_e32 v1, s19, v1
	v_addc_co_u32_e32 v5, vcc, v3, v5, vcc
	global_store_dword v[4:5], v1, off offset:128
.LBB141_6:
	s_or_b64 exec, exec, s[6:7]
	v_add_u32_e32 v1, 64, v2
	v_cmp_gt_i32_e64 s[6:7], s12, v1
	s_and_saveexec_b64 s[8:9], s[6:7]
	s_cbranch_execz .LBB141_8
; %bb.7:
	s_ashr_i32 s16, s15, 31
	v_mov_b32_e32 v3, s16
	v_add_co_u32_e32 v4, vcc, s15, v2
	v_addc_co_u32_e32 v5, vcc, 0, v3, vcc
	v_lshlrev_b64 v[4:5], 2, v[4:5]
	v_mul_lo_u32 v1, v1, s18
	v_mov_b32_e32 v3, s21
	v_add_co_u32_e32 v4, vcc, s20, v4
	v_add_u32_e32 v1, s19, v1
	v_addc_co_u32_e32 v5, vcc, v3, v5, vcc
	global_store_dword v[4:5], v1, off offset:256
.LBB141_8:
	s_or_b64 exec, exec, s[8:9]
	v_add_u32_e32 v1, 0x60, v2
	v_cmp_gt_i32_e64 s[8:9], s12, v1
	s_and_saveexec_b64 s[16:17], s[8:9]
	s_cbranch_execz .LBB141_10
; %bb.9:
	v_mul_lo_u32 v1, v1, s18
	s_ashr_i32 s18, s15, 31
	v_mov_b32_e32 v3, s18
	v_add_co_u32_e32 v4, vcc, s15, v2
	v_addc_co_u32_e32 v5, vcc, 0, v3, vcc
	v_lshlrev_b64 v[4:5], 2, v[4:5]
	v_mov_b32_e32 v3, s21
	v_add_co_u32_e32 v4, vcc, s20, v4
	v_add_u32_e32 v1, s19, v1
	v_addc_co_u32_e32 v5, vcc, v3, v5, vcc
	global_store_dword v[4:5], v1, off offset:384
.LBB141_10:
	s_or_b64 exec, exec, s[16:17]
	s_cmp_lt_i32 s22, s23
	s_cbranch_scc0 .LBB141_21
; %bb.11:
	s_load_dwordx2 s[28:29], s[4:5], 0x20
	s_load_dwordx2 s[16:17], s[4:5], 0x38
	;; [unrolled: 1-line block ×4, first 2 shown]
	s_load_dword s15, s[4:5], 0x0
	v_and_b32_e32 v3, 3, v0
	v_cmp_gt_i32_e64 s[4:5], s13, v3
	v_add_u32_e32 v4, s14, v3
	v_mul_lo_u32 v9, v2, s27
	s_waitcnt lgkmcnt(0)
	s_cmp_eq_u32 s15, 0
	s_cselect_b64 vcc, -1, 0
	s_and_b64 s[14:15], s[4:5], s[0:1]
	s_and_b64 s[2:3], s[4:5], s[2:3]
	;; [unrolled: 1-line block ×4, first 2 shown]
	s_mul_i32 s8, s12, s10
	v_add_u32_e32 v0, s8, v2
	v_add_u32_e32 v1, 0x60, v0
	v_mul_lo_u32 v5, s13, v1
	v_add_u32_e32 v1, 64, v0
	v_mul_lo_u32 v6, s13, v1
	;; [unrolled: 2-line block ×4, first 2 shown]
	v_mad_u64_u32 v[0:1], s[0:1], s12, v0, v[2:3]
	v_add_u32_e32 v10, s8, v9
	s_mul_i32 s0, s23, 0x60
	v_add_u32_e32 v1, s0, v10
	s_mul_i32 s0, s22, 0x60
	v_subrev_u32_e32 v1, s0, v1
	v_lshl_add_u32 v2, s23, 6, v10
	s_lshl_b32 s0, s22, 6
	v_subrev_u32_e32 v2, s0, v2
	v_lshl_add_u32 v9, s23, 5, v10
	s_lshl_b32 s0, s22, 5
	s_ashr_i32 s11, s10, 31
	v_subrev_u32_e32 v9, s0, v9
	s_lshl_b64 s[0:1], s[10:11], 2
	s_add_u32 s8, s28, s0
	s_mul_i32 s26, s13, s12
	v_mul_lo_u32 v1, s13, v1
	v_mul_lo_u32 v2, s13, v2
	;; [unrolled: 1-line block ×4, first 2 shown]
	s_addc_u32 s9, s29, s1
	s_branch .LBB141_13
.LBB141_12:                             ;   in Loop: Header=BB141_13 Depth=1
	s_or_b64 exec, exec, s[22:23]
	s_add_i32 s10, s10, 1
	s_add_u32 s8, s8, 4
	s_addc_u32 s9, s9, 0
	v_add_u32_e32 v5, s26, v5
	v_add_u32_e32 v6, s26, v6
	;; [unrolled: 1-line block ×8, first 2 shown]
	s_cmp_ge_i32 s10, s25
	v_add_u32_e32 v10, s13, v10
	s_cbranch_scc1 .LBB141_21
.LBB141_13:                             ; =>This Inner Loop Header: Depth=1
	s_load_dword s0, s[8:9], 0x0
	s_waitcnt lgkmcnt(0)
	s_sub_i32 s0, s0, s24
	s_mul_i32 s0, s0, s13
	v_add_u32_e32 v11, s0, v4
	s_and_saveexec_b64 s[22:23], s[14:15]
	s_cbranch_execnz .LBB141_17
; %bb.14:                               ;   in Loop: Header=BB141_13 Depth=1
	s_or_b64 exec, exec, s[22:23]
	s_and_saveexec_b64 s[22:23], s[2:3]
	s_cbranch_execnz .LBB141_18
.LBB141_15:                             ;   in Loop: Header=BB141_13 Depth=1
	s_or_b64 exec, exec, s[22:23]
	s_and_saveexec_b64 s[22:23], s[6:7]
	s_cbranch_execnz .LBB141_19
.LBB141_16:                             ;   in Loop: Header=BB141_13 Depth=1
	s_or_b64 exec, exec, s[22:23]
	s_and_saveexec_b64 s[22:23], s[4:5]
	s_cbranch_execz .LBB141_12
	s_branch .LBB141_20
.LBB141_17:                             ;   in Loop: Header=BB141_13 Depth=1
	v_add_u32_e32 v12, v3, v8
	v_cndmask_b32_e32 v12, v0, v12, vcc
	v_ashrrev_i32_e32 v13, 31, v12
	v_lshlrev_b64 v[12:13], 3, v[12:13]
	v_mov_b32_e32 v14, s21
	v_add_co_u32_e64 v12, s[0:1], s20, v12
	v_addc_co_u32_e64 v13, s[0:1], v14, v13, s[0:1]
	global_load_dwordx2 v[12:13], v[12:13], off
	v_add_u32_e32 v14, v3, v10
	v_ashrrev_i32_e32 v15, 31, v14
	v_lshlrev_b64 v[16:17], 2, v[14:15]
	v_mov_b32_e32 v18, s19
	v_add_co_u32_e64 v16, s[0:1], s18, v16
	v_addc_co_u32_e64 v17, s[0:1], v18, v17, s[0:1]
	v_lshlrev_b64 v[14:15], 3, v[14:15]
	global_store_dword v[16:17], v11, off
	v_mov_b32_e32 v16, s17
	v_add_co_u32_e64 v14, s[0:1], s16, v14
	v_addc_co_u32_e64 v15, s[0:1], v16, v15, s[0:1]
	s_waitcnt vmcnt(1)
	global_store_dwordx2 v[14:15], v[12:13], off
	s_or_b64 exec, exec, s[22:23]
	s_and_saveexec_b64 s[22:23], s[2:3]
	s_cbranch_execz .LBB141_15
.LBB141_18:                             ;   in Loop: Header=BB141_13 Depth=1
	v_add_u32_e32 v12, v3, v7
	v_add_u32_e32 v13, 32, v0
	v_cndmask_b32_e32 v12, v13, v12, vcc
	v_ashrrev_i32_e32 v13, 31, v12
	v_lshlrev_b64 v[12:13], 3, v[12:13]
	v_mov_b32_e32 v14, s21
	v_add_co_u32_e64 v12, s[0:1], s20, v12
	v_addc_co_u32_e64 v13, s[0:1], v14, v13, s[0:1]
	global_load_dwordx2 v[12:13], v[12:13], off
	v_add_u32_e32 v14, v3, v9
	v_ashrrev_i32_e32 v15, 31, v14
	v_lshlrev_b64 v[16:17], 2, v[14:15]
	v_mov_b32_e32 v18, s19
	v_add_co_u32_e64 v16, s[0:1], s18, v16
	v_addc_co_u32_e64 v17, s[0:1], v18, v17, s[0:1]
	v_lshlrev_b64 v[14:15], 3, v[14:15]
	global_store_dword v[16:17], v11, off
	v_mov_b32_e32 v16, s17
	v_add_co_u32_e64 v14, s[0:1], s16, v14
	v_addc_co_u32_e64 v15, s[0:1], v16, v15, s[0:1]
	s_waitcnt vmcnt(1)
	global_store_dwordx2 v[14:15], v[12:13], off
	s_or_b64 exec, exec, s[22:23]
	s_and_saveexec_b64 s[22:23], s[6:7]
	s_cbranch_execz .LBB141_16
.LBB141_19:                             ;   in Loop: Header=BB141_13 Depth=1
	v_add_u32_e32 v12, v3, v6
	v_add_u32_e32 v13, 64, v0
	v_cndmask_b32_e32 v12, v13, v12, vcc
	v_ashrrev_i32_e32 v13, 31, v12
	v_lshlrev_b64 v[12:13], 3, v[12:13]
	v_mov_b32_e32 v14, s21
	v_add_co_u32_e64 v12, s[0:1], s20, v12
	v_addc_co_u32_e64 v13, s[0:1], v14, v13, s[0:1]
	global_load_dwordx2 v[12:13], v[12:13], off
	v_add_u32_e32 v14, v3, v2
	v_ashrrev_i32_e32 v15, 31, v14
	v_lshlrev_b64 v[16:17], 2, v[14:15]
	v_mov_b32_e32 v18, s19
	v_add_co_u32_e64 v16, s[0:1], s18, v16
	v_addc_co_u32_e64 v17, s[0:1], v18, v17, s[0:1]
	v_lshlrev_b64 v[14:15], 3, v[14:15]
	global_store_dword v[16:17], v11, off
	v_mov_b32_e32 v16, s17
	v_add_co_u32_e64 v14, s[0:1], s16, v14
	v_addc_co_u32_e64 v15, s[0:1], v16, v15, s[0:1]
	s_waitcnt vmcnt(1)
	global_store_dwordx2 v[14:15], v[12:13], off
	s_or_b64 exec, exec, s[22:23]
	s_and_saveexec_b64 s[22:23], s[4:5]
	s_cbranch_execz .LBB141_12
.LBB141_20:                             ;   in Loop: Header=BB141_13 Depth=1
	v_add_u32_e32 v12, v3, v5
	v_add_u32_e32 v13, 0x60, v0
	v_cndmask_b32_e32 v12, v13, v12, vcc
	v_ashrrev_i32_e32 v13, 31, v12
	v_lshlrev_b64 v[12:13], 3, v[12:13]
	v_mov_b32_e32 v14, s21
	v_add_co_u32_e64 v12, s[0:1], s20, v12
	v_addc_co_u32_e64 v13, s[0:1], v14, v13, s[0:1]
	global_load_dwordx2 v[12:13], v[12:13], off
	v_add_u32_e32 v14, v3, v1
	v_ashrrev_i32_e32 v15, 31, v14
	v_lshlrev_b64 v[16:17], 2, v[14:15]
	v_mov_b32_e32 v18, s19
	v_add_co_u32_e64 v16, s[0:1], s18, v16
	v_addc_co_u32_e64 v17, s[0:1], v18, v17, s[0:1]
	v_lshlrev_b64 v[14:15], 3, v[14:15]
	global_store_dword v[16:17], v11, off
	v_mov_b32_e32 v11, s17
	v_add_co_u32_e64 v14, s[0:1], s16, v14
	v_addc_co_u32_e64 v15, s[0:1], v11, v15, s[0:1]
	s_waitcnt vmcnt(1)
	global_store_dwordx2 v[14:15], v[12:13], off
	s_branch .LBB141_12
.LBB141_21:
	s_endpgm
	.section	.rodata,"a",@progbits
	.p2align	6, 0x0
	.amdhsa_kernel _ZN9rocsparseL37gebsr2csr_block_per_row_33_128_kernelILi1024ELi128ELi4ELi32ELi4E21rocsparse_complex_numIfEEEv20rocsparse_direction_ii21rocsparse_index_base_PKT4_PKiS9_iiS4_PS5_PiSB_
		.amdhsa_group_segment_fixed_size 0
		.amdhsa_private_segment_fixed_size 0
		.amdhsa_kernarg_size 80
		.amdhsa_user_sgpr_count 6
		.amdhsa_user_sgpr_private_segment_buffer 1
		.amdhsa_user_sgpr_dispatch_ptr 0
		.amdhsa_user_sgpr_queue_ptr 0
		.amdhsa_user_sgpr_kernarg_segment_ptr 1
		.amdhsa_user_sgpr_dispatch_id 0
		.amdhsa_user_sgpr_flat_scratch_init 0
		.amdhsa_user_sgpr_kernarg_preload_length 0
		.amdhsa_user_sgpr_kernarg_preload_offset 0
		.amdhsa_user_sgpr_private_segment_size 0
		.amdhsa_uses_dynamic_stack 0
		.amdhsa_system_sgpr_private_segment_wavefront_offset 0
		.amdhsa_system_sgpr_workgroup_id_x 1
		.amdhsa_system_sgpr_workgroup_id_y 0
		.amdhsa_system_sgpr_workgroup_id_z 0
		.amdhsa_system_sgpr_workgroup_info 0
		.amdhsa_system_vgpr_workitem_id 0
		.amdhsa_next_free_vgpr 19
		.amdhsa_next_free_sgpr 30
		.amdhsa_accum_offset 20
		.amdhsa_reserve_vcc 1
		.amdhsa_reserve_flat_scratch 0
		.amdhsa_float_round_mode_32 0
		.amdhsa_float_round_mode_16_64 0
		.amdhsa_float_denorm_mode_32 3
		.amdhsa_float_denorm_mode_16_64 3
		.amdhsa_dx10_clamp 1
		.amdhsa_ieee_mode 1
		.amdhsa_fp16_overflow 0
		.amdhsa_tg_split 0
		.amdhsa_exception_fp_ieee_invalid_op 0
		.amdhsa_exception_fp_denorm_src 0
		.amdhsa_exception_fp_ieee_div_zero 0
		.amdhsa_exception_fp_ieee_overflow 0
		.amdhsa_exception_fp_ieee_underflow 0
		.amdhsa_exception_fp_ieee_inexact 0
		.amdhsa_exception_int_div_zero 0
	.end_amdhsa_kernel
	.section	.text._ZN9rocsparseL37gebsr2csr_block_per_row_33_128_kernelILi1024ELi128ELi4ELi32ELi4E21rocsparse_complex_numIfEEEv20rocsparse_direction_ii21rocsparse_index_base_PKT4_PKiS9_iiS4_PS5_PiSB_,"axG",@progbits,_ZN9rocsparseL37gebsr2csr_block_per_row_33_128_kernelILi1024ELi128ELi4ELi32ELi4E21rocsparse_complex_numIfEEEv20rocsparse_direction_ii21rocsparse_index_base_PKT4_PKiS9_iiS4_PS5_PiSB_,comdat
.Lfunc_end141:
	.size	_ZN9rocsparseL37gebsr2csr_block_per_row_33_128_kernelILi1024ELi128ELi4ELi32ELi4E21rocsparse_complex_numIfEEEv20rocsparse_direction_ii21rocsparse_index_base_PKT4_PKiS9_iiS4_PS5_PiSB_, .Lfunc_end141-_ZN9rocsparseL37gebsr2csr_block_per_row_33_128_kernelILi1024ELi128ELi4ELi32ELi4E21rocsparse_complex_numIfEEEv20rocsparse_direction_ii21rocsparse_index_base_PKT4_PKiS9_iiS4_PS5_PiSB_
                                        ; -- End function
	.section	.AMDGPU.csdata,"",@progbits
; Kernel info:
; codeLenInByte = 1464
; NumSgprs: 34
; NumVgprs: 19
; NumAgprs: 0
; TotalNumVgprs: 19
; ScratchSize: 0
; MemoryBound: 0
; FloatMode: 240
; IeeeMode: 1
; LDSByteSize: 0 bytes/workgroup (compile time only)
; SGPRBlocks: 4
; VGPRBlocks: 2
; NumSGPRsForWavesPerEU: 34
; NumVGPRsForWavesPerEU: 19
; AccumOffset: 20
; Occupancy: 8
; WaveLimiterHint : 0
; COMPUTE_PGM_RSRC2:SCRATCH_EN: 0
; COMPUTE_PGM_RSRC2:USER_SGPR: 6
; COMPUTE_PGM_RSRC2:TRAP_HANDLER: 0
; COMPUTE_PGM_RSRC2:TGID_X_EN: 1
; COMPUTE_PGM_RSRC2:TGID_Y_EN: 0
; COMPUTE_PGM_RSRC2:TGID_Z_EN: 0
; COMPUTE_PGM_RSRC2:TIDIG_COMP_CNT: 0
; COMPUTE_PGM_RSRC3_GFX90A:ACCUM_OFFSET: 4
; COMPUTE_PGM_RSRC3_GFX90A:TG_SPLIT: 0
	.section	.text._ZN9rocsparseL37gebsr2csr_block_per_row_33_128_kernelILi1024ELi128ELi8ELi32ELi8E21rocsparse_complex_numIfEEEv20rocsparse_direction_ii21rocsparse_index_base_PKT4_PKiS9_iiS4_PS5_PiSB_,"axG",@progbits,_ZN9rocsparseL37gebsr2csr_block_per_row_33_128_kernelILi1024ELi128ELi8ELi32ELi8E21rocsparse_complex_numIfEEEv20rocsparse_direction_ii21rocsparse_index_base_PKT4_PKiS9_iiS4_PS5_PiSB_,comdat
	.globl	_ZN9rocsparseL37gebsr2csr_block_per_row_33_128_kernelILi1024ELi128ELi8ELi32ELi8E21rocsparse_complex_numIfEEEv20rocsparse_direction_ii21rocsparse_index_base_PKT4_PKiS9_iiS4_PS5_PiSB_ ; -- Begin function _ZN9rocsparseL37gebsr2csr_block_per_row_33_128_kernelILi1024ELi128ELi8ELi32ELi8E21rocsparse_complex_numIfEEEv20rocsparse_direction_ii21rocsparse_index_base_PKT4_PKiS9_iiS4_PS5_PiSB_
	.p2align	8
	.type	_ZN9rocsparseL37gebsr2csr_block_per_row_33_128_kernelILi1024ELi128ELi8ELi32ELi8E21rocsparse_complex_numIfEEEv20rocsparse_direction_ii21rocsparse_index_base_PKT4_PKiS9_iiS4_PS5_PiSB_,@function
_ZN9rocsparseL37gebsr2csr_block_per_row_33_128_kernelILi1024ELi128ELi8ELi32ELi8E21rocsparse_complex_numIfEEEv20rocsparse_direction_ii21rocsparse_index_base_PKT4_PKiS9_iiS4_PS5_PiSB_: ; @_ZN9rocsparseL37gebsr2csr_block_per_row_33_128_kernelILi1024ELi128ELi8ELi32ELi8E21rocsparse_complex_numIfEEEv20rocsparse_direction_ii21rocsparse_index_base_PKT4_PKiS9_iiS4_PS5_PiSB_
; %bb.0:
	s_load_dwordx2 s[0:1], s[4:5], 0x18
	s_load_dwordx4 s[12:15], s[4:5], 0x28
	s_load_dwordx2 s[2:3], s[4:5], 0x40
	s_ashr_i32 s7, s6, 31
	s_lshl_b64 s[8:9], s[6:7], 2
	s_waitcnt lgkmcnt(0)
	s_add_u32 s0, s0, s8
	s_addc_u32 s1, s1, s9
	s_load_dwordx2 s[22:23], s[0:1], 0x0
	v_or_b32_e32 v1, s6, v0
	v_cmp_eq_u32_e32 vcc, 0, v1
	s_and_saveexec_b64 s[0:1], vcc
	s_cbranch_execz .LBB142_2
; %bb.1:
	v_mov_b32_e32 v1, 0
	v_mov_b32_e32 v2, s14
	global_store_dword v1, v2, s[2:3]
.LBB142_2:
	s_or_b64 exec, exec, s[0:1]
	s_load_dword s24, s[4:5], 0xc
	v_lshrrev_b32_e32 v2, 3, v0
	s_mul_i32 s15, s6, s12
	s_waitcnt lgkmcnt(0)
	s_sub_i32 s10, s22, s24
	s_sub_i32 s25, s23, s24
	s_mul_i32 s11, s10, s13
	s_sub_i32 s27, s25, s10
	s_mul_i32 s0, s11, s12
	s_mul_i32 s18, s27, s13
	s_add_i32 s19, s0, s14
	s_add_i32 s19, s19, s18
	v_cmp_gt_i32_e64 s[0:1], s12, v2
	s_and_saveexec_b64 s[6:7], s[0:1]
	s_cbranch_execz .LBB142_4
; %bb.3:
	v_add_u32_e32 v4, s15, v2
	v_ashrrev_i32_e32 v5, 31, v4
	v_lshlrev_b64 v[4:5], 2, v[4:5]
	v_mul_lo_u32 v1, v2, s18
	v_mov_b32_e32 v3, s3
	v_add_co_u32_e32 v4, vcc, s2, v4
	v_add_u32_e32 v1, s19, v1
	v_addc_co_u32_e32 v5, vcc, v3, v5, vcc
	global_store_dword v[4:5], v1, off offset:4
.LBB142_4:
	s_or_b64 exec, exec, s[6:7]
	s_add_u32 s20, s2, 4
	v_add_u32_e32 v1, 32, v2
	s_addc_u32 s21, s3, 0
	v_cmp_gt_i32_e64 s[2:3], s12, v1
	s_and_saveexec_b64 s[6:7], s[2:3]
	s_cbranch_execz .LBB142_6
; %bb.5:
	s_ashr_i32 s8, s15, 31
	v_mov_b32_e32 v3, s8
	v_add_co_u32_e32 v4, vcc, s15, v2
	v_addc_co_u32_e32 v5, vcc, 0, v3, vcc
	v_lshlrev_b64 v[4:5], 2, v[4:5]
	v_mul_lo_u32 v1, v1, s18
	v_mov_b32_e32 v3, s21
	v_add_co_u32_e32 v4, vcc, s20, v4
	v_add_u32_e32 v1, s19, v1
	v_addc_co_u32_e32 v5, vcc, v3, v5, vcc
	global_store_dword v[4:5], v1, off offset:128
.LBB142_6:
	s_or_b64 exec, exec, s[6:7]
	v_add_u32_e32 v1, 64, v2
	v_cmp_gt_i32_e64 s[6:7], s12, v1
	s_and_saveexec_b64 s[8:9], s[6:7]
	s_cbranch_execz .LBB142_8
; %bb.7:
	s_ashr_i32 s16, s15, 31
	v_mov_b32_e32 v3, s16
	v_add_co_u32_e32 v4, vcc, s15, v2
	v_addc_co_u32_e32 v5, vcc, 0, v3, vcc
	v_lshlrev_b64 v[4:5], 2, v[4:5]
	v_mul_lo_u32 v1, v1, s18
	v_mov_b32_e32 v3, s21
	v_add_co_u32_e32 v4, vcc, s20, v4
	v_add_u32_e32 v1, s19, v1
	v_addc_co_u32_e32 v5, vcc, v3, v5, vcc
	global_store_dword v[4:5], v1, off offset:256
.LBB142_8:
	s_or_b64 exec, exec, s[8:9]
	v_add_u32_e32 v1, 0x60, v2
	v_cmp_gt_i32_e64 s[8:9], s12, v1
	s_and_saveexec_b64 s[16:17], s[8:9]
	s_cbranch_execz .LBB142_10
; %bb.9:
	v_mul_lo_u32 v1, v1, s18
	s_ashr_i32 s18, s15, 31
	v_mov_b32_e32 v3, s18
	v_add_co_u32_e32 v4, vcc, s15, v2
	v_addc_co_u32_e32 v5, vcc, 0, v3, vcc
	v_lshlrev_b64 v[4:5], 2, v[4:5]
	v_mov_b32_e32 v3, s21
	v_add_co_u32_e32 v4, vcc, s20, v4
	v_add_u32_e32 v1, s19, v1
	v_addc_co_u32_e32 v5, vcc, v3, v5, vcc
	global_store_dword v[4:5], v1, off offset:384
.LBB142_10:
	s_or_b64 exec, exec, s[16:17]
	s_cmp_lt_i32 s22, s23
	s_cbranch_scc0 .LBB142_21
; %bb.11:
	s_load_dwordx2 s[28:29], s[4:5], 0x20
	s_load_dwordx2 s[16:17], s[4:5], 0x38
	;; [unrolled: 1-line block ×4, first 2 shown]
	s_load_dword s15, s[4:5], 0x0
	v_and_b32_e32 v3, 7, v0
	v_cmp_gt_i32_e64 s[4:5], s13, v3
	v_add_u32_e32 v4, s14, v3
	v_mul_lo_u32 v9, v2, s27
	s_waitcnt lgkmcnt(0)
	s_cmp_eq_u32 s15, 0
	s_cselect_b64 vcc, -1, 0
	s_and_b64 s[14:15], s[4:5], s[0:1]
	s_and_b64 s[2:3], s[4:5], s[2:3]
	;; [unrolled: 1-line block ×4, first 2 shown]
	s_mul_i32 s8, s12, s10
	v_add_u32_e32 v0, s8, v2
	v_add_u32_e32 v1, 0x60, v0
	v_mul_lo_u32 v5, s13, v1
	v_add_u32_e32 v1, 64, v0
	v_mul_lo_u32 v6, s13, v1
	;; [unrolled: 2-line block ×4, first 2 shown]
	v_mad_u64_u32 v[0:1], s[0:1], s12, v0, v[2:3]
	v_add_u32_e32 v10, s8, v9
	s_mul_i32 s0, s23, 0x60
	v_add_u32_e32 v1, s0, v10
	s_mul_i32 s0, s22, 0x60
	v_subrev_u32_e32 v1, s0, v1
	v_lshl_add_u32 v2, s23, 6, v10
	s_lshl_b32 s0, s22, 6
	v_subrev_u32_e32 v2, s0, v2
	v_lshl_add_u32 v9, s23, 5, v10
	s_lshl_b32 s0, s22, 5
	s_ashr_i32 s11, s10, 31
	v_subrev_u32_e32 v9, s0, v9
	s_lshl_b64 s[0:1], s[10:11], 2
	s_add_u32 s8, s28, s0
	s_mul_i32 s26, s13, s12
	v_mul_lo_u32 v1, s13, v1
	v_mul_lo_u32 v2, s13, v2
	;; [unrolled: 1-line block ×4, first 2 shown]
	s_addc_u32 s9, s29, s1
	s_branch .LBB142_13
.LBB142_12:                             ;   in Loop: Header=BB142_13 Depth=1
	s_or_b64 exec, exec, s[22:23]
	s_add_i32 s10, s10, 1
	s_add_u32 s8, s8, 4
	s_addc_u32 s9, s9, 0
	v_add_u32_e32 v5, s26, v5
	v_add_u32_e32 v6, s26, v6
	;; [unrolled: 1-line block ×8, first 2 shown]
	s_cmp_ge_i32 s10, s25
	v_add_u32_e32 v10, s13, v10
	s_cbranch_scc1 .LBB142_21
.LBB142_13:                             ; =>This Inner Loop Header: Depth=1
	s_load_dword s0, s[8:9], 0x0
	s_waitcnt lgkmcnt(0)
	s_sub_i32 s0, s0, s24
	s_mul_i32 s0, s0, s13
	v_add_u32_e32 v11, s0, v4
	s_and_saveexec_b64 s[22:23], s[14:15]
	s_cbranch_execnz .LBB142_17
; %bb.14:                               ;   in Loop: Header=BB142_13 Depth=1
	s_or_b64 exec, exec, s[22:23]
	s_and_saveexec_b64 s[22:23], s[2:3]
	s_cbranch_execnz .LBB142_18
.LBB142_15:                             ;   in Loop: Header=BB142_13 Depth=1
	s_or_b64 exec, exec, s[22:23]
	s_and_saveexec_b64 s[22:23], s[6:7]
	s_cbranch_execnz .LBB142_19
.LBB142_16:                             ;   in Loop: Header=BB142_13 Depth=1
	s_or_b64 exec, exec, s[22:23]
	s_and_saveexec_b64 s[22:23], s[4:5]
	s_cbranch_execz .LBB142_12
	s_branch .LBB142_20
.LBB142_17:                             ;   in Loop: Header=BB142_13 Depth=1
	v_add_u32_e32 v12, v3, v8
	v_cndmask_b32_e32 v12, v0, v12, vcc
	v_ashrrev_i32_e32 v13, 31, v12
	v_lshlrev_b64 v[12:13], 3, v[12:13]
	v_mov_b32_e32 v14, s21
	v_add_co_u32_e64 v12, s[0:1], s20, v12
	v_addc_co_u32_e64 v13, s[0:1], v14, v13, s[0:1]
	global_load_dwordx2 v[12:13], v[12:13], off
	v_add_u32_e32 v14, v3, v10
	v_ashrrev_i32_e32 v15, 31, v14
	v_lshlrev_b64 v[16:17], 2, v[14:15]
	v_mov_b32_e32 v18, s19
	v_add_co_u32_e64 v16, s[0:1], s18, v16
	v_addc_co_u32_e64 v17, s[0:1], v18, v17, s[0:1]
	v_lshlrev_b64 v[14:15], 3, v[14:15]
	global_store_dword v[16:17], v11, off
	v_mov_b32_e32 v16, s17
	v_add_co_u32_e64 v14, s[0:1], s16, v14
	v_addc_co_u32_e64 v15, s[0:1], v16, v15, s[0:1]
	s_waitcnt vmcnt(1)
	global_store_dwordx2 v[14:15], v[12:13], off
	s_or_b64 exec, exec, s[22:23]
	s_and_saveexec_b64 s[22:23], s[2:3]
	s_cbranch_execz .LBB142_15
.LBB142_18:                             ;   in Loop: Header=BB142_13 Depth=1
	v_add_u32_e32 v12, v3, v7
	v_add_u32_e32 v13, 32, v0
	v_cndmask_b32_e32 v12, v13, v12, vcc
	v_ashrrev_i32_e32 v13, 31, v12
	v_lshlrev_b64 v[12:13], 3, v[12:13]
	v_mov_b32_e32 v14, s21
	v_add_co_u32_e64 v12, s[0:1], s20, v12
	v_addc_co_u32_e64 v13, s[0:1], v14, v13, s[0:1]
	global_load_dwordx2 v[12:13], v[12:13], off
	v_add_u32_e32 v14, v3, v9
	v_ashrrev_i32_e32 v15, 31, v14
	v_lshlrev_b64 v[16:17], 2, v[14:15]
	v_mov_b32_e32 v18, s19
	v_add_co_u32_e64 v16, s[0:1], s18, v16
	v_addc_co_u32_e64 v17, s[0:1], v18, v17, s[0:1]
	v_lshlrev_b64 v[14:15], 3, v[14:15]
	global_store_dword v[16:17], v11, off
	v_mov_b32_e32 v16, s17
	v_add_co_u32_e64 v14, s[0:1], s16, v14
	v_addc_co_u32_e64 v15, s[0:1], v16, v15, s[0:1]
	s_waitcnt vmcnt(1)
	global_store_dwordx2 v[14:15], v[12:13], off
	s_or_b64 exec, exec, s[22:23]
	s_and_saveexec_b64 s[22:23], s[6:7]
	s_cbranch_execz .LBB142_16
.LBB142_19:                             ;   in Loop: Header=BB142_13 Depth=1
	v_add_u32_e32 v12, v3, v6
	v_add_u32_e32 v13, 64, v0
	v_cndmask_b32_e32 v12, v13, v12, vcc
	v_ashrrev_i32_e32 v13, 31, v12
	v_lshlrev_b64 v[12:13], 3, v[12:13]
	v_mov_b32_e32 v14, s21
	v_add_co_u32_e64 v12, s[0:1], s20, v12
	v_addc_co_u32_e64 v13, s[0:1], v14, v13, s[0:1]
	global_load_dwordx2 v[12:13], v[12:13], off
	v_add_u32_e32 v14, v3, v2
	v_ashrrev_i32_e32 v15, 31, v14
	v_lshlrev_b64 v[16:17], 2, v[14:15]
	v_mov_b32_e32 v18, s19
	v_add_co_u32_e64 v16, s[0:1], s18, v16
	v_addc_co_u32_e64 v17, s[0:1], v18, v17, s[0:1]
	v_lshlrev_b64 v[14:15], 3, v[14:15]
	global_store_dword v[16:17], v11, off
	v_mov_b32_e32 v16, s17
	v_add_co_u32_e64 v14, s[0:1], s16, v14
	v_addc_co_u32_e64 v15, s[0:1], v16, v15, s[0:1]
	s_waitcnt vmcnt(1)
	global_store_dwordx2 v[14:15], v[12:13], off
	s_or_b64 exec, exec, s[22:23]
	s_and_saveexec_b64 s[22:23], s[4:5]
	s_cbranch_execz .LBB142_12
.LBB142_20:                             ;   in Loop: Header=BB142_13 Depth=1
	v_add_u32_e32 v12, v3, v5
	v_add_u32_e32 v13, 0x60, v0
	v_cndmask_b32_e32 v12, v13, v12, vcc
	v_ashrrev_i32_e32 v13, 31, v12
	v_lshlrev_b64 v[12:13], 3, v[12:13]
	v_mov_b32_e32 v14, s21
	v_add_co_u32_e64 v12, s[0:1], s20, v12
	v_addc_co_u32_e64 v13, s[0:1], v14, v13, s[0:1]
	global_load_dwordx2 v[12:13], v[12:13], off
	v_add_u32_e32 v14, v3, v1
	v_ashrrev_i32_e32 v15, 31, v14
	v_lshlrev_b64 v[16:17], 2, v[14:15]
	v_mov_b32_e32 v18, s19
	v_add_co_u32_e64 v16, s[0:1], s18, v16
	v_addc_co_u32_e64 v17, s[0:1], v18, v17, s[0:1]
	v_lshlrev_b64 v[14:15], 3, v[14:15]
	global_store_dword v[16:17], v11, off
	v_mov_b32_e32 v11, s17
	v_add_co_u32_e64 v14, s[0:1], s16, v14
	v_addc_co_u32_e64 v15, s[0:1], v11, v15, s[0:1]
	s_waitcnt vmcnt(1)
	global_store_dwordx2 v[14:15], v[12:13], off
	s_branch .LBB142_12
.LBB142_21:
	s_endpgm
	.section	.rodata,"a",@progbits
	.p2align	6, 0x0
	.amdhsa_kernel _ZN9rocsparseL37gebsr2csr_block_per_row_33_128_kernelILi1024ELi128ELi8ELi32ELi8E21rocsparse_complex_numIfEEEv20rocsparse_direction_ii21rocsparse_index_base_PKT4_PKiS9_iiS4_PS5_PiSB_
		.amdhsa_group_segment_fixed_size 0
		.amdhsa_private_segment_fixed_size 0
		.amdhsa_kernarg_size 80
		.amdhsa_user_sgpr_count 6
		.amdhsa_user_sgpr_private_segment_buffer 1
		.amdhsa_user_sgpr_dispatch_ptr 0
		.amdhsa_user_sgpr_queue_ptr 0
		.amdhsa_user_sgpr_kernarg_segment_ptr 1
		.amdhsa_user_sgpr_dispatch_id 0
		.amdhsa_user_sgpr_flat_scratch_init 0
		.amdhsa_user_sgpr_kernarg_preload_length 0
		.amdhsa_user_sgpr_kernarg_preload_offset 0
		.amdhsa_user_sgpr_private_segment_size 0
		.amdhsa_uses_dynamic_stack 0
		.amdhsa_system_sgpr_private_segment_wavefront_offset 0
		.amdhsa_system_sgpr_workgroup_id_x 1
		.amdhsa_system_sgpr_workgroup_id_y 0
		.amdhsa_system_sgpr_workgroup_id_z 0
		.amdhsa_system_sgpr_workgroup_info 0
		.amdhsa_system_vgpr_workitem_id 0
		.amdhsa_next_free_vgpr 19
		.amdhsa_next_free_sgpr 30
		.amdhsa_accum_offset 20
		.amdhsa_reserve_vcc 1
		.amdhsa_reserve_flat_scratch 0
		.amdhsa_float_round_mode_32 0
		.amdhsa_float_round_mode_16_64 0
		.amdhsa_float_denorm_mode_32 3
		.amdhsa_float_denorm_mode_16_64 3
		.amdhsa_dx10_clamp 1
		.amdhsa_ieee_mode 1
		.amdhsa_fp16_overflow 0
		.amdhsa_tg_split 0
		.amdhsa_exception_fp_ieee_invalid_op 0
		.amdhsa_exception_fp_denorm_src 0
		.amdhsa_exception_fp_ieee_div_zero 0
		.amdhsa_exception_fp_ieee_overflow 0
		.amdhsa_exception_fp_ieee_underflow 0
		.amdhsa_exception_fp_ieee_inexact 0
		.amdhsa_exception_int_div_zero 0
	.end_amdhsa_kernel
	.section	.text._ZN9rocsparseL37gebsr2csr_block_per_row_33_128_kernelILi1024ELi128ELi8ELi32ELi8E21rocsparse_complex_numIfEEEv20rocsparse_direction_ii21rocsparse_index_base_PKT4_PKiS9_iiS4_PS5_PiSB_,"axG",@progbits,_ZN9rocsparseL37gebsr2csr_block_per_row_33_128_kernelILi1024ELi128ELi8ELi32ELi8E21rocsparse_complex_numIfEEEv20rocsparse_direction_ii21rocsparse_index_base_PKT4_PKiS9_iiS4_PS5_PiSB_,comdat
.Lfunc_end142:
	.size	_ZN9rocsparseL37gebsr2csr_block_per_row_33_128_kernelILi1024ELi128ELi8ELi32ELi8E21rocsparse_complex_numIfEEEv20rocsparse_direction_ii21rocsparse_index_base_PKT4_PKiS9_iiS4_PS5_PiSB_, .Lfunc_end142-_ZN9rocsparseL37gebsr2csr_block_per_row_33_128_kernelILi1024ELi128ELi8ELi32ELi8E21rocsparse_complex_numIfEEEv20rocsparse_direction_ii21rocsparse_index_base_PKT4_PKiS9_iiS4_PS5_PiSB_
                                        ; -- End function
	.section	.AMDGPU.csdata,"",@progbits
; Kernel info:
; codeLenInByte = 1464
; NumSgprs: 34
; NumVgprs: 19
; NumAgprs: 0
; TotalNumVgprs: 19
; ScratchSize: 0
; MemoryBound: 0
; FloatMode: 240
; IeeeMode: 1
; LDSByteSize: 0 bytes/workgroup (compile time only)
; SGPRBlocks: 4
; VGPRBlocks: 2
; NumSGPRsForWavesPerEU: 34
; NumVGPRsForWavesPerEU: 19
; AccumOffset: 20
; Occupancy: 8
; WaveLimiterHint : 0
; COMPUTE_PGM_RSRC2:SCRATCH_EN: 0
; COMPUTE_PGM_RSRC2:USER_SGPR: 6
; COMPUTE_PGM_RSRC2:TRAP_HANDLER: 0
; COMPUTE_PGM_RSRC2:TGID_X_EN: 1
; COMPUTE_PGM_RSRC2:TGID_Y_EN: 0
; COMPUTE_PGM_RSRC2:TGID_Z_EN: 0
; COMPUTE_PGM_RSRC2:TIDIG_COMP_CNT: 0
; COMPUTE_PGM_RSRC3_GFX90A:ACCUM_OFFSET: 4
; COMPUTE_PGM_RSRC3_GFX90A:TG_SPLIT: 0
	.section	.text._ZN9rocsparseL37gebsr2csr_block_per_row_33_128_kernelILi1024ELi128ELi16ELi32ELi16E21rocsparse_complex_numIfEEEv20rocsparse_direction_ii21rocsparse_index_base_PKT4_PKiS9_iiS4_PS5_PiSB_,"axG",@progbits,_ZN9rocsparseL37gebsr2csr_block_per_row_33_128_kernelILi1024ELi128ELi16ELi32ELi16E21rocsparse_complex_numIfEEEv20rocsparse_direction_ii21rocsparse_index_base_PKT4_PKiS9_iiS4_PS5_PiSB_,comdat
	.globl	_ZN9rocsparseL37gebsr2csr_block_per_row_33_128_kernelILi1024ELi128ELi16ELi32ELi16E21rocsparse_complex_numIfEEEv20rocsparse_direction_ii21rocsparse_index_base_PKT4_PKiS9_iiS4_PS5_PiSB_ ; -- Begin function _ZN9rocsparseL37gebsr2csr_block_per_row_33_128_kernelILi1024ELi128ELi16ELi32ELi16E21rocsparse_complex_numIfEEEv20rocsparse_direction_ii21rocsparse_index_base_PKT4_PKiS9_iiS4_PS5_PiSB_
	.p2align	8
	.type	_ZN9rocsparseL37gebsr2csr_block_per_row_33_128_kernelILi1024ELi128ELi16ELi32ELi16E21rocsparse_complex_numIfEEEv20rocsparse_direction_ii21rocsparse_index_base_PKT4_PKiS9_iiS4_PS5_PiSB_,@function
_ZN9rocsparseL37gebsr2csr_block_per_row_33_128_kernelILi1024ELi128ELi16ELi32ELi16E21rocsparse_complex_numIfEEEv20rocsparse_direction_ii21rocsparse_index_base_PKT4_PKiS9_iiS4_PS5_PiSB_: ; @_ZN9rocsparseL37gebsr2csr_block_per_row_33_128_kernelILi1024ELi128ELi16ELi32ELi16E21rocsparse_complex_numIfEEEv20rocsparse_direction_ii21rocsparse_index_base_PKT4_PKiS9_iiS4_PS5_PiSB_
; %bb.0:
	s_load_dwordx2 s[0:1], s[4:5], 0x18
	s_load_dwordx4 s[12:15], s[4:5], 0x28
	s_load_dwordx2 s[2:3], s[4:5], 0x40
	s_ashr_i32 s7, s6, 31
	s_lshl_b64 s[8:9], s[6:7], 2
	s_waitcnt lgkmcnt(0)
	s_add_u32 s0, s0, s8
	s_addc_u32 s1, s1, s9
	s_load_dwordx2 s[22:23], s[0:1], 0x0
	v_or_b32_e32 v1, s6, v0
	v_cmp_eq_u32_e32 vcc, 0, v1
	s_and_saveexec_b64 s[0:1], vcc
	s_cbranch_execz .LBB143_2
; %bb.1:
	v_mov_b32_e32 v1, 0
	v_mov_b32_e32 v2, s14
	global_store_dword v1, v2, s[2:3]
.LBB143_2:
	s_or_b64 exec, exec, s[0:1]
	s_load_dword s24, s[4:5], 0xc
	v_lshrrev_b32_e32 v2, 4, v0
	s_mul_i32 s15, s6, s12
	s_waitcnt lgkmcnt(0)
	s_sub_i32 s10, s22, s24
	s_sub_i32 s25, s23, s24
	s_mul_i32 s11, s10, s13
	s_sub_i32 s27, s25, s10
	s_mul_i32 s0, s11, s12
	s_mul_i32 s18, s27, s13
	s_add_i32 s19, s0, s14
	s_add_i32 s19, s19, s18
	v_cmp_gt_i32_e64 s[0:1], s12, v2
	s_and_saveexec_b64 s[6:7], s[0:1]
	s_cbranch_execz .LBB143_4
; %bb.3:
	v_add_u32_e32 v4, s15, v2
	v_ashrrev_i32_e32 v5, 31, v4
	v_lshlrev_b64 v[4:5], 2, v[4:5]
	v_mul_lo_u32 v1, v2, s18
	v_mov_b32_e32 v3, s3
	v_add_co_u32_e32 v4, vcc, s2, v4
	v_add_u32_e32 v1, s19, v1
	v_addc_co_u32_e32 v5, vcc, v3, v5, vcc
	global_store_dword v[4:5], v1, off offset:4
.LBB143_4:
	s_or_b64 exec, exec, s[6:7]
	s_add_u32 s20, s2, 4
	v_add_u32_e32 v1, 32, v2
	s_addc_u32 s21, s3, 0
	v_cmp_gt_i32_e64 s[2:3], s12, v1
	s_and_saveexec_b64 s[6:7], s[2:3]
	s_cbranch_execz .LBB143_6
; %bb.5:
	s_ashr_i32 s8, s15, 31
	v_mov_b32_e32 v3, s8
	v_add_co_u32_e32 v4, vcc, s15, v2
	v_addc_co_u32_e32 v5, vcc, 0, v3, vcc
	v_lshlrev_b64 v[4:5], 2, v[4:5]
	v_mul_lo_u32 v1, v1, s18
	v_mov_b32_e32 v3, s21
	v_add_co_u32_e32 v4, vcc, s20, v4
	v_add_u32_e32 v1, s19, v1
	v_addc_co_u32_e32 v5, vcc, v3, v5, vcc
	global_store_dword v[4:5], v1, off offset:128
.LBB143_6:
	s_or_b64 exec, exec, s[6:7]
	v_or_b32_e32 v1, 64, v2
	v_cmp_gt_i32_e64 s[6:7], s12, v1
	s_and_saveexec_b64 s[8:9], s[6:7]
	s_cbranch_execz .LBB143_8
; %bb.7:
	s_ashr_i32 s16, s15, 31
	v_mov_b32_e32 v3, s16
	v_add_co_u32_e32 v4, vcc, s15, v2
	v_addc_co_u32_e32 v5, vcc, 0, v3, vcc
	v_lshlrev_b64 v[4:5], 2, v[4:5]
	v_mul_lo_u32 v1, v1, s18
	v_mov_b32_e32 v3, s21
	v_add_co_u32_e32 v4, vcc, s20, v4
	v_add_u32_e32 v1, s19, v1
	v_addc_co_u32_e32 v5, vcc, v3, v5, vcc
	global_store_dword v[4:5], v1, off offset:256
.LBB143_8:
	s_or_b64 exec, exec, s[8:9]
	v_add_u32_e32 v1, 0x60, v2
	v_cmp_gt_i32_e64 s[8:9], s12, v1
	s_and_saveexec_b64 s[16:17], s[8:9]
	s_cbranch_execz .LBB143_10
; %bb.9:
	v_mul_lo_u32 v1, v1, s18
	s_ashr_i32 s18, s15, 31
	v_mov_b32_e32 v3, s18
	v_add_co_u32_e32 v4, vcc, s15, v2
	v_addc_co_u32_e32 v5, vcc, 0, v3, vcc
	v_lshlrev_b64 v[4:5], 2, v[4:5]
	v_mov_b32_e32 v3, s21
	v_add_co_u32_e32 v4, vcc, s20, v4
	v_add_u32_e32 v1, s19, v1
	v_addc_co_u32_e32 v5, vcc, v3, v5, vcc
	global_store_dword v[4:5], v1, off offset:384
.LBB143_10:
	s_or_b64 exec, exec, s[16:17]
	s_cmp_lt_i32 s22, s23
	s_cbranch_scc0 .LBB143_21
; %bb.11:
	s_load_dwordx2 s[28:29], s[4:5], 0x20
	s_load_dwordx2 s[16:17], s[4:5], 0x38
	;; [unrolled: 1-line block ×4, first 2 shown]
	s_load_dword s15, s[4:5], 0x0
	v_and_b32_e32 v3, 15, v0
	v_cmp_gt_i32_e64 s[4:5], s13, v3
	v_add_u32_e32 v4, s14, v3
	v_mul_lo_u32 v9, v2, s27
	s_waitcnt lgkmcnt(0)
	s_cmp_eq_u32 s15, 0
	s_cselect_b64 vcc, -1, 0
	s_and_b64 s[14:15], s[4:5], s[0:1]
	s_and_b64 s[2:3], s[4:5], s[2:3]
	s_and_b64 s[6:7], s[4:5], s[6:7]
	s_and_b64 s[4:5], s[4:5], s[8:9]
	s_mul_i32 s8, s12, s10
	v_add_u32_e32 v0, s8, v2
	v_add_u32_e32 v1, 0x60, v0
	v_mul_lo_u32 v5, s13, v1
	v_add_u32_e32 v1, 64, v0
	v_mul_lo_u32 v6, s13, v1
	;; [unrolled: 2-line block ×4, first 2 shown]
	v_mad_u64_u32 v[0:1], s[0:1], s12, v0, v[2:3]
	v_add_u32_e32 v10, s8, v9
	s_mul_i32 s0, s23, 0x60
	v_add_u32_e32 v1, s0, v10
	s_mul_i32 s0, s22, 0x60
	v_subrev_u32_e32 v1, s0, v1
	v_lshl_add_u32 v2, s23, 6, v10
	s_lshl_b32 s0, s22, 6
	v_subrev_u32_e32 v2, s0, v2
	v_lshl_add_u32 v9, s23, 5, v10
	s_lshl_b32 s0, s22, 5
	s_ashr_i32 s11, s10, 31
	v_subrev_u32_e32 v9, s0, v9
	s_lshl_b64 s[0:1], s[10:11], 2
	s_add_u32 s8, s28, s0
	s_mul_i32 s26, s13, s12
	v_mul_lo_u32 v1, s13, v1
	v_mul_lo_u32 v2, s13, v2
	;; [unrolled: 1-line block ×4, first 2 shown]
	s_addc_u32 s9, s29, s1
	s_branch .LBB143_13
.LBB143_12:                             ;   in Loop: Header=BB143_13 Depth=1
	s_or_b64 exec, exec, s[22:23]
	s_add_i32 s10, s10, 1
	s_add_u32 s8, s8, 4
	s_addc_u32 s9, s9, 0
	v_add_u32_e32 v5, s26, v5
	v_add_u32_e32 v6, s26, v6
	;; [unrolled: 1-line block ×8, first 2 shown]
	s_cmp_ge_i32 s10, s25
	v_add_u32_e32 v10, s13, v10
	s_cbranch_scc1 .LBB143_21
.LBB143_13:                             ; =>This Inner Loop Header: Depth=1
	s_load_dword s0, s[8:9], 0x0
	s_waitcnt lgkmcnt(0)
	s_sub_i32 s0, s0, s24
	s_mul_i32 s0, s0, s13
	v_add_u32_e32 v11, s0, v4
	s_and_saveexec_b64 s[22:23], s[14:15]
	s_cbranch_execnz .LBB143_17
; %bb.14:                               ;   in Loop: Header=BB143_13 Depth=1
	s_or_b64 exec, exec, s[22:23]
	s_and_saveexec_b64 s[22:23], s[2:3]
	s_cbranch_execnz .LBB143_18
.LBB143_15:                             ;   in Loop: Header=BB143_13 Depth=1
	s_or_b64 exec, exec, s[22:23]
	s_and_saveexec_b64 s[22:23], s[6:7]
	s_cbranch_execnz .LBB143_19
.LBB143_16:                             ;   in Loop: Header=BB143_13 Depth=1
	s_or_b64 exec, exec, s[22:23]
	s_and_saveexec_b64 s[22:23], s[4:5]
	s_cbranch_execz .LBB143_12
	s_branch .LBB143_20
.LBB143_17:                             ;   in Loop: Header=BB143_13 Depth=1
	v_add_u32_e32 v12, v3, v8
	v_cndmask_b32_e32 v12, v0, v12, vcc
	v_ashrrev_i32_e32 v13, 31, v12
	v_lshlrev_b64 v[12:13], 3, v[12:13]
	v_mov_b32_e32 v14, s21
	v_add_co_u32_e64 v12, s[0:1], s20, v12
	v_addc_co_u32_e64 v13, s[0:1], v14, v13, s[0:1]
	global_load_dwordx2 v[12:13], v[12:13], off
	v_add_u32_e32 v14, v3, v10
	v_ashrrev_i32_e32 v15, 31, v14
	v_lshlrev_b64 v[16:17], 2, v[14:15]
	v_mov_b32_e32 v18, s19
	v_add_co_u32_e64 v16, s[0:1], s18, v16
	v_addc_co_u32_e64 v17, s[0:1], v18, v17, s[0:1]
	v_lshlrev_b64 v[14:15], 3, v[14:15]
	global_store_dword v[16:17], v11, off
	v_mov_b32_e32 v16, s17
	v_add_co_u32_e64 v14, s[0:1], s16, v14
	v_addc_co_u32_e64 v15, s[0:1], v16, v15, s[0:1]
	s_waitcnt vmcnt(1)
	global_store_dwordx2 v[14:15], v[12:13], off
	s_or_b64 exec, exec, s[22:23]
	s_and_saveexec_b64 s[22:23], s[2:3]
	s_cbranch_execz .LBB143_15
.LBB143_18:                             ;   in Loop: Header=BB143_13 Depth=1
	v_add_u32_e32 v12, v3, v7
	v_add_u32_e32 v13, 32, v0
	v_cndmask_b32_e32 v12, v13, v12, vcc
	v_ashrrev_i32_e32 v13, 31, v12
	v_lshlrev_b64 v[12:13], 3, v[12:13]
	v_mov_b32_e32 v14, s21
	v_add_co_u32_e64 v12, s[0:1], s20, v12
	v_addc_co_u32_e64 v13, s[0:1], v14, v13, s[0:1]
	global_load_dwordx2 v[12:13], v[12:13], off
	v_add_u32_e32 v14, v3, v9
	v_ashrrev_i32_e32 v15, 31, v14
	v_lshlrev_b64 v[16:17], 2, v[14:15]
	v_mov_b32_e32 v18, s19
	v_add_co_u32_e64 v16, s[0:1], s18, v16
	v_addc_co_u32_e64 v17, s[0:1], v18, v17, s[0:1]
	v_lshlrev_b64 v[14:15], 3, v[14:15]
	global_store_dword v[16:17], v11, off
	v_mov_b32_e32 v16, s17
	v_add_co_u32_e64 v14, s[0:1], s16, v14
	v_addc_co_u32_e64 v15, s[0:1], v16, v15, s[0:1]
	s_waitcnt vmcnt(1)
	global_store_dwordx2 v[14:15], v[12:13], off
	s_or_b64 exec, exec, s[22:23]
	s_and_saveexec_b64 s[22:23], s[6:7]
	s_cbranch_execz .LBB143_16
.LBB143_19:                             ;   in Loop: Header=BB143_13 Depth=1
	v_add_u32_e32 v12, v3, v6
	v_add_u32_e32 v13, 64, v0
	v_cndmask_b32_e32 v12, v13, v12, vcc
	v_ashrrev_i32_e32 v13, 31, v12
	v_lshlrev_b64 v[12:13], 3, v[12:13]
	v_mov_b32_e32 v14, s21
	v_add_co_u32_e64 v12, s[0:1], s20, v12
	v_addc_co_u32_e64 v13, s[0:1], v14, v13, s[0:1]
	global_load_dwordx2 v[12:13], v[12:13], off
	v_add_u32_e32 v14, v3, v2
	v_ashrrev_i32_e32 v15, 31, v14
	v_lshlrev_b64 v[16:17], 2, v[14:15]
	v_mov_b32_e32 v18, s19
	v_add_co_u32_e64 v16, s[0:1], s18, v16
	v_addc_co_u32_e64 v17, s[0:1], v18, v17, s[0:1]
	v_lshlrev_b64 v[14:15], 3, v[14:15]
	global_store_dword v[16:17], v11, off
	v_mov_b32_e32 v16, s17
	v_add_co_u32_e64 v14, s[0:1], s16, v14
	v_addc_co_u32_e64 v15, s[0:1], v16, v15, s[0:1]
	s_waitcnt vmcnt(1)
	global_store_dwordx2 v[14:15], v[12:13], off
	s_or_b64 exec, exec, s[22:23]
	s_and_saveexec_b64 s[22:23], s[4:5]
	s_cbranch_execz .LBB143_12
.LBB143_20:                             ;   in Loop: Header=BB143_13 Depth=1
	v_add_u32_e32 v12, v3, v5
	v_add_u32_e32 v13, 0x60, v0
	v_cndmask_b32_e32 v12, v13, v12, vcc
	v_ashrrev_i32_e32 v13, 31, v12
	v_lshlrev_b64 v[12:13], 3, v[12:13]
	v_mov_b32_e32 v14, s21
	v_add_co_u32_e64 v12, s[0:1], s20, v12
	v_addc_co_u32_e64 v13, s[0:1], v14, v13, s[0:1]
	global_load_dwordx2 v[12:13], v[12:13], off
	v_add_u32_e32 v14, v3, v1
	v_ashrrev_i32_e32 v15, 31, v14
	v_lshlrev_b64 v[16:17], 2, v[14:15]
	v_mov_b32_e32 v18, s19
	v_add_co_u32_e64 v16, s[0:1], s18, v16
	v_addc_co_u32_e64 v17, s[0:1], v18, v17, s[0:1]
	v_lshlrev_b64 v[14:15], 3, v[14:15]
	global_store_dword v[16:17], v11, off
	v_mov_b32_e32 v11, s17
	v_add_co_u32_e64 v14, s[0:1], s16, v14
	v_addc_co_u32_e64 v15, s[0:1], v11, v15, s[0:1]
	s_waitcnt vmcnt(1)
	global_store_dwordx2 v[14:15], v[12:13], off
	s_branch .LBB143_12
.LBB143_21:
	s_endpgm
	.section	.rodata,"a",@progbits
	.p2align	6, 0x0
	.amdhsa_kernel _ZN9rocsparseL37gebsr2csr_block_per_row_33_128_kernelILi1024ELi128ELi16ELi32ELi16E21rocsparse_complex_numIfEEEv20rocsparse_direction_ii21rocsparse_index_base_PKT4_PKiS9_iiS4_PS5_PiSB_
		.amdhsa_group_segment_fixed_size 0
		.amdhsa_private_segment_fixed_size 0
		.amdhsa_kernarg_size 80
		.amdhsa_user_sgpr_count 6
		.amdhsa_user_sgpr_private_segment_buffer 1
		.amdhsa_user_sgpr_dispatch_ptr 0
		.amdhsa_user_sgpr_queue_ptr 0
		.amdhsa_user_sgpr_kernarg_segment_ptr 1
		.amdhsa_user_sgpr_dispatch_id 0
		.amdhsa_user_sgpr_flat_scratch_init 0
		.amdhsa_user_sgpr_kernarg_preload_length 0
		.amdhsa_user_sgpr_kernarg_preload_offset 0
		.amdhsa_user_sgpr_private_segment_size 0
		.amdhsa_uses_dynamic_stack 0
		.amdhsa_system_sgpr_private_segment_wavefront_offset 0
		.amdhsa_system_sgpr_workgroup_id_x 1
		.amdhsa_system_sgpr_workgroup_id_y 0
		.amdhsa_system_sgpr_workgroup_id_z 0
		.amdhsa_system_sgpr_workgroup_info 0
		.amdhsa_system_vgpr_workitem_id 0
		.amdhsa_next_free_vgpr 19
		.amdhsa_next_free_sgpr 30
		.amdhsa_accum_offset 20
		.amdhsa_reserve_vcc 1
		.amdhsa_reserve_flat_scratch 0
		.amdhsa_float_round_mode_32 0
		.amdhsa_float_round_mode_16_64 0
		.amdhsa_float_denorm_mode_32 3
		.amdhsa_float_denorm_mode_16_64 3
		.amdhsa_dx10_clamp 1
		.amdhsa_ieee_mode 1
		.amdhsa_fp16_overflow 0
		.amdhsa_tg_split 0
		.amdhsa_exception_fp_ieee_invalid_op 0
		.amdhsa_exception_fp_denorm_src 0
		.amdhsa_exception_fp_ieee_div_zero 0
		.amdhsa_exception_fp_ieee_overflow 0
		.amdhsa_exception_fp_ieee_underflow 0
		.amdhsa_exception_fp_ieee_inexact 0
		.amdhsa_exception_int_div_zero 0
	.end_amdhsa_kernel
	.section	.text._ZN9rocsparseL37gebsr2csr_block_per_row_33_128_kernelILi1024ELi128ELi16ELi32ELi16E21rocsparse_complex_numIfEEEv20rocsparse_direction_ii21rocsparse_index_base_PKT4_PKiS9_iiS4_PS5_PiSB_,"axG",@progbits,_ZN9rocsparseL37gebsr2csr_block_per_row_33_128_kernelILi1024ELi128ELi16ELi32ELi16E21rocsparse_complex_numIfEEEv20rocsparse_direction_ii21rocsparse_index_base_PKT4_PKiS9_iiS4_PS5_PiSB_,comdat
.Lfunc_end143:
	.size	_ZN9rocsparseL37gebsr2csr_block_per_row_33_128_kernelILi1024ELi128ELi16ELi32ELi16E21rocsparse_complex_numIfEEEv20rocsparse_direction_ii21rocsparse_index_base_PKT4_PKiS9_iiS4_PS5_PiSB_, .Lfunc_end143-_ZN9rocsparseL37gebsr2csr_block_per_row_33_128_kernelILi1024ELi128ELi16ELi32ELi16E21rocsparse_complex_numIfEEEv20rocsparse_direction_ii21rocsparse_index_base_PKT4_PKiS9_iiS4_PS5_PiSB_
                                        ; -- End function
	.section	.AMDGPU.csdata,"",@progbits
; Kernel info:
; codeLenInByte = 1464
; NumSgprs: 34
; NumVgprs: 19
; NumAgprs: 0
; TotalNumVgprs: 19
; ScratchSize: 0
; MemoryBound: 0
; FloatMode: 240
; IeeeMode: 1
; LDSByteSize: 0 bytes/workgroup (compile time only)
; SGPRBlocks: 4
; VGPRBlocks: 2
; NumSGPRsForWavesPerEU: 34
; NumVGPRsForWavesPerEU: 19
; AccumOffset: 20
; Occupancy: 8
; WaveLimiterHint : 0
; COMPUTE_PGM_RSRC2:SCRATCH_EN: 0
; COMPUTE_PGM_RSRC2:USER_SGPR: 6
; COMPUTE_PGM_RSRC2:TRAP_HANDLER: 0
; COMPUTE_PGM_RSRC2:TGID_X_EN: 1
; COMPUTE_PGM_RSRC2:TGID_Y_EN: 0
; COMPUTE_PGM_RSRC2:TGID_Z_EN: 0
; COMPUTE_PGM_RSRC2:TIDIG_COMP_CNT: 0
; COMPUTE_PGM_RSRC3_GFX90A:ACCUM_OFFSET: 4
; COMPUTE_PGM_RSRC3_GFX90A:TG_SPLIT: 0
	.section	.text._ZN9rocsparseL37gebsr2csr_block_per_row_33_128_kernelILi1024ELi128ELi32ELi32ELi32E21rocsparse_complex_numIfEEEv20rocsparse_direction_ii21rocsparse_index_base_PKT4_PKiS9_iiS4_PS5_PiSB_,"axG",@progbits,_ZN9rocsparseL37gebsr2csr_block_per_row_33_128_kernelILi1024ELi128ELi32ELi32ELi32E21rocsparse_complex_numIfEEEv20rocsparse_direction_ii21rocsparse_index_base_PKT4_PKiS9_iiS4_PS5_PiSB_,comdat
	.globl	_ZN9rocsparseL37gebsr2csr_block_per_row_33_128_kernelILi1024ELi128ELi32ELi32ELi32E21rocsparse_complex_numIfEEEv20rocsparse_direction_ii21rocsparse_index_base_PKT4_PKiS9_iiS4_PS5_PiSB_ ; -- Begin function _ZN9rocsparseL37gebsr2csr_block_per_row_33_128_kernelILi1024ELi128ELi32ELi32ELi32E21rocsparse_complex_numIfEEEv20rocsparse_direction_ii21rocsparse_index_base_PKT4_PKiS9_iiS4_PS5_PiSB_
	.p2align	8
	.type	_ZN9rocsparseL37gebsr2csr_block_per_row_33_128_kernelILi1024ELi128ELi32ELi32ELi32E21rocsparse_complex_numIfEEEv20rocsparse_direction_ii21rocsparse_index_base_PKT4_PKiS9_iiS4_PS5_PiSB_,@function
_ZN9rocsparseL37gebsr2csr_block_per_row_33_128_kernelILi1024ELi128ELi32ELi32ELi32E21rocsparse_complex_numIfEEEv20rocsparse_direction_ii21rocsparse_index_base_PKT4_PKiS9_iiS4_PS5_PiSB_: ; @_ZN9rocsparseL37gebsr2csr_block_per_row_33_128_kernelILi1024ELi128ELi32ELi32ELi32E21rocsparse_complex_numIfEEEv20rocsparse_direction_ii21rocsparse_index_base_PKT4_PKiS9_iiS4_PS5_PiSB_
; %bb.0:
	s_load_dwordx2 s[0:1], s[4:5], 0x18
	s_load_dwordx4 s[12:15], s[4:5], 0x28
	s_load_dwordx2 s[2:3], s[4:5], 0x40
	s_ashr_i32 s7, s6, 31
	s_lshl_b64 s[8:9], s[6:7], 2
	s_waitcnt lgkmcnt(0)
	s_add_u32 s0, s0, s8
	s_addc_u32 s1, s1, s9
	s_load_dwordx2 s[22:23], s[0:1], 0x0
	v_or_b32_e32 v1, s6, v0
	v_cmp_eq_u32_e32 vcc, 0, v1
	s_and_saveexec_b64 s[0:1], vcc
	s_cbranch_execz .LBB144_2
; %bb.1:
	v_mov_b32_e32 v1, 0
	v_mov_b32_e32 v2, s14
	global_store_dword v1, v2, s[2:3]
.LBB144_2:
	s_or_b64 exec, exec, s[0:1]
	s_load_dword s24, s[4:5], 0xc
	v_lshrrev_b32_e32 v2, 5, v0
	s_mul_i32 s15, s6, s12
	s_waitcnt lgkmcnt(0)
	s_sub_i32 s10, s22, s24
	s_sub_i32 s25, s23, s24
	s_mul_i32 s11, s10, s13
	s_sub_i32 s27, s25, s10
	s_mul_i32 s0, s11, s12
	s_mul_i32 s18, s27, s13
	s_add_i32 s19, s0, s14
	s_add_i32 s19, s19, s18
	v_cmp_gt_i32_e64 s[0:1], s12, v2
	s_and_saveexec_b64 s[6:7], s[0:1]
	s_cbranch_execz .LBB144_4
; %bb.3:
	v_add_u32_e32 v4, s15, v2
	v_ashrrev_i32_e32 v5, 31, v4
	v_lshlrev_b64 v[4:5], 2, v[4:5]
	v_mul_lo_u32 v1, v2, s18
	v_mov_b32_e32 v3, s3
	v_add_co_u32_e32 v4, vcc, s2, v4
	v_add_u32_e32 v1, s19, v1
	v_addc_co_u32_e32 v5, vcc, v3, v5, vcc
	global_store_dword v[4:5], v1, off offset:4
.LBB144_4:
	s_or_b64 exec, exec, s[6:7]
	s_add_u32 s20, s2, 4
	v_or_b32_e32 v1, 32, v2
	s_addc_u32 s21, s3, 0
	v_cmp_gt_i32_e64 s[2:3], s12, v1
	s_and_saveexec_b64 s[6:7], s[2:3]
	s_cbranch_execz .LBB144_6
; %bb.5:
	s_ashr_i32 s8, s15, 31
	v_mov_b32_e32 v3, s8
	v_add_co_u32_e32 v4, vcc, s15, v2
	v_addc_co_u32_e32 v5, vcc, 0, v3, vcc
	v_lshlrev_b64 v[4:5], 2, v[4:5]
	v_mul_lo_u32 v1, v1, s18
	v_mov_b32_e32 v3, s21
	v_add_co_u32_e32 v4, vcc, s20, v4
	v_add_u32_e32 v1, s19, v1
	v_addc_co_u32_e32 v5, vcc, v3, v5, vcc
	global_store_dword v[4:5], v1, off offset:128
.LBB144_6:
	s_or_b64 exec, exec, s[6:7]
	v_or_b32_e32 v1, 64, v2
	v_cmp_gt_i32_e64 s[6:7], s12, v1
	s_and_saveexec_b64 s[8:9], s[6:7]
	s_cbranch_execz .LBB144_8
; %bb.7:
	s_ashr_i32 s16, s15, 31
	v_mov_b32_e32 v3, s16
	v_add_co_u32_e32 v4, vcc, s15, v2
	v_addc_co_u32_e32 v5, vcc, 0, v3, vcc
	v_lshlrev_b64 v[4:5], 2, v[4:5]
	v_mul_lo_u32 v1, v1, s18
	v_mov_b32_e32 v3, s21
	v_add_co_u32_e32 v4, vcc, s20, v4
	v_add_u32_e32 v1, s19, v1
	v_addc_co_u32_e32 v5, vcc, v3, v5, vcc
	global_store_dword v[4:5], v1, off offset:256
.LBB144_8:
	s_or_b64 exec, exec, s[8:9]
	v_or_b32_e32 v1, 0x60, v2
	v_cmp_gt_i32_e64 s[8:9], s12, v1
	s_and_saveexec_b64 s[16:17], s[8:9]
	s_cbranch_execz .LBB144_10
; %bb.9:
	v_mul_lo_u32 v1, v1, s18
	s_ashr_i32 s18, s15, 31
	v_mov_b32_e32 v3, s18
	v_add_co_u32_e32 v4, vcc, s15, v2
	v_addc_co_u32_e32 v5, vcc, 0, v3, vcc
	v_lshlrev_b64 v[4:5], 2, v[4:5]
	v_mov_b32_e32 v3, s21
	v_add_co_u32_e32 v4, vcc, s20, v4
	v_add_u32_e32 v1, s19, v1
	v_addc_co_u32_e32 v5, vcc, v3, v5, vcc
	global_store_dword v[4:5], v1, off offset:384
.LBB144_10:
	s_or_b64 exec, exec, s[16:17]
	s_cmp_lt_i32 s22, s23
	s_cbranch_scc0 .LBB144_21
; %bb.11:
	s_load_dwordx2 s[28:29], s[4:5], 0x20
	s_load_dwordx2 s[16:17], s[4:5], 0x38
	;; [unrolled: 1-line block ×4, first 2 shown]
	s_load_dword s15, s[4:5], 0x0
	v_and_b32_e32 v3, 31, v0
	v_cmp_gt_i32_e64 s[4:5], s13, v3
	v_add_u32_e32 v4, s14, v3
	v_mul_lo_u32 v9, v2, s27
	s_waitcnt lgkmcnt(0)
	s_cmp_eq_u32 s15, 0
	s_cselect_b64 vcc, -1, 0
	s_and_b64 s[14:15], s[4:5], s[0:1]
	s_and_b64 s[2:3], s[4:5], s[2:3]
	;; [unrolled: 1-line block ×4, first 2 shown]
	s_mul_i32 s8, s12, s10
	v_add_u32_e32 v0, s8, v2
	v_add_u32_e32 v1, 0x60, v0
	v_mul_lo_u32 v5, s13, v1
	v_add_u32_e32 v1, 64, v0
	v_mul_lo_u32 v6, s13, v1
	;; [unrolled: 2-line block ×4, first 2 shown]
	v_mad_u64_u32 v[0:1], s[0:1], s12, v0, v[2:3]
	v_add_u32_e32 v10, s8, v9
	s_mul_i32 s0, s23, 0x60
	v_add_u32_e32 v1, s0, v10
	s_mul_i32 s0, s22, 0x60
	v_subrev_u32_e32 v1, s0, v1
	v_lshl_add_u32 v2, s23, 6, v10
	s_lshl_b32 s0, s22, 6
	v_subrev_u32_e32 v2, s0, v2
	v_lshl_add_u32 v9, s23, 5, v10
	s_lshl_b32 s0, s22, 5
	s_ashr_i32 s11, s10, 31
	v_subrev_u32_e32 v9, s0, v9
	s_lshl_b64 s[0:1], s[10:11], 2
	s_add_u32 s8, s28, s0
	s_mul_i32 s26, s13, s12
	v_mul_lo_u32 v1, s13, v1
	v_mul_lo_u32 v2, s13, v2
	;; [unrolled: 1-line block ×4, first 2 shown]
	s_addc_u32 s9, s29, s1
	s_branch .LBB144_13
.LBB144_12:                             ;   in Loop: Header=BB144_13 Depth=1
	s_or_b64 exec, exec, s[22:23]
	s_add_i32 s10, s10, 1
	s_add_u32 s8, s8, 4
	s_addc_u32 s9, s9, 0
	v_add_u32_e32 v5, s26, v5
	v_add_u32_e32 v6, s26, v6
	v_add_u32_e32 v7, s26, v7
	v_add_u32_e32 v8, s26, v8
	v_add_u32_e32 v0, s26, v0
	v_add_u32_e32 v1, s13, v1
	v_add_u32_e32 v2, s13, v2
	v_add_u32_e32 v9, s13, v9
	s_cmp_ge_i32 s10, s25
	v_add_u32_e32 v10, s13, v10
	s_cbranch_scc1 .LBB144_21
.LBB144_13:                             ; =>This Inner Loop Header: Depth=1
	s_load_dword s0, s[8:9], 0x0
	s_waitcnt lgkmcnt(0)
	s_sub_i32 s0, s0, s24
	s_mul_i32 s0, s0, s13
	v_add_u32_e32 v11, s0, v4
	s_and_saveexec_b64 s[22:23], s[14:15]
	s_cbranch_execnz .LBB144_17
; %bb.14:                               ;   in Loop: Header=BB144_13 Depth=1
	s_or_b64 exec, exec, s[22:23]
	s_and_saveexec_b64 s[22:23], s[2:3]
	s_cbranch_execnz .LBB144_18
.LBB144_15:                             ;   in Loop: Header=BB144_13 Depth=1
	s_or_b64 exec, exec, s[22:23]
	s_and_saveexec_b64 s[22:23], s[6:7]
	s_cbranch_execnz .LBB144_19
.LBB144_16:                             ;   in Loop: Header=BB144_13 Depth=1
	s_or_b64 exec, exec, s[22:23]
	s_and_saveexec_b64 s[22:23], s[4:5]
	s_cbranch_execz .LBB144_12
	s_branch .LBB144_20
.LBB144_17:                             ;   in Loop: Header=BB144_13 Depth=1
	v_add_u32_e32 v12, v3, v8
	v_cndmask_b32_e32 v12, v0, v12, vcc
	v_ashrrev_i32_e32 v13, 31, v12
	v_lshlrev_b64 v[12:13], 3, v[12:13]
	v_mov_b32_e32 v14, s21
	v_add_co_u32_e64 v12, s[0:1], s20, v12
	v_addc_co_u32_e64 v13, s[0:1], v14, v13, s[0:1]
	global_load_dwordx2 v[12:13], v[12:13], off
	v_add_u32_e32 v14, v3, v10
	v_ashrrev_i32_e32 v15, 31, v14
	v_lshlrev_b64 v[16:17], 2, v[14:15]
	v_mov_b32_e32 v18, s19
	v_add_co_u32_e64 v16, s[0:1], s18, v16
	v_addc_co_u32_e64 v17, s[0:1], v18, v17, s[0:1]
	v_lshlrev_b64 v[14:15], 3, v[14:15]
	global_store_dword v[16:17], v11, off
	v_mov_b32_e32 v16, s17
	v_add_co_u32_e64 v14, s[0:1], s16, v14
	v_addc_co_u32_e64 v15, s[0:1], v16, v15, s[0:1]
	s_waitcnt vmcnt(1)
	global_store_dwordx2 v[14:15], v[12:13], off
	s_or_b64 exec, exec, s[22:23]
	s_and_saveexec_b64 s[22:23], s[2:3]
	s_cbranch_execz .LBB144_15
.LBB144_18:                             ;   in Loop: Header=BB144_13 Depth=1
	v_add_u32_e32 v12, v3, v7
	v_add_u32_e32 v13, 32, v0
	v_cndmask_b32_e32 v12, v13, v12, vcc
	v_ashrrev_i32_e32 v13, 31, v12
	v_lshlrev_b64 v[12:13], 3, v[12:13]
	v_mov_b32_e32 v14, s21
	v_add_co_u32_e64 v12, s[0:1], s20, v12
	v_addc_co_u32_e64 v13, s[0:1], v14, v13, s[0:1]
	global_load_dwordx2 v[12:13], v[12:13], off
	v_add_u32_e32 v14, v3, v9
	v_ashrrev_i32_e32 v15, 31, v14
	v_lshlrev_b64 v[16:17], 2, v[14:15]
	v_mov_b32_e32 v18, s19
	v_add_co_u32_e64 v16, s[0:1], s18, v16
	v_addc_co_u32_e64 v17, s[0:1], v18, v17, s[0:1]
	v_lshlrev_b64 v[14:15], 3, v[14:15]
	global_store_dword v[16:17], v11, off
	v_mov_b32_e32 v16, s17
	v_add_co_u32_e64 v14, s[0:1], s16, v14
	v_addc_co_u32_e64 v15, s[0:1], v16, v15, s[0:1]
	s_waitcnt vmcnt(1)
	global_store_dwordx2 v[14:15], v[12:13], off
	s_or_b64 exec, exec, s[22:23]
	s_and_saveexec_b64 s[22:23], s[6:7]
	s_cbranch_execz .LBB144_16
.LBB144_19:                             ;   in Loop: Header=BB144_13 Depth=1
	v_add_u32_e32 v12, v3, v6
	v_add_u32_e32 v13, 64, v0
	v_cndmask_b32_e32 v12, v13, v12, vcc
	v_ashrrev_i32_e32 v13, 31, v12
	v_lshlrev_b64 v[12:13], 3, v[12:13]
	v_mov_b32_e32 v14, s21
	v_add_co_u32_e64 v12, s[0:1], s20, v12
	v_addc_co_u32_e64 v13, s[0:1], v14, v13, s[0:1]
	global_load_dwordx2 v[12:13], v[12:13], off
	v_add_u32_e32 v14, v3, v2
	v_ashrrev_i32_e32 v15, 31, v14
	v_lshlrev_b64 v[16:17], 2, v[14:15]
	v_mov_b32_e32 v18, s19
	v_add_co_u32_e64 v16, s[0:1], s18, v16
	v_addc_co_u32_e64 v17, s[0:1], v18, v17, s[0:1]
	v_lshlrev_b64 v[14:15], 3, v[14:15]
	global_store_dword v[16:17], v11, off
	v_mov_b32_e32 v16, s17
	v_add_co_u32_e64 v14, s[0:1], s16, v14
	v_addc_co_u32_e64 v15, s[0:1], v16, v15, s[0:1]
	s_waitcnt vmcnt(1)
	global_store_dwordx2 v[14:15], v[12:13], off
	s_or_b64 exec, exec, s[22:23]
	s_and_saveexec_b64 s[22:23], s[4:5]
	s_cbranch_execz .LBB144_12
.LBB144_20:                             ;   in Loop: Header=BB144_13 Depth=1
	v_add_u32_e32 v12, v3, v5
	v_add_u32_e32 v13, 0x60, v0
	v_cndmask_b32_e32 v12, v13, v12, vcc
	v_ashrrev_i32_e32 v13, 31, v12
	v_lshlrev_b64 v[12:13], 3, v[12:13]
	v_mov_b32_e32 v14, s21
	v_add_co_u32_e64 v12, s[0:1], s20, v12
	v_addc_co_u32_e64 v13, s[0:1], v14, v13, s[0:1]
	global_load_dwordx2 v[12:13], v[12:13], off
	v_add_u32_e32 v14, v3, v1
	v_ashrrev_i32_e32 v15, 31, v14
	v_lshlrev_b64 v[16:17], 2, v[14:15]
	v_mov_b32_e32 v18, s19
	v_add_co_u32_e64 v16, s[0:1], s18, v16
	v_addc_co_u32_e64 v17, s[0:1], v18, v17, s[0:1]
	v_lshlrev_b64 v[14:15], 3, v[14:15]
	global_store_dword v[16:17], v11, off
	v_mov_b32_e32 v11, s17
	v_add_co_u32_e64 v14, s[0:1], s16, v14
	v_addc_co_u32_e64 v15, s[0:1], v11, v15, s[0:1]
	s_waitcnt vmcnt(1)
	global_store_dwordx2 v[14:15], v[12:13], off
	s_branch .LBB144_12
.LBB144_21:
	s_endpgm
	.section	.rodata,"a",@progbits
	.p2align	6, 0x0
	.amdhsa_kernel _ZN9rocsparseL37gebsr2csr_block_per_row_33_128_kernelILi1024ELi128ELi32ELi32ELi32E21rocsparse_complex_numIfEEEv20rocsparse_direction_ii21rocsparse_index_base_PKT4_PKiS9_iiS4_PS5_PiSB_
		.amdhsa_group_segment_fixed_size 0
		.amdhsa_private_segment_fixed_size 0
		.amdhsa_kernarg_size 80
		.amdhsa_user_sgpr_count 6
		.amdhsa_user_sgpr_private_segment_buffer 1
		.amdhsa_user_sgpr_dispatch_ptr 0
		.amdhsa_user_sgpr_queue_ptr 0
		.amdhsa_user_sgpr_kernarg_segment_ptr 1
		.amdhsa_user_sgpr_dispatch_id 0
		.amdhsa_user_sgpr_flat_scratch_init 0
		.amdhsa_user_sgpr_kernarg_preload_length 0
		.amdhsa_user_sgpr_kernarg_preload_offset 0
		.amdhsa_user_sgpr_private_segment_size 0
		.amdhsa_uses_dynamic_stack 0
		.amdhsa_system_sgpr_private_segment_wavefront_offset 0
		.amdhsa_system_sgpr_workgroup_id_x 1
		.amdhsa_system_sgpr_workgroup_id_y 0
		.amdhsa_system_sgpr_workgroup_id_z 0
		.amdhsa_system_sgpr_workgroup_info 0
		.amdhsa_system_vgpr_workitem_id 0
		.amdhsa_next_free_vgpr 19
		.amdhsa_next_free_sgpr 30
		.amdhsa_accum_offset 20
		.amdhsa_reserve_vcc 1
		.amdhsa_reserve_flat_scratch 0
		.amdhsa_float_round_mode_32 0
		.amdhsa_float_round_mode_16_64 0
		.amdhsa_float_denorm_mode_32 3
		.amdhsa_float_denorm_mode_16_64 3
		.amdhsa_dx10_clamp 1
		.amdhsa_ieee_mode 1
		.amdhsa_fp16_overflow 0
		.amdhsa_tg_split 0
		.amdhsa_exception_fp_ieee_invalid_op 0
		.amdhsa_exception_fp_denorm_src 0
		.amdhsa_exception_fp_ieee_div_zero 0
		.amdhsa_exception_fp_ieee_overflow 0
		.amdhsa_exception_fp_ieee_underflow 0
		.amdhsa_exception_fp_ieee_inexact 0
		.amdhsa_exception_int_div_zero 0
	.end_amdhsa_kernel
	.section	.text._ZN9rocsparseL37gebsr2csr_block_per_row_33_128_kernelILi1024ELi128ELi32ELi32ELi32E21rocsparse_complex_numIfEEEv20rocsparse_direction_ii21rocsparse_index_base_PKT4_PKiS9_iiS4_PS5_PiSB_,"axG",@progbits,_ZN9rocsparseL37gebsr2csr_block_per_row_33_128_kernelILi1024ELi128ELi32ELi32ELi32E21rocsparse_complex_numIfEEEv20rocsparse_direction_ii21rocsparse_index_base_PKT4_PKiS9_iiS4_PS5_PiSB_,comdat
.Lfunc_end144:
	.size	_ZN9rocsparseL37gebsr2csr_block_per_row_33_128_kernelILi1024ELi128ELi32ELi32ELi32E21rocsparse_complex_numIfEEEv20rocsparse_direction_ii21rocsparse_index_base_PKT4_PKiS9_iiS4_PS5_PiSB_, .Lfunc_end144-_ZN9rocsparseL37gebsr2csr_block_per_row_33_128_kernelILi1024ELi128ELi32ELi32ELi32E21rocsparse_complex_numIfEEEv20rocsparse_direction_ii21rocsparse_index_base_PKT4_PKiS9_iiS4_PS5_PiSB_
                                        ; -- End function
	.section	.AMDGPU.csdata,"",@progbits
; Kernel info:
; codeLenInByte = 1464
; NumSgprs: 34
; NumVgprs: 19
; NumAgprs: 0
; TotalNumVgprs: 19
; ScratchSize: 0
; MemoryBound: 0
; FloatMode: 240
; IeeeMode: 1
; LDSByteSize: 0 bytes/workgroup (compile time only)
; SGPRBlocks: 4
; VGPRBlocks: 2
; NumSGPRsForWavesPerEU: 34
; NumVGPRsForWavesPerEU: 19
; AccumOffset: 20
; Occupancy: 8
; WaveLimiterHint : 0
; COMPUTE_PGM_RSRC2:SCRATCH_EN: 0
; COMPUTE_PGM_RSRC2:USER_SGPR: 6
; COMPUTE_PGM_RSRC2:TRAP_HANDLER: 0
; COMPUTE_PGM_RSRC2:TGID_X_EN: 1
; COMPUTE_PGM_RSRC2:TGID_Y_EN: 0
; COMPUTE_PGM_RSRC2:TGID_Z_EN: 0
; COMPUTE_PGM_RSRC2:TIDIG_COMP_CNT: 0
; COMPUTE_PGM_RSRC3_GFX90A:ACCUM_OFFSET: 4
; COMPUTE_PGM_RSRC3_GFX90A:TG_SPLIT: 0
	.section	.text._ZN9rocsparseL37gebsr2csr_block_per_row_33_128_kernelILi1024ELi128ELi64ELi32ELi32E21rocsparse_complex_numIfEEEv20rocsparse_direction_ii21rocsparse_index_base_PKT4_PKiS9_iiS4_PS5_PiSB_,"axG",@progbits,_ZN9rocsparseL37gebsr2csr_block_per_row_33_128_kernelILi1024ELi128ELi64ELi32ELi32E21rocsparse_complex_numIfEEEv20rocsparse_direction_ii21rocsparse_index_base_PKT4_PKiS9_iiS4_PS5_PiSB_,comdat
	.globl	_ZN9rocsparseL37gebsr2csr_block_per_row_33_128_kernelILi1024ELi128ELi64ELi32ELi32E21rocsparse_complex_numIfEEEv20rocsparse_direction_ii21rocsparse_index_base_PKT4_PKiS9_iiS4_PS5_PiSB_ ; -- Begin function _ZN9rocsparseL37gebsr2csr_block_per_row_33_128_kernelILi1024ELi128ELi64ELi32ELi32E21rocsparse_complex_numIfEEEv20rocsparse_direction_ii21rocsparse_index_base_PKT4_PKiS9_iiS4_PS5_PiSB_
	.p2align	8
	.type	_ZN9rocsparseL37gebsr2csr_block_per_row_33_128_kernelILi1024ELi128ELi64ELi32ELi32E21rocsparse_complex_numIfEEEv20rocsparse_direction_ii21rocsparse_index_base_PKT4_PKiS9_iiS4_PS5_PiSB_,@function
_ZN9rocsparseL37gebsr2csr_block_per_row_33_128_kernelILi1024ELi128ELi64ELi32ELi32E21rocsparse_complex_numIfEEEv20rocsparse_direction_ii21rocsparse_index_base_PKT4_PKiS9_iiS4_PS5_PiSB_: ; @_ZN9rocsparseL37gebsr2csr_block_per_row_33_128_kernelILi1024ELi128ELi64ELi32ELi32E21rocsparse_complex_numIfEEEv20rocsparse_direction_ii21rocsparse_index_base_PKT4_PKiS9_iiS4_PS5_PiSB_
; %bb.0:
	s_load_dwordx2 s[0:1], s[4:5], 0x18
	s_load_dwordx4 s[12:15], s[4:5], 0x28
	s_load_dwordx2 s[2:3], s[4:5], 0x40
	s_ashr_i32 s7, s6, 31
	s_lshl_b64 s[8:9], s[6:7], 2
	s_waitcnt lgkmcnt(0)
	s_add_u32 s0, s0, s8
	s_addc_u32 s1, s1, s9
	s_load_dwordx2 s[34:35], s[0:1], 0x0
	v_or_b32_e32 v1, s6, v0
	v_cmp_eq_u32_e32 vcc, 0, v1
	s_and_saveexec_b64 s[0:1], vcc
	s_cbranch_execz .LBB145_2
; %bb.1:
	v_mov_b32_e32 v1, 0
	v_mov_b32_e32 v2, s14
	global_store_dword v1, v2, s[2:3]
.LBB145_2:
	s_or_b64 exec, exec, s[0:1]
	s_load_dword s15, s[4:5], 0xc
	v_lshrrev_b32_e32 v2, 5, v0
	s_mul_i32 s18, s6, s12
	s_waitcnt lgkmcnt(0)
	s_sub_i32 s16, s34, s15
	s_sub_i32 s33, s35, s15
	s_mul_i32 s17, s16, s13
	s_sub_i32 s24, s33, s16
	s_mul_i32 s0, s17, s12
	s_mul_i32 s19, s24, s13
	s_add_i32 s20, s0, s14
	s_add_i32 s20, s20, s19
	v_cmp_gt_i32_e64 s[0:1], s12, v2
	s_and_saveexec_b64 s[6:7], s[0:1]
	s_cbranch_execz .LBB145_4
; %bb.3:
	v_add_u32_e32 v4, s18, v2
	v_ashrrev_i32_e32 v5, 31, v4
	v_lshlrev_b64 v[4:5], 2, v[4:5]
	v_mul_lo_u32 v1, v2, s19
	v_mov_b32_e32 v3, s3
	v_add_co_u32_e32 v4, vcc, s2, v4
	v_add_u32_e32 v1, s20, v1
	v_addc_co_u32_e32 v5, vcc, v3, v5, vcc
	global_store_dword v[4:5], v1, off offset:4
.LBB145_4:
	s_or_b64 exec, exec, s[6:7]
	s_add_u32 s21, s2, 4
	v_or_b32_e32 v1, 32, v2
	s_addc_u32 s22, s3, 0
	v_cmp_gt_i32_e64 s[2:3], s12, v1
	s_and_saveexec_b64 s[6:7], s[2:3]
	s_cbranch_execz .LBB145_6
; %bb.5:
	s_ashr_i32 s8, s18, 31
	v_mov_b32_e32 v3, s8
	v_add_co_u32_e32 v4, vcc, s18, v2
	v_addc_co_u32_e32 v5, vcc, 0, v3, vcc
	v_lshlrev_b64 v[4:5], 2, v[4:5]
	v_mul_lo_u32 v1, v1, s19
	v_mov_b32_e32 v3, s22
	v_add_co_u32_e32 v4, vcc, s21, v4
	v_add_u32_e32 v1, s20, v1
	v_addc_co_u32_e32 v5, vcc, v3, v5, vcc
	global_store_dword v[4:5], v1, off offset:128
.LBB145_6:
	s_or_b64 exec, exec, s[6:7]
	v_or_b32_e32 v1, 64, v2
	v_cmp_gt_i32_e64 s[6:7], s12, v1
	s_and_saveexec_b64 s[8:9], s[6:7]
	s_cbranch_execz .LBB145_8
; %bb.7:
	s_ashr_i32 s10, s18, 31
	v_mov_b32_e32 v3, s10
	v_add_co_u32_e32 v4, vcc, s18, v2
	v_addc_co_u32_e32 v5, vcc, 0, v3, vcc
	v_lshlrev_b64 v[4:5], 2, v[4:5]
	v_mul_lo_u32 v1, v1, s19
	v_mov_b32_e32 v3, s22
	v_add_co_u32_e32 v4, vcc, s21, v4
	v_add_u32_e32 v1, s20, v1
	v_addc_co_u32_e32 v5, vcc, v3, v5, vcc
	global_store_dword v[4:5], v1, off offset:256
.LBB145_8:
	s_or_b64 exec, exec, s[8:9]
	v_or_b32_e32 v1, 0x60, v2
	v_cmp_gt_i32_e64 s[8:9], s12, v1
	s_and_saveexec_b64 s[10:11], s[8:9]
	s_cbranch_execz .LBB145_10
; %bb.9:
	v_mul_lo_u32 v1, v1, s19
	s_ashr_i32 s19, s18, 31
	v_mov_b32_e32 v3, s19
	v_add_co_u32_e32 v4, vcc, s18, v2
	v_addc_co_u32_e32 v5, vcc, 0, v3, vcc
	v_lshlrev_b64 v[4:5], 2, v[4:5]
	v_mov_b32_e32 v3, s22
	v_add_co_u32_e32 v4, vcc, s21, v4
	v_add_u32_e32 v1, s20, v1
	v_addc_co_u32_e32 v5, vcc, v3, v5, vcc
	global_store_dword v[4:5], v1, off offset:384
.LBB145_10:
	s_or_b64 exec, exec, s[10:11]
	s_cmp_lt_i32 s34, s35
	s_cbranch_scc0 .LBB145_29
; %bb.11:
	s_load_dwordx2 s[38:39], s[4:5], 0x20
	s_load_dwordx2 s[18:19], s[4:5], 0x38
	;; [unrolled: 1-line block ×3, first 2 shown]
	s_load_dword s10, s[4:5], 0x0
	s_load_dwordx2 s[22:23], s[4:5], 0x48
	v_and_b32_e32 v4, 31, v0
	v_or_b32_e32 v5, 32, v4
	v_cmp_gt_i32_e64 s[4:5], s13, v4
	s_waitcnt lgkmcnt(0)
	s_cmp_eq_u32 s10, 0
	v_cmp_gt_i32_e64 s[10:11], s13, v5
	s_cselect_b64 vcc, -1, 0
	v_mul_lo_u32 v10, v2, s24
	s_and_b64 s[24:25], s[0:1], s[4:5]
	s_and_b64 s[26:27], s[0:1], s[10:11]
	;; [unrolled: 1-line block ×8, first 2 shown]
	s_mul_i32 s10, s12, s16
	v_add_u32_e32 v0, s10, v2
	v_add_u32_e32 v1, 32, v0
	v_mul_lo_u32 v6, s13, v1
	v_add_u32_e32 v1, 64, v0
	v_add_u32_e32 v3, s17, v4
	v_mul_lo_u32 v7, s13, v1
	v_add_u32_e32 v1, 0x60, v0
	v_mul_lo_u32 v9, s13, v0
	;; [unrolled: 2-line block ×3, first 2 shown]
	v_mad_u64_u32 v[0:1], s[0:1], s12, v0, v[2:3]
	v_mad_u64_u32 v[2:3], s[0:1], s12, v3, v[2:3]
	v_add_u32_e32 v11, s10, v10
	v_lshl_add_u32 v1, s35, 5, v11
	s_lshl_b32 s0, s34, 5
	v_subrev_u32_e32 v1, s0, v1
	v_lshl_add_u32 v3, s35, 6, v11
	s_lshl_b32 s0, s34, 6
	v_subrev_u32_e32 v3, s0, v3
	s_mul_i32 s0, s35, 0x60
	v_add_u32_e32 v10, s0, v11
	s_mul_i32 s0, s34, 0x60
	s_ashr_i32 s17, s16, 31
	v_subrev_u32_e32 v10, s0, v10
	s_lshl_b64 s[0:1], s[16:17], 2
	s_add_u32 s10, s38, s0
	s_mul_i32 s36, s13, s12
	s_mov_b32 s37, 0
	v_mul_lo_u32 v1, s13, v1
	v_mul_lo_u32 v3, s13, v3
	;; [unrolled: 1-line block ×4, first 2 shown]
	s_addc_u32 s11, s39, s1
	s_branch .LBB145_13
.LBB145_12:                             ;   in Loop: Header=BB145_13 Depth=1
	s_or_b64 exec, exec, s[34:35]
	s_add_i32 s16, s16, 1
	s_add_i32 s37, s37, s36
	s_add_u32 s10, s10, 4
	s_addc_u32 s11, s11, 0
	v_add_u32_e32 v6, s36, v6
	v_add_u32_e32 v7, s36, v7
	v_add_u32_e32 v8, s36, v8
	v_add_u32_e32 v9, s36, v9
	v_add_u32_e32 v1, s13, v1
	v_add_u32_e32 v3, s13, v3
	v_add_u32_e32 v10, s13, v10
	s_cmp_ge_i32 s16, s33
	v_add_u32_e32 v11, s13, v11
	s_cbranch_scc1 .LBB145_29
.LBB145_13:                             ; =>This Inner Loop Header: Depth=1
	s_load_dword s0, s[10:11], 0x0
	v_add_u32_e32 v14, s37, v2
	s_waitcnt lgkmcnt(0)
	s_sub_i32 s0, s0, s15
	s_mul_i32 s12, s0, s13
	s_add_i32 s12, s12, s14
	v_add_u32_e32 v12, s12, v4
	s_and_saveexec_b64 s[34:35], s[24:25]
	s_cbranch_execz .LBB145_15
; %bb.14:                               ;   in Loop: Header=BB145_13 Depth=1
	v_add_u32_e32 v13, v4, v9
	v_cndmask_b32_e32 v16, v14, v13, vcc
	v_ashrrev_i32_e32 v17, 31, v16
	v_lshlrev_b64 v[16:17], 3, v[16:17]
	v_mov_b32_e32 v13, s21
	v_add_co_u32_e64 v16, s[0:1], s20, v16
	v_addc_co_u32_e64 v17, s[0:1], v13, v17, s[0:1]
	global_load_dwordx2 v[16:17], v[16:17], off
	v_add_u32_e32 v18, v4, v11
	v_ashrrev_i32_e32 v19, 31, v18
	v_lshlrev_b64 v[20:21], 2, v[18:19]
	v_mov_b32_e32 v13, s23
	v_add_co_u32_e64 v20, s[0:1], s22, v20
	v_addc_co_u32_e64 v21, s[0:1], v13, v21, s[0:1]
	v_lshlrev_b64 v[18:19], 3, v[18:19]
	v_mov_b32_e32 v13, s19
	v_add_co_u32_e64 v18, s[0:1], s18, v18
	v_addc_co_u32_e64 v19, s[0:1], v13, v19, s[0:1]
	global_store_dword v[20:21], v12, off
	s_waitcnt vmcnt(1)
	global_store_dwordx2 v[18:19], v[16:17], off
.LBB145_15:                             ;   in Loop: Header=BB145_13 Depth=1
	s_or_b64 exec, exec, s[34:35]
	v_add_u32_e32 v13, s12, v5
	v_add_u32_e32 v15, s37, v0
	s_and_saveexec_b64 s[34:35], s[26:27]
	s_cbranch_execnz .LBB145_22
; %bb.16:                               ;   in Loop: Header=BB145_13 Depth=1
	s_or_b64 exec, exec, s[34:35]
	v_add_u32_e32 v16, v4, v6
	s_and_saveexec_b64 s[34:35], s[28:29]
	s_cbranch_execnz .LBB145_23
.LBB145_17:                             ;   in Loop: Header=BB145_13 Depth=1
	s_or_b64 exec, exec, s[34:35]
	s_and_saveexec_b64 s[34:35], s[2:3]
	s_cbranch_execnz .LBB145_24
.LBB145_18:                             ;   in Loop: Header=BB145_13 Depth=1
	s_or_b64 exec, exec, s[34:35]
	s_and_saveexec_b64 s[34:35], s[30:31]
	s_cbranch_execnz .LBB145_25
.LBB145_19:                             ;   in Loop: Header=BB145_13 Depth=1
	s_or_b64 exec, exec, s[34:35]
	s_and_saveexec_b64 s[34:35], s[6:7]
	s_cbranch_execnz .LBB145_26
.LBB145_20:                             ;   in Loop: Header=BB145_13 Depth=1
	s_or_b64 exec, exec, s[34:35]
	s_and_saveexec_b64 s[34:35], s[4:5]
	s_cbranch_execnz .LBB145_27
.LBB145_21:                             ;   in Loop: Header=BB145_13 Depth=1
	s_or_b64 exec, exec, s[34:35]
	s_and_saveexec_b64 s[34:35], s[8:9]
	s_cbranch_execz .LBB145_12
	s_branch .LBB145_28
.LBB145_22:                             ;   in Loop: Header=BB145_13 Depth=1
	v_add3_u32 v16, v4, v9, 32
	v_cndmask_b32_e32 v16, v15, v16, vcc
	v_ashrrev_i32_e32 v17, 31, v16
	v_lshlrev_b64 v[16:17], 3, v[16:17]
	v_mov_b32_e32 v18, s21
	v_add_co_u32_e64 v16, s[0:1], s20, v16
	v_addc_co_u32_e64 v17, s[0:1], v18, v17, s[0:1]
	global_load_dwordx2 v[16:17], v[16:17], off
	v_add3_u32 v18, v4, v11, 32
	v_ashrrev_i32_e32 v19, 31, v18
	v_lshlrev_b64 v[20:21], 2, v[18:19]
	v_mov_b32_e32 v22, s23
	v_add_co_u32_e64 v20, s[0:1], s22, v20
	v_addc_co_u32_e64 v21, s[0:1], v22, v21, s[0:1]
	v_lshlrev_b64 v[18:19], 3, v[18:19]
	global_store_dword v[20:21], v13, off
	v_mov_b32_e32 v20, s19
	v_add_co_u32_e64 v18, s[0:1], s18, v18
	v_addc_co_u32_e64 v19, s[0:1], v20, v19, s[0:1]
	s_waitcnt vmcnt(1)
	global_store_dwordx2 v[18:19], v[16:17], off
	s_or_b64 exec, exec, s[34:35]
	v_add_u32_e32 v16, v4, v6
	s_and_saveexec_b64 s[34:35], s[28:29]
	s_cbranch_execz .LBB145_17
.LBB145_23:                             ;   in Loop: Header=BB145_13 Depth=1
	v_add3_u32 v17, v2, s37, 32
	v_cndmask_b32_e32 v18, v17, v16, vcc
	v_ashrrev_i32_e32 v19, 31, v18
	v_lshlrev_b64 v[18:19], 3, v[18:19]
	v_mov_b32_e32 v17, s21
	v_add_co_u32_e64 v18, s[0:1], s20, v18
	v_addc_co_u32_e64 v19, s[0:1], v17, v19, s[0:1]
	global_load_dwordx2 v[18:19], v[18:19], off
	v_add_u32_e32 v20, v4, v1
	v_ashrrev_i32_e32 v21, 31, v20
	v_lshlrev_b64 v[22:23], 2, v[20:21]
	v_mov_b32_e32 v17, s23
	v_add_co_u32_e64 v22, s[0:1], s22, v22
	v_addc_co_u32_e64 v23, s[0:1], v17, v23, s[0:1]
	v_lshlrev_b64 v[20:21], 3, v[20:21]
	v_mov_b32_e32 v17, s19
	v_add_co_u32_e64 v20, s[0:1], s18, v20
	v_addc_co_u32_e64 v21, s[0:1], v17, v21, s[0:1]
	global_store_dword v[22:23], v12, off
	s_waitcnt vmcnt(1)
	global_store_dwordx2 v[20:21], v[18:19], off
	s_or_b64 exec, exec, s[34:35]
	s_and_saveexec_b64 s[34:35], s[2:3]
	s_cbranch_execz .LBB145_18
.LBB145_24:                             ;   in Loop: Header=BB145_13 Depth=1
	v_cndmask_b32_e32 v16, v15, v16, vcc
	v_add_u32_e32 v16, 32, v16
	v_ashrrev_i32_e32 v17, 31, v16
	v_lshlrev_b64 v[16:17], 3, v[16:17]
	v_mov_b32_e32 v18, s21
	v_add_co_u32_e64 v16, s[0:1], s20, v16
	v_addc_co_u32_e64 v17, s[0:1], v18, v17, s[0:1]
	global_load_dwordx2 v[16:17], v[16:17], off
	v_add3_u32 v18, v4, v1, 32
	v_ashrrev_i32_e32 v19, 31, v18
	v_lshlrev_b64 v[20:21], 2, v[18:19]
	v_mov_b32_e32 v22, s23
	v_add_co_u32_e64 v20, s[0:1], s22, v20
	v_addc_co_u32_e64 v21, s[0:1], v22, v21, s[0:1]
	v_lshlrev_b64 v[18:19], 3, v[18:19]
	global_store_dword v[20:21], v13, off
	v_mov_b32_e32 v20, s19
	v_add_co_u32_e64 v18, s[0:1], s18, v18
	v_addc_co_u32_e64 v19, s[0:1], v20, v19, s[0:1]
	s_waitcnt vmcnt(1)
	global_store_dwordx2 v[18:19], v[16:17], off
	s_or_b64 exec, exec, s[34:35]
	s_and_saveexec_b64 s[34:35], s[30:31]
	s_cbranch_execz .LBB145_19
.LBB145_25:                             ;   in Loop: Header=BB145_13 Depth=1
	v_add_u32_e32 v16, v4, v7
	v_add3_u32 v17, v2, s37, 64
	v_cndmask_b32_e32 v16, v17, v16, vcc
	v_ashrrev_i32_e32 v17, 31, v16
	v_lshlrev_b64 v[16:17], 3, v[16:17]
	v_mov_b32_e32 v18, s21
	v_add_co_u32_e64 v16, s[0:1], s20, v16
	v_addc_co_u32_e64 v17, s[0:1], v18, v17, s[0:1]
	global_load_dwordx2 v[16:17], v[16:17], off
	v_add_u32_e32 v18, v4, v3
	v_ashrrev_i32_e32 v19, 31, v18
	v_lshlrev_b64 v[20:21], 2, v[18:19]
	v_mov_b32_e32 v22, s23
	v_add_co_u32_e64 v20, s[0:1], s22, v20
	v_addc_co_u32_e64 v21, s[0:1], v22, v21, s[0:1]
	v_lshlrev_b64 v[18:19], 3, v[18:19]
	global_store_dword v[20:21], v12, off
	v_mov_b32_e32 v20, s19
	v_add_co_u32_e64 v18, s[0:1], s18, v18
	v_addc_co_u32_e64 v19, s[0:1], v20, v19, s[0:1]
	s_waitcnt vmcnt(1)
	global_store_dwordx2 v[18:19], v[16:17], off
	s_or_b64 exec, exec, s[34:35]
	s_and_saveexec_b64 s[34:35], s[6:7]
	s_cbranch_execz .LBB145_20
.LBB145_26:                             ;   in Loop: Header=BB145_13 Depth=1
	v_add3_u32 v16, v4, v7, 32
	v_add3_u32 v17, v0, s37, 64
	v_cndmask_b32_e32 v16, v17, v16, vcc
	v_ashrrev_i32_e32 v17, 31, v16
	v_lshlrev_b64 v[16:17], 3, v[16:17]
	v_mov_b32_e32 v18, s21
	v_add_co_u32_e64 v16, s[0:1], s20, v16
	v_addc_co_u32_e64 v17, s[0:1], v18, v17, s[0:1]
	global_load_dwordx2 v[16:17], v[16:17], off
	v_add3_u32 v18, v4, v3, 32
	v_ashrrev_i32_e32 v19, 31, v18
	v_lshlrev_b64 v[20:21], 2, v[18:19]
	v_mov_b32_e32 v22, s23
	v_add_co_u32_e64 v20, s[0:1], s22, v20
	v_addc_co_u32_e64 v21, s[0:1], v22, v21, s[0:1]
	v_lshlrev_b64 v[18:19], 3, v[18:19]
	global_store_dword v[20:21], v13, off
	v_mov_b32_e32 v20, s19
	v_add_co_u32_e64 v18, s[0:1], s18, v18
	v_addc_co_u32_e64 v19, s[0:1], v20, v19, s[0:1]
	s_waitcnt vmcnt(1)
	global_store_dwordx2 v[18:19], v[16:17], off
	s_or_b64 exec, exec, s[34:35]
	s_and_saveexec_b64 s[34:35], s[4:5]
	s_cbranch_execz .LBB145_21
.LBB145_27:                             ;   in Loop: Header=BB145_13 Depth=1
	v_add_u32_e32 v16, v4, v8
	v_add_u32_e32 v14, 0x60, v14
	v_cndmask_b32_e32 v16, v14, v16, vcc
	v_ashrrev_i32_e32 v17, 31, v16
	v_lshlrev_b64 v[16:17], 3, v[16:17]
	v_mov_b32_e32 v14, s21
	v_add_co_u32_e64 v16, s[0:1], s20, v16
	v_addc_co_u32_e64 v17, s[0:1], v14, v17, s[0:1]
	global_load_dwordx2 v[16:17], v[16:17], off
	v_add_u32_e32 v18, v4, v10
	v_ashrrev_i32_e32 v19, 31, v18
	v_lshlrev_b64 v[20:21], 2, v[18:19]
	v_mov_b32_e32 v14, s23
	v_add_co_u32_e64 v20, s[0:1], s22, v20
	v_addc_co_u32_e64 v21, s[0:1], v14, v21, s[0:1]
	v_lshlrev_b64 v[18:19], 3, v[18:19]
	global_store_dword v[20:21], v12, off
	v_mov_b32_e32 v12, s19
	v_add_co_u32_e64 v18, s[0:1], s18, v18
	v_addc_co_u32_e64 v19, s[0:1], v12, v19, s[0:1]
	s_waitcnt vmcnt(1)
	global_store_dwordx2 v[18:19], v[16:17], off
	s_or_b64 exec, exec, s[34:35]
	s_and_saveexec_b64 s[34:35], s[8:9]
	s_cbranch_execz .LBB145_12
.LBB145_28:                             ;   in Loop: Header=BB145_13 Depth=1
	v_add3_u32 v12, v4, v8, 32
	v_add_u32_e32 v14, 0x60, v15
	v_cndmask_b32_e32 v14, v14, v12, vcc
	v_ashrrev_i32_e32 v15, 31, v14
	v_lshlrev_b64 v[14:15], 3, v[14:15]
	v_mov_b32_e32 v12, s21
	v_add_co_u32_e64 v14, s[0:1], s20, v14
	v_addc_co_u32_e64 v15, s[0:1], v12, v15, s[0:1]
	global_load_dwordx2 v[14:15], v[14:15], off
	v_add3_u32 v16, v4, v10, 32
	v_ashrrev_i32_e32 v17, 31, v16
	v_lshlrev_b64 v[18:19], 2, v[16:17]
	v_mov_b32_e32 v12, s23
	v_add_co_u32_e64 v18, s[0:1], s22, v18
	v_addc_co_u32_e64 v19, s[0:1], v12, v19, s[0:1]
	global_store_dword v[18:19], v13, off
	v_lshlrev_b64 v[12:13], 3, v[16:17]
	v_mov_b32_e32 v16, s19
	v_add_co_u32_e64 v12, s[0:1], s18, v12
	v_addc_co_u32_e64 v13, s[0:1], v16, v13, s[0:1]
	s_waitcnt vmcnt(1)
	global_store_dwordx2 v[12:13], v[14:15], off
	s_branch .LBB145_12
.LBB145_29:
	s_endpgm
	.section	.rodata,"a",@progbits
	.p2align	6, 0x0
	.amdhsa_kernel _ZN9rocsparseL37gebsr2csr_block_per_row_33_128_kernelILi1024ELi128ELi64ELi32ELi32E21rocsparse_complex_numIfEEEv20rocsparse_direction_ii21rocsparse_index_base_PKT4_PKiS9_iiS4_PS5_PiSB_
		.amdhsa_group_segment_fixed_size 0
		.amdhsa_private_segment_fixed_size 0
		.amdhsa_kernarg_size 80
		.amdhsa_user_sgpr_count 6
		.amdhsa_user_sgpr_private_segment_buffer 1
		.amdhsa_user_sgpr_dispatch_ptr 0
		.amdhsa_user_sgpr_queue_ptr 0
		.amdhsa_user_sgpr_kernarg_segment_ptr 1
		.amdhsa_user_sgpr_dispatch_id 0
		.amdhsa_user_sgpr_flat_scratch_init 0
		.amdhsa_user_sgpr_kernarg_preload_length 0
		.amdhsa_user_sgpr_kernarg_preload_offset 0
		.amdhsa_user_sgpr_private_segment_size 0
		.amdhsa_uses_dynamic_stack 0
		.amdhsa_system_sgpr_private_segment_wavefront_offset 0
		.amdhsa_system_sgpr_workgroup_id_x 1
		.amdhsa_system_sgpr_workgroup_id_y 0
		.amdhsa_system_sgpr_workgroup_id_z 0
		.amdhsa_system_sgpr_workgroup_info 0
		.amdhsa_system_vgpr_workitem_id 0
		.amdhsa_next_free_vgpr 24
		.amdhsa_next_free_sgpr 40
		.amdhsa_accum_offset 24
		.amdhsa_reserve_vcc 1
		.amdhsa_reserve_flat_scratch 0
		.amdhsa_float_round_mode_32 0
		.amdhsa_float_round_mode_16_64 0
		.amdhsa_float_denorm_mode_32 3
		.amdhsa_float_denorm_mode_16_64 3
		.amdhsa_dx10_clamp 1
		.amdhsa_ieee_mode 1
		.amdhsa_fp16_overflow 0
		.amdhsa_tg_split 0
		.amdhsa_exception_fp_ieee_invalid_op 0
		.amdhsa_exception_fp_denorm_src 0
		.amdhsa_exception_fp_ieee_div_zero 0
		.amdhsa_exception_fp_ieee_overflow 0
		.amdhsa_exception_fp_ieee_underflow 0
		.amdhsa_exception_fp_ieee_inexact 0
		.amdhsa_exception_int_div_zero 0
	.end_amdhsa_kernel
	.section	.text._ZN9rocsparseL37gebsr2csr_block_per_row_33_128_kernelILi1024ELi128ELi64ELi32ELi32E21rocsparse_complex_numIfEEEv20rocsparse_direction_ii21rocsparse_index_base_PKT4_PKiS9_iiS4_PS5_PiSB_,"axG",@progbits,_ZN9rocsparseL37gebsr2csr_block_per_row_33_128_kernelILi1024ELi128ELi64ELi32ELi32E21rocsparse_complex_numIfEEEv20rocsparse_direction_ii21rocsparse_index_base_PKT4_PKiS9_iiS4_PS5_PiSB_,comdat
.Lfunc_end145:
	.size	_ZN9rocsparseL37gebsr2csr_block_per_row_33_128_kernelILi1024ELi128ELi64ELi32ELi32E21rocsparse_complex_numIfEEEv20rocsparse_direction_ii21rocsparse_index_base_PKT4_PKiS9_iiS4_PS5_PiSB_, .Lfunc_end145-_ZN9rocsparseL37gebsr2csr_block_per_row_33_128_kernelILi1024ELi128ELi64ELi32ELi32E21rocsparse_complex_numIfEEEv20rocsparse_direction_ii21rocsparse_index_base_PKT4_PKiS9_iiS4_PS5_PiSB_
                                        ; -- End function
	.section	.AMDGPU.csdata,"",@progbits
; Kernel info:
; codeLenInByte = 2188
; NumSgprs: 44
; NumVgprs: 24
; NumAgprs: 0
; TotalNumVgprs: 24
; ScratchSize: 0
; MemoryBound: 0
; FloatMode: 240
; IeeeMode: 1
; LDSByteSize: 0 bytes/workgroup (compile time only)
; SGPRBlocks: 5
; VGPRBlocks: 2
; NumSGPRsForWavesPerEU: 44
; NumVGPRsForWavesPerEU: 24
; AccumOffset: 24
; Occupancy: 8
; WaveLimiterHint : 1
; COMPUTE_PGM_RSRC2:SCRATCH_EN: 0
; COMPUTE_PGM_RSRC2:USER_SGPR: 6
; COMPUTE_PGM_RSRC2:TRAP_HANDLER: 0
; COMPUTE_PGM_RSRC2:TGID_X_EN: 1
; COMPUTE_PGM_RSRC2:TGID_Y_EN: 0
; COMPUTE_PGM_RSRC2:TGID_Z_EN: 0
; COMPUTE_PGM_RSRC2:TIDIG_COMP_CNT: 0
; COMPUTE_PGM_RSRC3_GFX90A:ACCUM_OFFSET: 5
; COMPUTE_PGM_RSRC3_GFX90A:TG_SPLIT: 0
	.section	.text._ZN9rocsparseL37gebsr2csr_block_per_row_33_128_kernelILi1024ELi128ELi128ELi32ELi32E21rocsparse_complex_numIfEEEv20rocsparse_direction_ii21rocsparse_index_base_PKT4_PKiS9_iiS4_PS5_PiSB_,"axG",@progbits,_ZN9rocsparseL37gebsr2csr_block_per_row_33_128_kernelILi1024ELi128ELi128ELi32ELi32E21rocsparse_complex_numIfEEEv20rocsparse_direction_ii21rocsparse_index_base_PKT4_PKiS9_iiS4_PS5_PiSB_,comdat
	.globl	_ZN9rocsparseL37gebsr2csr_block_per_row_33_128_kernelILi1024ELi128ELi128ELi32ELi32E21rocsparse_complex_numIfEEEv20rocsparse_direction_ii21rocsparse_index_base_PKT4_PKiS9_iiS4_PS5_PiSB_ ; -- Begin function _ZN9rocsparseL37gebsr2csr_block_per_row_33_128_kernelILi1024ELi128ELi128ELi32ELi32E21rocsparse_complex_numIfEEEv20rocsparse_direction_ii21rocsparse_index_base_PKT4_PKiS9_iiS4_PS5_PiSB_
	.p2align	8
	.type	_ZN9rocsparseL37gebsr2csr_block_per_row_33_128_kernelILi1024ELi128ELi128ELi32ELi32E21rocsparse_complex_numIfEEEv20rocsparse_direction_ii21rocsparse_index_base_PKT4_PKiS9_iiS4_PS5_PiSB_,@function
_ZN9rocsparseL37gebsr2csr_block_per_row_33_128_kernelILi1024ELi128ELi128ELi32ELi32E21rocsparse_complex_numIfEEEv20rocsparse_direction_ii21rocsparse_index_base_PKT4_PKiS9_iiS4_PS5_PiSB_: ; @_ZN9rocsparseL37gebsr2csr_block_per_row_33_128_kernelILi1024ELi128ELi128ELi32ELi32E21rocsparse_complex_numIfEEEv20rocsparse_direction_ii21rocsparse_index_base_PKT4_PKiS9_iiS4_PS5_PiSB_
; %bb.0:
	s_load_dwordx2 s[0:1], s[4:5], 0x18
	s_load_dwordx4 s[16:19], s[4:5], 0x28
	s_load_dwordx2 s[2:3], s[4:5], 0x40
	s_ashr_i32 s7, s6, 31
	s_lshl_b64 s[8:9], s[6:7], 2
	s_waitcnt lgkmcnt(0)
	s_add_u32 s0, s0, s8
	s_addc_u32 s1, s1, s9
	s_load_dwordx2 s[50:51], s[0:1], 0x0
	v_or_b32_e32 v1, s6, v0
	v_cmp_eq_u32_e32 vcc, 0, v1
	s_and_saveexec_b64 s[0:1], vcc
	s_cbranch_execz .LBB146_2
; %bb.1:
	v_mov_b32_e32 v1, 0
	v_mov_b32_e32 v2, s18
	global_store_dword v1, v2, s[2:3]
.LBB146_2:
	s_or_b64 exec, exec, s[0:1]
	s_load_dword s19, s[4:5], 0xc
	v_lshrrev_b32_e32 v6, 5, v0
	s_mul_i32 s13, s6, s16
	s_waitcnt lgkmcnt(0)
	s_sub_i32 s20, s50, s19
	s_sub_i32 s33, s51, s19
	s_mul_i32 s21, s20, s17
	s_sub_i32 s12, s33, s20
	s_mul_i32 s0, s21, s16
	s_mul_i32 s14, s12, s17
	s_add_i32 s15, s0, s18
	s_add_i32 s15, s15, s14
	v_cmp_gt_i32_e64 s[0:1], s16, v6
	s_and_saveexec_b64 s[6:7], s[0:1]
	s_cbranch_execz .LBB146_4
; %bb.3:
	v_add_u32_e32 v2, s13, v6
	v_ashrrev_i32_e32 v3, 31, v2
	v_lshlrev_b64 v[2:3], 2, v[2:3]
	v_mul_lo_u32 v1, v6, s14
	v_mov_b32_e32 v4, s3
	v_add_co_u32_e32 v2, vcc, s2, v2
	v_add_u32_e32 v1, s15, v1
	v_addc_co_u32_e32 v3, vcc, v4, v3, vcc
	global_store_dword v[2:3], v1, off offset:4
.LBB146_4:
	s_or_b64 exec, exec, s[6:7]
	s_add_u32 s22, s2, 4
	v_or_b32_e32 v1, 32, v6
	s_addc_u32 s23, s3, 0
	v_cmp_gt_i32_e64 s[2:3], s16, v1
	s_and_saveexec_b64 s[6:7], s[2:3]
	s_cbranch_execz .LBB146_6
; %bb.5:
	s_ashr_i32 s8, s13, 31
	v_mov_b32_e32 v3, s8
	v_add_co_u32_e32 v2, vcc, s13, v6
	v_addc_co_u32_e32 v3, vcc, 0, v3, vcc
	v_lshlrev_b64 v[2:3], 2, v[2:3]
	v_mul_lo_u32 v1, v1, s14
	v_mov_b32_e32 v4, s23
	v_add_co_u32_e32 v2, vcc, s22, v2
	v_add_u32_e32 v1, s15, v1
	v_addc_co_u32_e32 v3, vcc, v4, v3, vcc
	global_store_dword v[2:3], v1, off offset:128
.LBB146_6:
	s_or_b64 exec, exec, s[6:7]
	v_or_b32_e32 v1, 64, v6
	v_cmp_gt_i32_e64 s[6:7], s16, v1
	s_and_saveexec_b64 s[8:9], s[6:7]
	s_cbranch_execz .LBB146_8
; %bb.7:
	s_ashr_i32 s10, s13, 31
	v_mov_b32_e32 v3, s10
	v_add_co_u32_e32 v2, vcc, s13, v6
	v_addc_co_u32_e32 v3, vcc, 0, v3, vcc
	v_lshlrev_b64 v[2:3], 2, v[2:3]
	v_mul_lo_u32 v1, v1, s14
	v_mov_b32_e32 v4, s23
	v_add_co_u32_e32 v2, vcc, s22, v2
	v_add_u32_e32 v1, s15, v1
	v_addc_co_u32_e32 v3, vcc, v4, v3, vcc
	global_store_dword v[2:3], v1, off offset:256
.LBB146_8:
	s_or_b64 exec, exec, s[8:9]
	v_or_b32_e32 v1, 0x60, v6
	v_cmp_gt_i32_e64 s[8:9], s16, v1
	s_and_saveexec_b64 s[10:11], s[8:9]
	s_cbranch_execz .LBB146_10
; %bb.9:
	v_mul_lo_u32 v1, v1, s14
	s_ashr_i32 s14, s13, 31
	v_mov_b32_e32 v3, s14
	v_add_co_u32_e32 v2, vcc, s13, v6
	v_addc_co_u32_e32 v3, vcc, 0, v3, vcc
	v_lshlrev_b64 v[2:3], 2, v[2:3]
	v_mov_b32_e32 v4, s23
	v_add_co_u32_e32 v2, vcc, s22, v2
	v_add_u32_e32 v1, s15, v1
	v_addc_co_u32_e32 v3, vcc, v4, v3, vcc
	global_store_dword v[2:3], v1, off offset:384
.LBB146_10:
	s_or_b64 exec, exec, s[10:11]
	s_cmp_lt_i32 s50, s51
	s_cbranch_scc0 .LBB146_45
; %bb.11:
	s_load_dwordx2 s[56:57], s[4:5], 0x20
	s_load_dwordx2 s[22:23], s[4:5], 0x38
	;; [unrolled: 1-line block ×3, first 2 shown]
	s_load_dword s10, s[4:5], 0x0
	s_load_dwordx2 s[26:27], s[4:5], 0x48
	v_and_b32_e32 v8, 31, v0
	v_or_b32_e32 v9, 32, v8
	v_or_b32_e32 v10, 64, v8
	;; [unrolled: 1-line block ×3, first 2 shown]
	s_waitcnt lgkmcnt(0)
	s_cmp_eq_u32 s10, 0
	v_mul_lo_u32 v16, v6, s12
	v_cmp_gt_i32_e64 s[4:5], s17, v8
	v_cmp_gt_i32_e64 s[10:11], s17, v9
	;; [unrolled: 1-line block ×4, first 2 shown]
	s_cselect_b64 vcc, -1, 0
	s_and_b64 s[28:29], s[0:1], s[4:5]
	s_and_b64 s[30:31], s[0:1], s[10:11]
	;; [unrolled: 1-line block ×16, first 2 shown]
	s_mul_i32 s14, s16, s20
	v_add_u32_e32 v0, s14, v6
	v_add_u32_e32 v1, 32, v0
	v_mul_lo_u32 v12, s17, v1
	v_add_u32_e32 v1, 64, v0
	v_add_u32_e32 v7, s21, v8
	v_mul_lo_u32 v13, s17, v1
	v_add_u32_e32 v1, 0x60, v0
	v_mul_lo_u32 v15, s17, v0
	v_add_u32_e32 v0, 0x60, v7
	v_mul_lo_u32 v14, s17, v1
	v_mad_u64_u32 v[0:1], s[0:1], s16, v0, v[6:7]
	v_add_u32_e32 v1, 64, v7
	v_mad_u64_u32 v[2:3], s[0:1], s16, v1, v[6:7]
	v_add_u32_e32 v1, 32, v7
	v_mad_u64_u32 v[4:5], s[0:1], s16, v1, v[6:7]
	v_mad_u64_u32 v[6:7], s[0:1], s16, v7, v[6:7]
	v_add_u32_e32 v7, s14, v16
	v_lshl_add_u32 v1, s51, 5, v7
	s_lshl_b32 s0, s50, 5
	v_subrev_u32_e32 v1, s0, v1
	v_lshl_add_u32 v3, s51, 6, v7
	s_lshl_b32 s0, s50, 6
	v_subrev_u32_e32 v3, s0, v3
	s_mul_i32 s0, s51, 0x60
	v_add_u32_e32 v5, s0, v7
	s_mul_i32 s0, s50, 0x60
	s_ashr_i32 s21, s20, 31
	v_subrev_u32_e32 v5, s0, v5
	s_lshl_b64 s[0:1], s[20:21], 2
	s_add_u32 s14, s56, s0
	s_mul_i32 s52, s17, s16
	s_mov_b32 s53, 0
	s_movk_i32 s54, 0x60
	v_mul_lo_u32 v1, s17, v1
	v_mul_lo_u32 v3, s17, v3
	;; [unrolled: 1-line block ×4, first 2 shown]
	s_addc_u32 s15, s57, s1
	s_branch .LBB146_13
.LBB146_12:                             ;   in Loop: Header=BB146_13 Depth=1
	s_or_b64 exec, exec, s[50:51]
	s_add_i32 s20, s20, 1
	s_add_i32 s53, s53, s52
	s_add_u32 s14, s14, 4
	s_addc_u32 s15, s15, 0
	v_add_u32_e32 v12, s52, v12
	v_add_u32_e32 v13, s52, v13
	;; [unrolled: 1-line block ×7, first 2 shown]
	s_cmp_ge_i32 s20, s33
	v_add_u32_e32 v7, s17, v7
	s_cbranch_scc1 .LBB146_45
.LBB146_13:                             ; =>This Inner Loop Header: Depth=1
	s_load_dword s0, s[14:15], 0x0
	v_add_u32_e32 v20, s53, v6
	s_waitcnt lgkmcnt(0)
	s_sub_i32 s0, s0, s19
	s_mul_i32 s16, s0, s17
	s_add_i32 s16, s16, s18
	v_add_u32_e32 v16, s16, v8
	s_and_saveexec_b64 s[50:51], s[28:29]
	s_cbranch_execz .LBB146_15
; %bb.14:                               ;   in Loop: Header=BB146_13 Depth=1
	v_add_u32_e32 v17, v8, v15
	v_cndmask_b32_e32 v18, v20, v17, vcc
	v_ashrrev_i32_e32 v19, 31, v18
	v_lshlrev_b64 v[18:19], 3, v[18:19]
	v_mov_b32_e32 v17, s25
	v_add_co_u32_e64 v18, s[0:1], s24, v18
	v_addc_co_u32_e64 v19, s[0:1], v17, v19, s[0:1]
	global_load_dwordx2 v[18:19], v[18:19], off
	v_add_u32_e32 v22, v8, v7
	v_ashrrev_i32_e32 v23, 31, v22
	v_lshlrev_b64 v[24:25], 2, v[22:23]
	v_mov_b32_e32 v17, s27
	v_add_co_u32_e64 v24, s[0:1], s26, v24
	v_addc_co_u32_e64 v25, s[0:1], v17, v25, s[0:1]
	v_lshlrev_b64 v[22:23], 3, v[22:23]
	v_mov_b32_e32 v17, s23
	v_add_co_u32_e64 v22, s[0:1], s22, v22
	v_addc_co_u32_e64 v23, s[0:1], v17, v23, s[0:1]
	global_store_dword v[24:25], v16, off
	s_waitcnt vmcnt(1)
	global_store_dwordx2 v[22:23], v[18:19], off
.LBB146_15:                             ;   in Loop: Header=BB146_13 Depth=1
	s_or_b64 exec, exec, s[50:51]
	v_add_u32_e32 v17, s16, v9
	v_add_u32_e32 v21, s53, v4
	s_and_saveexec_b64 s[50:51], s[30:31]
	s_cbranch_execz .LBB146_17
; %bb.16:                               ;   in Loop: Header=BB146_13 Depth=1
	v_add3_u32 v18, v8, v15, 32
	v_cndmask_b32_e32 v18, v21, v18, vcc
	v_ashrrev_i32_e32 v19, 31, v18
	v_lshlrev_b64 v[18:19], 3, v[18:19]
	v_mov_b32_e32 v22, s25
	v_add_co_u32_e64 v18, s[0:1], s24, v18
	v_addc_co_u32_e64 v19, s[0:1], v22, v19, s[0:1]
	global_load_dwordx2 v[18:19], v[18:19], off
	v_add3_u32 v22, v8, v7, 32
	v_ashrrev_i32_e32 v23, 31, v22
	v_lshlrev_b64 v[24:25], 2, v[22:23]
	v_mov_b32_e32 v26, s27
	v_add_co_u32_e64 v24, s[0:1], s26, v24
	v_addc_co_u32_e64 v25, s[0:1], v26, v25, s[0:1]
	v_lshlrev_b64 v[22:23], 3, v[22:23]
	global_store_dword v[24:25], v17, off
	v_mov_b32_e32 v24, s23
	v_add_co_u32_e64 v22, s[0:1], s22, v22
	v_addc_co_u32_e64 v23, s[0:1], v24, v23, s[0:1]
	s_waitcnt vmcnt(1)
	global_store_dwordx2 v[22:23], v[18:19], off
.LBB146_17:                             ;   in Loop: Header=BB146_13 Depth=1
	s_or_b64 exec, exec, s[50:51]
	v_add_u32_e32 v18, s16, v10
	v_add_u32_e32 v22, s53, v2
	s_and_saveexec_b64 s[50:51], s[34:35]
	s_cbranch_execz .LBB146_19
; %bb.18:                               ;   in Loop: Header=BB146_13 Depth=1
	v_add3_u32 v19, v8, v15, 64
	v_cndmask_b32_e32 v24, v22, v19, vcc
	v_ashrrev_i32_e32 v25, 31, v24
	v_lshlrev_b64 v[24:25], 3, v[24:25]
	v_mov_b32_e32 v19, s25
	v_add_co_u32_e64 v24, s[0:1], s24, v24
	v_addc_co_u32_e64 v25, s[0:1], v19, v25, s[0:1]
	global_load_dwordx2 v[24:25], v[24:25], off
	v_add3_u32 v26, v8, v7, 64
	v_ashrrev_i32_e32 v27, 31, v26
	v_lshlrev_b64 v[28:29], 2, v[26:27]
	v_mov_b32_e32 v19, s27
	v_add_co_u32_e64 v28, s[0:1], s26, v28
	v_addc_co_u32_e64 v29, s[0:1], v19, v29, s[0:1]
	v_lshlrev_b64 v[26:27], 3, v[26:27]
	v_mov_b32_e32 v19, s23
	v_add_co_u32_e64 v26, s[0:1], s22, v26
	v_addc_co_u32_e64 v27, s[0:1], v19, v27, s[0:1]
	global_store_dword v[28:29], v18, off
	s_waitcnt vmcnt(1)
	global_store_dwordx2 v[26:27], v[24:25], off
.LBB146_19:                             ;   in Loop: Header=BB146_13 Depth=1
	s_or_b64 exec, exec, s[50:51]
	v_add_u32_e32 v19, s16, v11
	v_add_u32_e32 v23, s53, v0
	s_and_saveexec_b64 s[50:51], s[36:37]
	s_cbranch_execnz .LBB146_32
; %bb.20:                               ;   in Loop: Header=BB146_13 Depth=1
	s_or_b64 exec, exec, s[50:51]
	v_add_u32_e32 v24, v8, v12
	s_and_saveexec_b64 s[50:51], s[38:39]
	s_cbranch_execnz .LBB146_33
.LBB146_21:                             ;   in Loop: Header=BB146_13 Depth=1
	s_or_b64 exec, exec, s[50:51]
	s_and_saveexec_b64 s[50:51], s[40:41]
	s_cbranch_execnz .LBB146_34
.LBB146_22:                             ;   in Loop: Header=BB146_13 Depth=1
	s_or_b64 exec, exec, s[50:51]
	s_and_saveexec_b64 s[50:51], s[42:43]
	s_cbranch_execnz .LBB146_35
.LBB146_23:                             ;   in Loop: Header=BB146_13 Depth=1
	s_or_b64 exec, exec, s[50:51]
	s_and_saveexec_b64 s[50:51], s[2:3]
	s_cbranch_execnz .LBB146_36
.LBB146_24:                             ;   in Loop: Header=BB146_13 Depth=1
	s_or_b64 exec, exec, s[50:51]
	v_add_u32_e32 v24, v8, v13
	s_and_saveexec_b64 s[50:51], s[44:45]
	s_cbranch_execnz .LBB146_37
.LBB146_25:                             ;   in Loop: Header=BB146_13 Depth=1
	s_or_b64 exec, exec, s[50:51]
	s_and_saveexec_b64 s[50:51], s[46:47]
	s_cbranch_execnz .LBB146_38
.LBB146_26:                             ;   in Loop: Header=BB146_13 Depth=1
	s_or_b64 exec, exec, s[50:51]
	s_and_saveexec_b64 s[50:51], s[48:49]
	s_cbranch_execnz .LBB146_39
.LBB146_27:                             ;   in Loop: Header=BB146_13 Depth=1
	s_or_b64 exec, exec, s[50:51]
	s_and_saveexec_b64 s[50:51], s[6:7]
	s_cbranch_execnz .LBB146_40
.LBB146_28:                             ;   in Loop: Header=BB146_13 Depth=1
	s_or_b64 exec, exec, s[50:51]
	v_add_u32_e32 v24, v8, v14
	s_and_saveexec_b64 s[50:51], s[4:5]
	s_cbranch_execnz .LBB146_41
.LBB146_29:                             ;   in Loop: Header=BB146_13 Depth=1
	s_or_b64 exec, exec, s[50:51]
	s_and_saveexec_b64 s[50:51], s[10:11]
	s_cbranch_execnz .LBB146_42
.LBB146_30:                             ;   in Loop: Header=BB146_13 Depth=1
	s_or_b64 exec, exec, s[50:51]
	s_and_saveexec_b64 s[50:51], s[12:13]
	s_cbranch_execnz .LBB146_43
.LBB146_31:                             ;   in Loop: Header=BB146_13 Depth=1
	s_or_b64 exec, exec, s[50:51]
	s_and_saveexec_b64 s[50:51], s[8:9]
	s_cbranch_execz .LBB146_12
	s_branch .LBB146_44
.LBB146_32:                             ;   in Loop: Header=BB146_13 Depth=1
	v_add3_u32 v24, v8, v15, s54
	v_cndmask_b32_e32 v24, v23, v24, vcc
	v_ashrrev_i32_e32 v25, 31, v24
	v_lshlrev_b64 v[24:25], 3, v[24:25]
	v_mov_b32_e32 v26, s25
	v_add_co_u32_e64 v24, s[0:1], s24, v24
	v_addc_co_u32_e64 v25, s[0:1], v26, v25, s[0:1]
	global_load_dwordx2 v[24:25], v[24:25], off
	v_add3_u32 v26, v8, v7, s54
	v_ashrrev_i32_e32 v27, 31, v26
	v_lshlrev_b64 v[28:29], 2, v[26:27]
	v_mov_b32_e32 v30, s27
	v_add_co_u32_e64 v28, s[0:1], s26, v28
	v_addc_co_u32_e64 v29, s[0:1], v30, v29, s[0:1]
	v_lshlrev_b64 v[26:27], 3, v[26:27]
	global_store_dword v[28:29], v19, off
	v_mov_b32_e32 v28, s23
	v_add_co_u32_e64 v26, s[0:1], s22, v26
	v_addc_co_u32_e64 v27, s[0:1], v28, v27, s[0:1]
	s_waitcnt vmcnt(1)
	global_store_dwordx2 v[26:27], v[24:25], off
	s_or_b64 exec, exec, s[50:51]
	v_add_u32_e32 v24, v8, v12
	s_and_saveexec_b64 s[50:51], s[38:39]
	s_cbranch_execz .LBB146_21
.LBB146_33:                             ;   in Loop: Header=BB146_13 Depth=1
	v_add3_u32 v25, v6, s53, 32
	v_cndmask_b32_e32 v26, v25, v24, vcc
	v_ashrrev_i32_e32 v27, 31, v26
	v_lshlrev_b64 v[26:27], 3, v[26:27]
	v_mov_b32_e32 v25, s25
	v_add_co_u32_e64 v26, s[0:1], s24, v26
	v_addc_co_u32_e64 v27, s[0:1], v25, v27, s[0:1]
	global_load_dwordx2 v[26:27], v[26:27], off
	v_add_u32_e32 v28, v8, v1
	v_ashrrev_i32_e32 v29, 31, v28
	v_lshlrev_b64 v[30:31], 2, v[28:29]
	v_mov_b32_e32 v25, s27
	v_add_co_u32_e64 v30, s[0:1], s26, v30
	v_addc_co_u32_e64 v31, s[0:1], v25, v31, s[0:1]
	v_lshlrev_b64 v[28:29], 3, v[28:29]
	v_mov_b32_e32 v25, s23
	v_add_co_u32_e64 v28, s[0:1], s22, v28
	v_addc_co_u32_e64 v29, s[0:1], v25, v29, s[0:1]
	global_store_dword v[30:31], v16, off
	s_waitcnt vmcnt(1)
	global_store_dwordx2 v[28:29], v[26:27], off
	s_or_b64 exec, exec, s[50:51]
	s_and_saveexec_b64 s[50:51], s[40:41]
	s_cbranch_execz .LBB146_22
.LBB146_34:                             ;   in Loop: Header=BB146_13 Depth=1
	v_cndmask_b32_e32 v24, v21, v24, vcc
	v_add_u32_e32 v24, 32, v24
	v_ashrrev_i32_e32 v25, 31, v24
	v_lshlrev_b64 v[24:25], 3, v[24:25]
	v_mov_b32_e32 v26, s25
	v_add_co_u32_e64 v24, s[0:1], s24, v24
	v_addc_co_u32_e64 v25, s[0:1], v26, v25, s[0:1]
	global_load_dwordx2 v[24:25], v[24:25], off
	v_add3_u32 v26, v8, v1, 32
	v_ashrrev_i32_e32 v27, 31, v26
	v_lshlrev_b64 v[28:29], 2, v[26:27]
	v_mov_b32_e32 v30, s27
	v_add_co_u32_e64 v28, s[0:1], s26, v28
	v_addc_co_u32_e64 v29, s[0:1], v30, v29, s[0:1]
	v_lshlrev_b64 v[26:27], 3, v[26:27]
	global_store_dword v[28:29], v17, off
	v_mov_b32_e32 v28, s23
	v_add_co_u32_e64 v26, s[0:1], s22, v26
	v_addc_co_u32_e64 v27, s[0:1], v28, v27, s[0:1]
	s_waitcnt vmcnt(1)
	global_store_dwordx2 v[26:27], v[24:25], off
	s_or_b64 exec, exec, s[50:51]
	s_and_saveexec_b64 s[50:51], s[42:43]
	s_cbranch_execz .LBB146_23
.LBB146_35:                             ;   in Loop: Header=BB146_13 Depth=1
	v_add3_u32 v24, v8, v12, 64
	v_add3_u32 v25, v2, s53, 32
	v_cndmask_b32_e32 v24, v25, v24, vcc
	v_ashrrev_i32_e32 v25, 31, v24
	v_lshlrev_b64 v[24:25], 3, v[24:25]
	v_mov_b32_e32 v26, s25
	v_add_co_u32_e64 v24, s[0:1], s24, v24
	v_addc_co_u32_e64 v25, s[0:1], v26, v25, s[0:1]
	global_load_dwordx2 v[24:25], v[24:25], off
	v_add3_u32 v26, v8, v1, 64
	v_ashrrev_i32_e32 v27, 31, v26
	v_lshlrev_b64 v[28:29], 2, v[26:27]
	v_mov_b32_e32 v30, s27
	v_add_co_u32_e64 v28, s[0:1], s26, v28
	v_addc_co_u32_e64 v29, s[0:1], v30, v29, s[0:1]
	v_lshlrev_b64 v[26:27], 3, v[26:27]
	global_store_dword v[28:29], v18, off
	v_mov_b32_e32 v28, s23
	v_add_co_u32_e64 v26, s[0:1], s22, v26
	v_addc_co_u32_e64 v27, s[0:1], v28, v27, s[0:1]
	s_waitcnt vmcnt(1)
	global_store_dwordx2 v[26:27], v[24:25], off
	s_or_b64 exec, exec, s[50:51]
	s_and_saveexec_b64 s[50:51], s[2:3]
	s_cbranch_execz .LBB146_24
.LBB146_36:                             ;   in Loop: Header=BB146_13 Depth=1
	v_add3_u32 v24, v8, v12, s54
	v_add3_u32 v25, v0, s53, 32
	v_cndmask_b32_e32 v24, v25, v24, vcc
	v_ashrrev_i32_e32 v25, 31, v24
	v_lshlrev_b64 v[24:25], 3, v[24:25]
	v_mov_b32_e32 v26, s25
	v_add_co_u32_e64 v24, s[0:1], s24, v24
	v_addc_co_u32_e64 v25, s[0:1], v26, v25, s[0:1]
	global_load_dwordx2 v[24:25], v[24:25], off
	v_add3_u32 v26, v8, v1, s54
	v_ashrrev_i32_e32 v27, 31, v26
	v_lshlrev_b64 v[28:29], 2, v[26:27]
	v_mov_b32_e32 v30, s27
	v_add_co_u32_e64 v28, s[0:1], s26, v28
	v_addc_co_u32_e64 v29, s[0:1], v30, v29, s[0:1]
	v_lshlrev_b64 v[26:27], 3, v[26:27]
	global_store_dword v[28:29], v19, off
	v_mov_b32_e32 v28, s23
	v_add_co_u32_e64 v26, s[0:1], s22, v26
	v_addc_co_u32_e64 v27, s[0:1], v28, v27, s[0:1]
	s_waitcnt vmcnt(1)
	global_store_dwordx2 v[26:27], v[24:25], off
	s_or_b64 exec, exec, s[50:51]
	v_add_u32_e32 v24, v8, v13
	s_and_saveexec_b64 s[50:51], s[44:45]
	s_cbranch_execz .LBB146_25
.LBB146_37:                             ;   in Loop: Header=BB146_13 Depth=1
	v_add3_u32 v25, v6, s53, 64
	v_cndmask_b32_e32 v26, v25, v24, vcc
	v_ashrrev_i32_e32 v27, 31, v26
	v_lshlrev_b64 v[26:27], 3, v[26:27]
	v_mov_b32_e32 v25, s25
	v_add_co_u32_e64 v26, s[0:1], s24, v26
	v_addc_co_u32_e64 v27, s[0:1], v25, v27, s[0:1]
	global_load_dwordx2 v[26:27], v[26:27], off
	v_add_u32_e32 v28, v8, v3
	v_ashrrev_i32_e32 v29, 31, v28
	v_lshlrev_b64 v[30:31], 2, v[28:29]
	v_mov_b32_e32 v25, s27
	v_add_co_u32_e64 v30, s[0:1], s26, v30
	v_addc_co_u32_e64 v31, s[0:1], v25, v31, s[0:1]
	v_lshlrev_b64 v[28:29], 3, v[28:29]
	v_mov_b32_e32 v25, s23
	v_add_co_u32_e64 v28, s[0:1], s22, v28
	v_addc_co_u32_e64 v29, s[0:1], v25, v29, s[0:1]
	global_store_dword v[30:31], v16, off
	s_waitcnt vmcnt(1)
	global_store_dwordx2 v[28:29], v[26:27], off
	s_or_b64 exec, exec, s[50:51]
	s_and_saveexec_b64 s[50:51], s[46:47]
	s_cbranch_execz .LBB146_26
.LBB146_38:                             ;   in Loop: Header=BB146_13 Depth=1
	v_add3_u32 v25, v8, v13, 32
	v_add3_u32 v26, v4, s53, 64
	v_cndmask_b32_e32 v26, v26, v25, vcc
	v_ashrrev_i32_e32 v27, 31, v26
	v_lshlrev_b64 v[26:27], 3, v[26:27]
	v_mov_b32_e32 v25, s25
	v_add_co_u32_e64 v26, s[0:1], s24, v26
	v_addc_co_u32_e64 v27, s[0:1], v25, v27, s[0:1]
	global_load_dwordx2 v[26:27], v[26:27], off
	v_add3_u32 v28, v8, v3, 32
	v_ashrrev_i32_e32 v29, 31, v28
	v_lshlrev_b64 v[30:31], 2, v[28:29]
	v_mov_b32_e32 v25, s27
	v_add_co_u32_e64 v30, s[0:1], s26, v30
	v_addc_co_u32_e64 v31, s[0:1], v25, v31, s[0:1]
	v_lshlrev_b64 v[28:29], 3, v[28:29]
	v_mov_b32_e32 v25, s23
	v_add_co_u32_e64 v28, s[0:1], s22, v28
	v_addc_co_u32_e64 v29, s[0:1], v25, v29, s[0:1]
	global_store_dword v[30:31], v17, off
	s_waitcnt vmcnt(1)
	global_store_dwordx2 v[28:29], v[26:27], off
	s_or_b64 exec, exec, s[50:51]
	s_and_saveexec_b64 s[50:51], s[48:49]
	s_cbranch_execz .LBB146_27
.LBB146_39:                             ;   in Loop: Header=BB146_13 Depth=1
	v_cndmask_b32_e32 v24, v22, v24, vcc
	v_add_u32_e32 v24, 64, v24
	v_ashrrev_i32_e32 v25, 31, v24
	v_lshlrev_b64 v[24:25], 3, v[24:25]
	v_mov_b32_e32 v26, s25
	v_add_co_u32_e64 v24, s[0:1], s24, v24
	v_addc_co_u32_e64 v25, s[0:1], v26, v25, s[0:1]
	global_load_dwordx2 v[24:25], v[24:25], off
	v_add3_u32 v26, v8, v3, 64
	v_ashrrev_i32_e32 v27, 31, v26
	v_lshlrev_b64 v[28:29], 2, v[26:27]
	v_mov_b32_e32 v30, s27
	v_add_co_u32_e64 v28, s[0:1], s26, v28
	v_addc_co_u32_e64 v29, s[0:1], v30, v29, s[0:1]
	v_lshlrev_b64 v[26:27], 3, v[26:27]
	global_store_dword v[28:29], v18, off
	v_mov_b32_e32 v28, s23
	v_add_co_u32_e64 v26, s[0:1], s22, v26
	v_addc_co_u32_e64 v27, s[0:1], v28, v27, s[0:1]
	s_waitcnt vmcnt(1)
	global_store_dwordx2 v[26:27], v[24:25], off
	s_or_b64 exec, exec, s[50:51]
	s_and_saveexec_b64 s[50:51], s[6:7]
	s_cbranch_execz .LBB146_28
.LBB146_40:                             ;   in Loop: Header=BB146_13 Depth=1
	v_add3_u32 v24, v8, v13, s54
	v_add3_u32 v25, v0, s53, 64
	v_cndmask_b32_e32 v24, v25, v24, vcc
	v_ashrrev_i32_e32 v25, 31, v24
	v_lshlrev_b64 v[24:25], 3, v[24:25]
	v_mov_b32_e32 v26, s25
	v_add_co_u32_e64 v24, s[0:1], s24, v24
	v_addc_co_u32_e64 v25, s[0:1], v26, v25, s[0:1]
	global_load_dwordx2 v[24:25], v[24:25], off
	v_add3_u32 v26, v8, v3, s54
	v_ashrrev_i32_e32 v27, 31, v26
	v_lshlrev_b64 v[28:29], 2, v[26:27]
	v_mov_b32_e32 v30, s27
	v_add_co_u32_e64 v28, s[0:1], s26, v28
	v_addc_co_u32_e64 v29, s[0:1], v30, v29, s[0:1]
	v_lshlrev_b64 v[26:27], 3, v[26:27]
	global_store_dword v[28:29], v19, off
	v_mov_b32_e32 v28, s23
	v_add_co_u32_e64 v26, s[0:1], s22, v26
	v_addc_co_u32_e64 v27, s[0:1], v28, v27, s[0:1]
	s_waitcnt vmcnt(1)
	global_store_dwordx2 v[26:27], v[24:25], off
	s_or_b64 exec, exec, s[50:51]
	v_add_u32_e32 v24, v8, v14
	s_and_saveexec_b64 s[50:51], s[4:5]
	s_cbranch_execz .LBB146_29
.LBB146_41:                             ;   in Loop: Header=BB146_13 Depth=1
	v_add_u32_e32 v20, 0x60, v20
	v_cndmask_b32_e32 v26, v20, v24, vcc
	v_ashrrev_i32_e32 v27, 31, v26
	v_lshlrev_b64 v[26:27], 3, v[26:27]
	v_mov_b32_e32 v20, s25
	v_add_co_u32_e64 v26, s[0:1], s24, v26
	v_addc_co_u32_e64 v27, s[0:1], v20, v27, s[0:1]
	global_load_dwordx2 v[26:27], v[26:27], off
	v_add_u32_e32 v28, v8, v5
	v_ashrrev_i32_e32 v29, 31, v28
	v_lshlrev_b64 v[30:31], 2, v[28:29]
	v_mov_b32_e32 v20, s27
	v_add_co_u32_e64 v30, s[0:1], s26, v30
	v_addc_co_u32_e64 v31, s[0:1], v20, v31, s[0:1]
	v_lshlrev_b64 v[28:29], 3, v[28:29]
	global_store_dword v[30:31], v16, off
	v_mov_b32_e32 v16, s23
	v_add_co_u32_e64 v28, s[0:1], s22, v28
	v_addc_co_u32_e64 v29, s[0:1], v16, v29, s[0:1]
	s_waitcnt vmcnt(1)
	global_store_dwordx2 v[28:29], v[26:27], off
	s_or_b64 exec, exec, s[50:51]
	s_and_saveexec_b64 s[50:51], s[10:11]
	s_cbranch_execz .LBB146_30
.LBB146_42:                             ;   in Loop: Header=BB146_13 Depth=1
	v_add3_u32 v16, v8, v14, 32
	v_add_u32_e32 v20, 0x60, v21
	v_cndmask_b32_e32 v20, v20, v16, vcc
	v_ashrrev_i32_e32 v21, 31, v20
	v_lshlrev_b64 v[20:21], 3, v[20:21]
	v_mov_b32_e32 v16, s25
	v_add_co_u32_e64 v20, s[0:1], s24, v20
	v_addc_co_u32_e64 v21, s[0:1], v16, v21, s[0:1]
	global_load_dwordx2 v[20:21], v[20:21], off
	v_add3_u32 v26, v8, v5, 32
	v_ashrrev_i32_e32 v27, 31, v26
	v_lshlrev_b64 v[28:29], 2, v[26:27]
	v_mov_b32_e32 v16, s27
	v_add_co_u32_e64 v28, s[0:1], s26, v28
	v_addc_co_u32_e64 v29, s[0:1], v16, v29, s[0:1]
	global_store_dword v[28:29], v17, off
	v_lshlrev_b64 v[16:17], 3, v[26:27]
	v_mov_b32_e32 v25, s23
	v_add_co_u32_e64 v16, s[0:1], s22, v16
	v_addc_co_u32_e64 v17, s[0:1], v25, v17, s[0:1]
	s_waitcnt vmcnt(1)
	global_store_dwordx2 v[16:17], v[20:21], off
	s_or_b64 exec, exec, s[50:51]
	s_and_saveexec_b64 s[50:51], s[12:13]
	s_cbranch_execz .LBB146_31
.LBB146_43:                             ;   in Loop: Header=BB146_13 Depth=1
	v_add3_u32 v16, v8, v14, 64
	v_add_u32_e32 v17, 0x60, v22
	v_cndmask_b32_e32 v16, v17, v16, vcc
	v_ashrrev_i32_e32 v17, 31, v16
	v_lshlrev_b64 v[16:17], 3, v[16:17]
	v_mov_b32_e32 v20, s25
	v_add_co_u32_e64 v16, s[0:1], s24, v16
	v_addc_co_u32_e64 v17, s[0:1], v20, v17, s[0:1]
	global_load_dwordx2 v[16:17], v[16:17], off
	v_add3_u32 v20, v8, v5, 64
	v_ashrrev_i32_e32 v21, 31, v20
	v_lshlrev_b64 v[26:27], 2, v[20:21]
	v_mov_b32_e32 v22, s27
	v_add_co_u32_e64 v26, s[0:1], s26, v26
	v_addc_co_u32_e64 v27, s[0:1], v22, v27, s[0:1]
	v_lshlrev_b64 v[20:21], 3, v[20:21]
	global_store_dword v[26:27], v18, off
	v_mov_b32_e32 v18, s23
	v_add_co_u32_e64 v20, s[0:1], s22, v20
	v_addc_co_u32_e64 v21, s[0:1], v18, v21, s[0:1]
	s_waitcnt vmcnt(1)
	global_store_dwordx2 v[20:21], v[16:17], off
	s_or_b64 exec, exec, s[50:51]
	s_and_saveexec_b64 s[50:51], s[8:9]
	s_cbranch_execz .LBB146_12
.LBB146_44:                             ;   in Loop: Header=BB146_13 Depth=1
	v_cndmask_b32_e32 v16, v23, v24, vcc
	v_add_u32_e32 v16, 0x60, v16
	v_ashrrev_i32_e32 v17, 31, v16
	v_lshlrev_b64 v[16:17], 3, v[16:17]
	v_mov_b32_e32 v18, s25
	v_add_co_u32_e64 v16, s[0:1], s24, v16
	v_addc_co_u32_e64 v17, s[0:1], v18, v17, s[0:1]
	global_load_dwordx2 v[16:17], v[16:17], off
	v_add3_u32 v20, v8, v5, s54
	v_ashrrev_i32_e32 v21, 31, v20
	v_lshlrev_b64 v[22:23], 2, v[20:21]
	v_mov_b32_e32 v18, s27
	v_add_co_u32_e64 v22, s[0:1], s26, v22
	v_addc_co_u32_e64 v23, s[0:1], v18, v23, s[0:1]
	global_store_dword v[22:23], v19, off
	v_lshlrev_b64 v[18:19], 3, v[20:21]
	v_mov_b32_e32 v20, s23
	v_add_co_u32_e64 v18, s[0:1], s22, v18
	v_addc_co_u32_e64 v19, s[0:1], v20, v19, s[0:1]
	s_waitcnt vmcnt(1)
	global_store_dwordx2 v[18:19], v[16:17], off
	s_branch .LBB146_12
.LBB146_45:
	s_endpgm
	.section	.rodata,"a",@progbits
	.p2align	6, 0x0
	.amdhsa_kernel _ZN9rocsparseL37gebsr2csr_block_per_row_33_128_kernelILi1024ELi128ELi128ELi32ELi32E21rocsparse_complex_numIfEEEv20rocsparse_direction_ii21rocsparse_index_base_PKT4_PKiS9_iiS4_PS5_PiSB_
		.amdhsa_group_segment_fixed_size 0
		.amdhsa_private_segment_fixed_size 0
		.amdhsa_kernarg_size 80
		.amdhsa_user_sgpr_count 6
		.amdhsa_user_sgpr_private_segment_buffer 1
		.amdhsa_user_sgpr_dispatch_ptr 0
		.amdhsa_user_sgpr_queue_ptr 0
		.amdhsa_user_sgpr_kernarg_segment_ptr 1
		.amdhsa_user_sgpr_dispatch_id 0
		.amdhsa_user_sgpr_flat_scratch_init 0
		.amdhsa_user_sgpr_kernarg_preload_length 0
		.amdhsa_user_sgpr_kernarg_preload_offset 0
		.amdhsa_user_sgpr_private_segment_size 0
		.amdhsa_uses_dynamic_stack 0
		.amdhsa_system_sgpr_private_segment_wavefront_offset 0
		.amdhsa_system_sgpr_workgroup_id_x 1
		.amdhsa_system_sgpr_workgroup_id_y 0
		.amdhsa_system_sgpr_workgroup_id_z 0
		.amdhsa_system_sgpr_workgroup_info 0
		.amdhsa_system_vgpr_workitem_id 0
		.amdhsa_next_free_vgpr 32
		.amdhsa_next_free_sgpr 58
		.amdhsa_accum_offset 32
		.amdhsa_reserve_vcc 1
		.amdhsa_reserve_flat_scratch 0
		.amdhsa_float_round_mode_32 0
		.amdhsa_float_round_mode_16_64 0
		.amdhsa_float_denorm_mode_32 3
		.amdhsa_float_denorm_mode_16_64 3
		.amdhsa_dx10_clamp 1
		.amdhsa_ieee_mode 1
		.amdhsa_fp16_overflow 0
		.amdhsa_tg_split 0
		.amdhsa_exception_fp_ieee_invalid_op 0
		.amdhsa_exception_fp_denorm_src 0
		.amdhsa_exception_fp_ieee_div_zero 0
		.amdhsa_exception_fp_ieee_overflow 0
		.amdhsa_exception_fp_ieee_underflow 0
		.amdhsa_exception_fp_ieee_inexact 0
		.amdhsa_exception_int_div_zero 0
	.end_amdhsa_kernel
	.section	.text._ZN9rocsparseL37gebsr2csr_block_per_row_33_128_kernelILi1024ELi128ELi128ELi32ELi32E21rocsparse_complex_numIfEEEv20rocsparse_direction_ii21rocsparse_index_base_PKT4_PKiS9_iiS4_PS5_PiSB_,"axG",@progbits,_ZN9rocsparseL37gebsr2csr_block_per_row_33_128_kernelILi1024ELi128ELi128ELi32ELi32E21rocsparse_complex_numIfEEEv20rocsparse_direction_ii21rocsparse_index_base_PKT4_PKiS9_iiS4_PS5_PiSB_,comdat
.Lfunc_end146:
	.size	_ZN9rocsparseL37gebsr2csr_block_per_row_33_128_kernelILi1024ELi128ELi128ELi32ELi32E21rocsparse_complex_numIfEEEv20rocsparse_direction_ii21rocsparse_index_base_PKT4_PKiS9_iiS4_PS5_PiSB_, .Lfunc_end146-_ZN9rocsparseL37gebsr2csr_block_per_row_33_128_kernelILi1024ELi128ELi128ELi32ELi32E21rocsparse_complex_numIfEEEv20rocsparse_direction_ii21rocsparse_index_base_PKT4_PKiS9_iiS4_PS5_PiSB_
                                        ; -- End function
	.section	.AMDGPU.csdata,"",@progbits
; Kernel info:
; codeLenInByte = 3620
; NumSgprs: 62
; NumVgprs: 32
; NumAgprs: 0
; TotalNumVgprs: 32
; ScratchSize: 0
; MemoryBound: 0
; FloatMode: 240
; IeeeMode: 1
; LDSByteSize: 0 bytes/workgroup (compile time only)
; SGPRBlocks: 7
; VGPRBlocks: 3
; NumSGPRsForWavesPerEU: 62
; NumVGPRsForWavesPerEU: 32
; AccumOffset: 32
; Occupancy: 8
; WaveLimiterHint : 1
; COMPUTE_PGM_RSRC2:SCRATCH_EN: 0
; COMPUTE_PGM_RSRC2:USER_SGPR: 6
; COMPUTE_PGM_RSRC2:TRAP_HANDLER: 0
; COMPUTE_PGM_RSRC2:TGID_X_EN: 1
; COMPUTE_PGM_RSRC2:TGID_Y_EN: 0
; COMPUTE_PGM_RSRC2:TGID_Z_EN: 0
; COMPUTE_PGM_RSRC2:TIDIG_COMP_CNT: 0
; COMPUTE_PGM_RSRC3_GFX90A:ACCUM_OFFSET: 7
; COMPUTE_PGM_RSRC3_GFX90A:TG_SPLIT: 0
	.section	.text._ZN9rocsparseL35gebsr2csr_block_per_row_1_32_kernelILi256ELi2ELi2E21rocsparse_complex_numIdEEEv20rocsparse_direction_ii21rocsparse_index_base_PKT2_PKiS9_iiS4_PS5_PiSB_,"axG",@progbits,_ZN9rocsparseL35gebsr2csr_block_per_row_1_32_kernelILi256ELi2ELi2E21rocsparse_complex_numIdEEEv20rocsparse_direction_ii21rocsparse_index_base_PKT2_PKiS9_iiS4_PS5_PiSB_,comdat
	.globl	_ZN9rocsparseL35gebsr2csr_block_per_row_1_32_kernelILi256ELi2ELi2E21rocsparse_complex_numIdEEEv20rocsparse_direction_ii21rocsparse_index_base_PKT2_PKiS9_iiS4_PS5_PiSB_ ; -- Begin function _ZN9rocsparseL35gebsr2csr_block_per_row_1_32_kernelILi256ELi2ELi2E21rocsparse_complex_numIdEEEv20rocsparse_direction_ii21rocsparse_index_base_PKT2_PKiS9_iiS4_PS5_PiSB_
	.p2align	8
	.type	_ZN9rocsparseL35gebsr2csr_block_per_row_1_32_kernelILi256ELi2ELi2E21rocsparse_complex_numIdEEEv20rocsparse_direction_ii21rocsparse_index_base_PKT2_PKiS9_iiS4_PS5_PiSB_,@function
_ZN9rocsparseL35gebsr2csr_block_per_row_1_32_kernelILi256ELi2ELi2E21rocsparse_complex_numIdEEEv20rocsparse_direction_ii21rocsparse_index_base_PKT2_PKiS9_iiS4_PS5_PiSB_: ; @_ZN9rocsparseL35gebsr2csr_block_per_row_1_32_kernelILi256ELi2ELi2E21rocsparse_complex_numIdEEEv20rocsparse_direction_ii21rocsparse_index_base_PKT2_PKiS9_iiS4_PS5_PiSB_
; %bb.0:
	s_load_dwordx2 s[0:1], s[4:5], 0x18
	s_load_dwordx4 s[8:11], s[4:5], 0x28
	s_load_dwordx2 s[2:3], s[4:5], 0x40
	s_ashr_i32 s7, s6, 31
	s_lshl_b64 s[12:13], s[6:7], 2
	s_waitcnt lgkmcnt(0)
	s_add_u32 s12, s0, s12
	v_or_b32_e32 v1, s6, v0
	s_addc_u32 s13, s1, s13
	v_cmp_eq_u32_e32 vcc, 0, v1
	s_and_saveexec_b64 s[0:1], vcc
	s_cbranch_execz .LBB147_2
; %bb.1:
	v_mov_b32_e32 v1, 0
	v_mov_b32_e32 v2, s10
	global_store_dword v1, v2, s[2:3]
.LBB147_2:
	s_or_b64 exec, exec, s[0:1]
	v_and_b32_e32 v6, 1, v0
	v_bfe_u32 v8, v0, 1, 1
	v_cmp_gt_i32_e32 vcc, s8, v8
	v_cmp_gt_i32_e64 s[0:1], s9, v6
	s_and_b64 s[0:1], vcc, s[0:1]
	s_and_saveexec_b64 s[14:15], s[0:1]
	s_cbranch_execz .LBB147_6
; %bb.3:
	s_load_dwordx2 s[14:15], s[12:13], 0x0
	s_load_dword s11, s[4:5], 0xc
	s_mul_i32 s6, s6, s8
	v_add_u32_e32 v2, s6, v8
	s_mul_i32 s1, s9, s8
	v_ashrrev_i32_e32 v3, 31, v2
	s_waitcnt lgkmcnt(0)
	s_sub_i32 s0, s14, s11
	s_sub_i32 s14, s15, s11
	;; [unrolled: 1-line block ×3, first 2 shown]
	s_mul_i32 s12, s15, s9
	v_lshrrev_b32_e32 v1, 2, v0
	s_mul_i32 s7, s0, s1
	v_mul_lo_u32 v0, s12, v8
	s_add_i32 s12, s12, s10
	v_lshlrev_b64 v[2:3], 2, v[2:3]
	s_add_i32 s12, s12, s7
	v_mov_b32_e32 v4, s3
	v_add_co_u32_e32 v2, vcc, s2, v2
	v_add_u32_e32 v0, s12, v0
	v_addc_co_u32_e32 v3, vcc, v4, v3, vcc
	global_store_dword v[2:3], v0, off offset:4
	v_add_u32_e32 v0, s0, v1
	v_cmp_gt_i32_e32 vcc, s14, v0
	s_and_b64 exec, exec, vcc
	s_cbranch_execz .LBB147_6
; %bb.4:
	s_load_dwordx2 s[16:17], s[4:5], 0x20
	s_load_dwordx2 s[2:3], s[4:5], 0x38
	s_load_dword s18, s[4:5], 0x0
	s_load_dwordx2 s[6:7], s[4:5], 0x10
	s_load_dwordx2 s[12:13], s[4:5], 0x48
	v_mad_u64_u32 v[4:5], s[4:5], v6, s8, v[8:9]
	s_waitcnt lgkmcnt(0)
	s_cmp_eq_u32 s18, 0
	v_mad_u64_u32 v[10:11], s[4:5], v8, s9, v[6:7]
	s_cselect_b64 vcc, -1, 0
	s_mul_i32 s0, s8, s0
	v_mul_lo_u32 v3, s15, v8
	v_cndmask_b32_e32 v4, v4, v10, vcc
	v_add3_u32 v1, v1, s0, v3
	v_add_u32_e32 v2, s10, v6
	v_mad_u64_u32 v[4:5], s[4:5], s1, v0, v[4:5]
	s_lshl_b32 s10, s1, 6
	v_mad_u64_u32 v[6:7], s[0:1], s9, v1, v[6:7]
	v_ashrrev_i32_e32 v1, 31, v0
	v_lshlrev_b64 v[8:9], 2, v[0:1]
	v_mov_b32_e32 v1, s17
	v_add_co_u32_e32 v8, vcc, s16, v8
	s_lshl_b32 s8, s9, 6
	v_addc_co_u32_e32 v9, vcc, v1, v9, vcc
	s_mov_b64 s[4:5], 0
	v_mov_b32_e32 v1, s13
	v_mov_b32_e32 v3, s3
	;; [unrolled: 1-line block ×3, first 2 shown]
.LBB147_5:                              ; =>This Inner Loop Header: Depth=1
	v_ashrrev_i32_e32 v5, 31, v4
	global_load_dword v11, v[8:9], off
	v_lshlrev_b64 v[12:13], 4, v[4:5]
	v_add_co_u32_e32 v12, vcc, s6, v12
	v_addc_co_u32_e32 v13, vcc, v10, v13, vcc
	global_load_dwordx4 v[12:15], v[12:13], off
	v_ashrrev_i32_e32 v7, 31, v6
	v_lshlrev_b64 v[16:17], 2, v[6:7]
	v_add_co_u32_e32 v8, vcc, 0x100, v8
	v_add_co_u32_e64 v16, s[0:1], s12, v16
	v_add_u32_e32 v0, 64, v0
	v_lshlrev_b64 v[18:19], 4, v[6:7]
	v_addc_co_u32_e32 v9, vcc, 0, v9, vcc
	v_addc_co_u32_e64 v17, s[0:1], v1, v17, s[0:1]
	v_cmp_le_i32_e32 vcc, s14, v0
	v_add_co_u32_e64 v18, s[0:1], s2, v18
	v_add_u32_e32 v4, s10, v4
	v_add_u32_e32 v6, s8, v6
	v_addc_co_u32_e64 v19, s[0:1], v3, v19, s[0:1]
	s_or_b64 s[4:5], vcc, s[4:5]
	s_waitcnt vmcnt(1)
	v_subrev_u32_e32 v5, s11, v11
	v_mad_u64_u32 v[20:21], s[0:1], v5, s9, v[2:3]
	global_store_dword v[16:17], v20, off
	s_waitcnt vmcnt(1)
	global_store_dwordx4 v[18:19], v[12:15], off
	s_andn2_b64 exec, exec, s[4:5]
	s_cbranch_execnz .LBB147_5
.LBB147_6:
	s_endpgm
	.section	.rodata,"a",@progbits
	.p2align	6, 0x0
	.amdhsa_kernel _ZN9rocsparseL35gebsr2csr_block_per_row_1_32_kernelILi256ELi2ELi2E21rocsparse_complex_numIdEEEv20rocsparse_direction_ii21rocsparse_index_base_PKT2_PKiS9_iiS4_PS5_PiSB_
		.amdhsa_group_segment_fixed_size 0
		.amdhsa_private_segment_fixed_size 0
		.amdhsa_kernarg_size 80
		.amdhsa_user_sgpr_count 6
		.amdhsa_user_sgpr_private_segment_buffer 1
		.amdhsa_user_sgpr_dispatch_ptr 0
		.amdhsa_user_sgpr_queue_ptr 0
		.amdhsa_user_sgpr_kernarg_segment_ptr 1
		.amdhsa_user_sgpr_dispatch_id 0
		.amdhsa_user_sgpr_flat_scratch_init 0
		.amdhsa_user_sgpr_kernarg_preload_length 0
		.amdhsa_user_sgpr_kernarg_preload_offset 0
		.amdhsa_user_sgpr_private_segment_size 0
		.amdhsa_uses_dynamic_stack 0
		.amdhsa_system_sgpr_private_segment_wavefront_offset 0
		.amdhsa_system_sgpr_workgroup_id_x 1
		.amdhsa_system_sgpr_workgroup_id_y 0
		.amdhsa_system_sgpr_workgroup_id_z 0
		.amdhsa_system_sgpr_workgroup_info 0
		.amdhsa_system_vgpr_workitem_id 0
		.amdhsa_next_free_vgpr 22
		.amdhsa_next_free_sgpr 19
		.amdhsa_accum_offset 24
		.amdhsa_reserve_vcc 1
		.amdhsa_reserve_flat_scratch 0
		.amdhsa_float_round_mode_32 0
		.amdhsa_float_round_mode_16_64 0
		.amdhsa_float_denorm_mode_32 3
		.amdhsa_float_denorm_mode_16_64 3
		.amdhsa_dx10_clamp 1
		.amdhsa_ieee_mode 1
		.amdhsa_fp16_overflow 0
		.amdhsa_tg_split 0
		.amdhsa_exception_fp_ieee_invalid_op 0
		.amdhsa_exception_fp_denorm_src 0
		.amdhsa_exception_fp_ieee_div_zero 0
		.amdhsa_exception_fp_ieee_overflow 0
		.amdhsa_exception_fp_ieee_underflow 0
		.amdhsa_exception_fp_ieee_inexact 0
		.amdhsa_exception_int_div_zero 0
	.end_amdhsa_kernel
	.section	.text._ZN9rocsparseL35gebsr2csr_block_per_row_1_32_kernelILi256ELi2ELi2E21rocsparse_complex_numIdEEEv20rocsparse_direction_ii21rocsparse_index_base_PKT2_PKiS9_iiS4_PS5_PiSB_,"axG",@progbits,_ZN9rocsparseL35gebsr2csr_block_per_row_1_32_kernelILi256ELi2ELi2E21rocsparse_complex_numIdEEEv20rocsparse_direction_ii21rocsparse_index_base_PKT2_PKiS9_iiS4_PS5_PiSB_,comdat
.Lfunc_end147:
	.size	_ZN9rocsparseL35gebsr2csr_block_per_row_1_32_kernelILi256ELi2ELi2E21rocsparse_complex_numIdEEEv20rocsparse_direction_ii21rocsparse_index_base_PKT2_PKiS9_iiS4_PS5_PiSB_, .Lfunc_end147-_ZN9rocsparseL35gebsr2csr_block_per_row_1_32_kernelILi256ELi2ELi2E21rocsparse_complex_numIdEEEv20rocsparse_direction_ii21rocsparse_index_base_PKT2_PKiS9_iiS4_PS5_PiSB_
                                        ; -- End function
	.section	.AMDGPU.csdata,"",@progbits
; Kernel info:
; codeLenInByte = 568
; NumSgprs: 23
; NumVgprs: 22
; NumAgprs: 0
; TotalNumVgprs: 22
; ScratchSize: 0
; MemoryBound: 0
; FloatMode: 240
; IeeeMode: 1
; LDSByteSize: 0 bytes/workgroup (compile time only)
; SGPRBlocks: 2
; VGPRBlocks: 2
; NumSGPRsForWavesPerEU: 23
; NumVGPRsForWavesPerEU: 22
; AccumOffset: 24
; Occupancy: 8
; WaveLimiterHint : 0
; COMPUTE_PGM_RSRC2:SCRATCH_EN: 0
; COMPUTE_PGM_RSRC2:USER_SGPR: 6
; COMPUTE_PGM_RSRC2:TRAP_HANDLER: 0
; COMPUTE_PGM_RSRC2:TGID_X_EN: 1
; COMPUTE_PGM_RSRC2:TGID_Y_EN: 0
; COMPUTE_PGM_RSRC2:TGID_Z_EN: 0
; COMPUTE_PGM_RSRC2:TIDIG_COMP_CNT: 0
; COMPUTE_PGM_RSRC3_GFX90A:ACCUM_OFFSET: 5
; COMPUTE_PGM_RSRC3_GFX90A:TG_SPLIT: 0
	.section	.text._ZN9rocsparseL35gebsr2csr_block_per_row_1_32_kernelILi256ELi2ELi4E21rocsparse_complex_numIdEEEv20rocsparse_direction_ii21rocsparse_index_base_PKT2_PKiS9_iiS4_PS5_PiSB_,"axG",@progbits,_ZN9rocsparseL35gebsr2csr_block_per_row_1_32_kernelILi256ELi2ELi4E21rocsparse_complex_numIdEEEv20rocsparse_direction_ii21rocsparse_index_base_PKT2_PKiS9_iiS4_PS5_PiSB_,comdat
	.globl	_ZN9rocsparseL35gebsr2csr_block_per_row_1_32_kernelILi256ELi2ELi4E21rocsparse_complex_numIdEEEv20rocsparse_direction_ii21rocsparse_index_base_PKT2_PKiS9_iiS4_PS5_PiSB_ ; -- Begin function _ZN9rocsparseL35gebsr2csr_block_per_row_1_32_kernelILi256ELi2ELi4E21rocsparse_complex_numIdEEEv20rocsparse_direction_ii21rocsparse_index_base_PKT2_PKiS9_iiS4_PS5_PiSB_
	.p2align	8
	.type	_ZN9rocsparseL35gebsr2csr_block_per_row_1_32_kernelILi256ELi2ELi4E21rocsparse_complex_numIdEEEv20rocsparse_direction_ii21rocsparse_index_base_PKT2_PKiS9_iiS4_PS5_PiSB_,@function
_ZN9rocsparseL35gebsr2csr_block_per_row_1_32_kernelILi256ELi2ELi4E21rocsparse_complex_numIdEEEv20rocsparse_direction_ii21rocsparse_index_base_PKT2_PKiS9_iiS4_PS5_PiSB_: ; @_ZN9rocsparseL35gebsr2csr_block_per_row_1_32_kernelILi256ELi2ELi4E21rocsparse_complex_numIdEEEv20rocsparse_direction_ii21rocsparse_index_base_PKT2_PKiS9_iiS4_PS5_PiSB_
; %bb.0:
	s_load_dwordx2 s[0:1], s[4:5], 0x18
	s_load_dwordx4 s[8:11], s[4:5], 0x28
	s_load_dwordx2 s[2:3], s[4:5], 0x40
	s_ashr_i32 s7, s6, 31
	s_lshl_b64 s[12:13], s[6:7], 2
	s_waitcnt lgkmcnt(0)
	s_add_u32 s12, s0, s12
	v_or_b32_e32 v1, s6, v0
	s_addc_u32 s13, s1, s13
	v_cmp_eq_u32_e32 vcc, 0, v1
	s_and_saveexec_b64 s[0:1], vcc
	s_cbranch_execz .LBB148_2
; %bb.1:
	v_mov_b32_e32 v1, 0
	v_mov_b32_e32 v2, s10
	global_store_dword v1, v2, s[2:3]
.LBB148_2:
	s_or_b64 exec, exec, s[0:1]
	v_and_b32_e32 v6, 3, v0
	v_bfe_u32 v8, v0, 2, 1
	v_cmp_gt_i32_e32 vcc, s8, v8
	v_cmp_gt_i32_e64 s[0:1], s9, v6
	s_and_b64 s[0:1], vcc, s[0:1]
	s_and_saveexec_b64 s[14:15], s[0:1]
	s_cbranch_execz .LBB148_6
; %bb.3:
	s_load_dwordx2 s[14:15], s[12:13], 0x0
	s_load_dword s11, s[4:5], 0xc
	s_mul_i32 s6, s6, s8
	v_add_u32_e32 v2, s6, v8
	s_mul_i32 s1, s9, s8
	v_ashrrev_i32_e32 v3, 31, v2
	s_waitcnt lgkmcnt(0)
	s_sub_i32 s0, s14, s11
	s_sub_i32 s14, s15, s11
	;; [unrolled: 1-line block ×3, first 2 shown]
	s_mul_i32 s12, s15, s9
	v_lshrrev_b32_e32 v1, 3, v0
	s_mul_i32 s7, s0, s1
	v_mul_lo_u32 v0, s12, v8
	s_add_i32 s12, s12, s10
	v_lshlrev_b64 v[2:3], 2, v[2:3]
	s_add_i32 s12, s12, s7
	v_mov_b32_e32 v4, s3
	v_add_co_u32_e32 v2, vcc, s2, v2
	v_add_u32_e32 v0, s12, v0
	v_addc_co_u32_e32 v3, vcc, v4, v3, vcc
	global_store_dword v[2:3], v0, off offset:4
	v_add_u32_e32 v0, s0, v1
	v_cmp_gt_i32_e32 vcc, s14, v0
	s_and_b64 exec, exec, vcc
	s_cbranch_execz .LBB148_6
; %bb.4:
	s_load_dwordx2 s[16:17], s[4:5], 0x20
	s_load_dwordx2 s[2:3], s[4:5], 0x38
	s_load_dword s18, s[4:5], 0x0
	s_load_dwordx2 s[6:7], s[4:5], 0x10
	s_load_dwordx2 s[12:13], s[4:5], 0x48
	v_mad_u64_u32 v[4:5], s[4:5], v6, s8, v[8:9]
	s_waitcnt lgkmcnt(0)
	s_cmp_eq_u32 s18, 0
	v_mad_u64_u32 v[10:11], s[4:5], v8, s9, v[6:7]
	s_cselect_b64 vcc, -1, 0
	s_mul_i32 s0, s8, s0
	v_mul_lo_u32 v3, s15, v8
	v_cndmask_b32_e32 v4, v4, v10, vcc
	v_add3_u32 v1, v1, s0, v3
	v_add_u32_e32 v2, s10, v6
	v_mad_u64_u32 v[4:5], s[4:5], s1, v0, v[4:5]
	s_lshl_b32 s10, s1, 5
	v_mad_u64_u32 v[6:7], s[0:1], s9, v1, v[6:7]
	v_ashrrev_i32_e32 v1, 31, v0
	v_lshlrev_b64 v[8:9], 2, v[0:1]
	v_mov_b32_e32 v1, s17
	v_add_co_u32_e32 v8, vcc, s16, v8
	s_lshl_b32 s8, s9, 5
	v_addc_co_u32_e32 v9, vcc, v1, v9, vcc
	s_mov_b64 s[4:5], 0
	v_mov_b32_e32 v1, s13
	v_mov_b32_e32 v3, s3
	;; [unrolled: 1-line block ×3, first 2 shown]
.LBB148_5:                              ; =>This Inner Loop Header: Depth=1
	v_ashrrev_i32_e32 v5, 31, v4
	global_load_dword v11, v[8:9], off
	v_lshlrev_b64 v[12:13], 4, v[4:5]
	v_add_co_u32_e32 v12, vcc, s6, v12
	v_addc_co_u32_e32 v13, vcc, v10, v13, vcc
	global_load_dwordx4 v[12:15], v[12:13], off
	v_ashrrev_i32_e32 v7, 31, v6
	v_lshlrev_b64 v[16:17], 2, v[6:7]
	v_add_co_u32_e32 v8, vcc, 0x80, v8
	v_add_co_u32_e64 v16, s[0:1], s12, v16
	v_add_u32_e32 v0, 32, v0
	v_lshlrev_b64 v[18:19], 4, v[6:7]
	v_addc_co_u32_e32 v9, vcc, 0, v9, vcc
	v_addc_co_u32_e64 v17, s[0:1], v1, v17, s[0:1]
	v_cmp_le_i32_e32 vcc, s14, v0
	v_add_co_u32_e64 v18, s[0:1], s2, v18
	v_add_u32_e32 v4, s10, v4
	v_add_u32_e32 v6, s8, v6
	v_addc_co_u32_e64 v19, s[0:1], v3, v19, s[0:1]
	s_or_b64 s[4:5], vcc, s[4:5]
	s_waitcnt vmcnt(1)
	v_subrev_u32_e32 v5, s11, v11
	v_mad_u64_u32 v[20:21], s[0:1], v5, s9, v[2:3]
	global_store_dword v[16:17], v20, off
	s_waitcnt vmcnt(1)
	global_store_dwordx4 v[18:19], v[12:15], off
	s_andn2_b64 exec, exec, s[4:5]
	s_cbranch_execnz .LBB148_5
.LBB148_6:
	s_endpgm
	.section	.rodata,"a",@progbits
	.p2align	6, 0x0
	.amdhsa_kernel _ZN9rocsparseL35gebsr2csr_block_per_row_1_32_kernelILi256ELi2ELi4E21rocsparse_complex_numIdEEEv20rocsparse_direction_ii21rocsparse_index_base_PKT2_PKiS9_iiS4_PS5_PiSB_
		.amdhsa_group_segment_fixed_size 0
		.amdhsa_private_segment_fixed_size 0
		.amdhsa_kernarg_size 80
		.amdhsa_user_sgpr_count 6
		.amdhsa_user_sgpr_private_segment_buffer 1
		.amdhsa_user_sgpr_dispatch_ptr 0
		.amdhsa_user_sgpr_queue_ptr 0
		.amdhsa_user_sgpr_kernarg_segment_ptr 1
		.amdhsa_user_sgpr_dispatch_id 0
		.amdhsa_user_sgpr_flat_scratch_init 0
		.amdhsa_user_sgpr_kernarg_preload_length 0
		.amdhsa_user_sgpr_kernarg_preload_offset 0
		.amdhsa_user_sgpr_private_segment_size 0
		.amdhsa_uses_dynamic_stack 0
		.amdhsa_system_sgpr_private_segment_wavefront_offset 0
		.amdhsa_system_sgpr_workgroup_id_x 1
		.amdhsa_system_sgpr_workgroup_id_y 0
		.amdhsa_system_sgpr_workgroup_id_z 0
		.amdhsa_system_sgpr_workgroup_info 0
		.amdhsa_system_vgpr_workitem_id 0
		.amdhsa_next_free_vgpr 22
		.amdhsa_next_free_sgpr 19
		.amdhsa_accum_offset 24
		.amdhsa_reserve_vcc 1
		.amdhsa_reserve_flat_scratch 0
		.amdhsa_float_round_mode_32 0
		.amdhsa_float_round_mode_16_64 0
		.amdhsa_float_denorm_mode_32 3
		.amdhsa_float_denorm_mode_16_64 3
		.amdhsa_dx10_clamp 1
		.amdhsa_ieee_mode 1
		.amdhsa_fp16_overflow 0
		.amdhsa_tg_split 0
		.amdhsa_exception_fp_ieee_invalid_op 0
		.amdhsa_exception_fp_denorm_src 0
		.amdhsa_exception_fp_ieee_div_zero 0
		.amdhsa_exception_fp_ieee_overflow 0
		.amdhsa_exception_fp_ieee_underflow 0
		.amdhsa_exception_fp_ieee_inexact 0
		.amdhsa_exception_int_div_zero 0
	.end_amdhsa_kernel
	.section	.text._ZN9rocsparseL35gebsr2csr_block_per_row_1_32_kernelILi256ELi2ELi4E21rocsparse_complex_numIdEEEv20rocsparse_direction_ii21rocsparse_index_base_PKT2_PKiS9_iiS4_PS5_PiSB_,"axG",@progbits,_ZN9rocsparseL35gebsr2csr_block_per_row_1_32_kernelILi256ELi2ELi4E21rocsparse_complex_numIdEEEv20rocsparse_direction_ii21rocsparse_index_base_PKT2_PKiS9_iiS4_PS5_PiSB_,comdat
.Lfunc_end148:
	.size	_ZN9rocsparseL35gebsr2csr_block_per_row_1_32_kernelILi256ELi2ELi4E21rocsparse_complex_numIdEEEv20rocsparse_direction_ii21rocsparse_index_base_PKT2_PKiS9_iiS4_PS5_PiSB_, .Lfunc_end148-_ZN9rocsparseL35gebsr2csr_block_per_row_1_32_kernelILi256ELi2ELi4E21rocsparse_complex_numIdEEEv20rocsparse_direction_ii21rocsparse_index_base_PKT2_PKiS9_iiS4_PS5_PiSB_
                                        ; -- End function
	.section	.AMDGPU.csdata,"",@progbits
; Kernel info:
; codeLenInByte = 568
; NumSgprs: 23
; NumVgprs: 22
; NumAgprs: 0
; TotalNumVgprs: 22
; ScratchSize: 0
; MemoryBound: 0
; FloatMode: 240
; IeeeMode: 1
; LDSByteSize: 0 bytes/workgroup (compile time only)
; SGPRBlocks: 2
; VGPRBlocks: 2
; NumSGPRsForWavesPerEU: 23
; NumVGPRsForWavesPerEU: 22
; AccumOffset: 24
; Occupancy: 8
; WaveLimiterHint : 0
; COMPUTE_PGM_RSRC2:SCRATCH_EN: 0
; COMPUTE_PGM_RSRC2:USER_SGPR: 6
; COMPUTE_PGM_RSRC2:TRAP_HANDLER: 0
; COMPUTE_PGM_RSRC2:TGID_X_EN: 1
; COMPUTE_PGM_RSRC2:TGID_Y_EN: 0
; COMPUTE_PGM_RSRC2:TGID_Z_EN: 0
; COMPUTE_PGM_RSRC2:TIDIG_COMP_CNT: 0
; COMPUTE_PGM_RSRC3_GFX90A:ACCUM_OFFSET: 5
; COMPUTE_PGM_RSRC3_GFX90A:TG_SPLIT: 0
	.section	.text._ZN9rocsparseL35gebsr2csr_block_per_row_1_32_kernelILi256ELi2ELi8E21rocsparse_complex_numIdEEEv20rocsparse_direction_ii21rocsparse_index_base_PKT2_PKiS9_iiS4_PS5_PiSB_,"axG",@progbits,_ZN9rocsparseL35gebsr2csr_block_per_row_1_32_kernelILi256ELi2ELi8E21rocsparse_complex_numIdEEEv20rocsparse_direction_ii21rocsparse_index_base_PKT2_PKiS9_iiS4_PS5_PiSB_,comdat
	.globl	_ZN9rocsparseL35gebsr2csr_block_per_row_1_32_kernelILi256ELi2ELi8E21rocsparse_complex_numIdEEEv20rocsparse_direction_ii21rocsparse_index_base_PKT2_PKiS9_iiS4_PS5_PiSB_ ; -- Begin function _ZN9rocsparseL35gebsr2csr_block_per_row_1_32_kernelILi256ELi2ELi8E21rocsparse_complex_numIdEEEv20rocsparse_direction_ii21rocsparse_index_base_PKT2_PKiS9_iiS4_PS5_PiSB_
	.p2align	8
	.type	_ZN9rocsparseL35gebsr2csr_block_per_row_1_32_kernelILi256ELi2ELi8E21rocsparse_complex_numIdEEEv20rocsparse_direction_ii21rocsparse_index_base_PKT2_PKiS9_iiS4_PS5_PiSB_,@function
_ZN9rocsparseL35gebsr2csr_block_per_row_1_32_kernelILi256ELi2ELi8E21rocsparse_complex_numIdEEEv20rocsparse_direction_ii21rocsparse_index_base_PKT2_PKiS9_iiS4_PS5_PiSB_: ; @_ZN9rocsparseL35gebsr2csr_block_per_row_1_32_kernelILi256ELi2ELi8E21rocsparse_complex_numIdEEEv20rocsparse_direction_ii21rocsparse_index_base_PKT2_PKiS9_iiS4_PS5_PiSB_
; %bb.0:
	s_load_dwordx2 s[0:1], s[4:5], 0x18
	s_load_dwordx4 s[8:11], s[4:5], 0x28
	s_load_dwordx2 s[2:3], s[4:5], 0x40
	s_ashr_i32 s7, s6, 31
	s_lshl_b64 s[12:13], s[6:7], 2
	s_waitcnt lgkmcnt(0)
	s_add_u32 s12, s0, s12
	v_or_b32_e32 v1, s6, v0
	s_addc_u32 s13, s1, s13
	v_cmp_eq_u32_e32 vcc, 0, v1
	s_and_saveexec_b64 s[0:1], vcc
	s_cbranch_execz .LBB149_2
; %bb.1:
	v_mov_b32_e32 v1, 0
	v_mov_b32_e32 v2, s10
	global_store_dword v1, v2, s[2:3]
.LBB149_2:
	s_or_b64 exec, exec, s[0:1]
	v_and_b32_e32 v6, 7, v0
	v_bfe_u32 v8, v0, 3, 1
	v_cmp_gt_i32_e32 vcc, s8, v8
	v_cmp_gt_i32_e64 s[0:1], s9, v6
	s_and_b64 s[0:1], vcc, s[0:1]
	s_and_saveexec_b64 s[14:15], s[0:1]
	s_cbranch_execz .LBB149_6
; %bb.3:
	s_load_dwordx2 s[14:15], s[12:13], 0x0
	s_load_dword s11, s[4:5], 0xc
	s_mul_i32 s6, s6, s8
	v_add_u32_e32 v2, s6, v8
	s_mul_i32 s1, s9, s8
	v_ashrrev_i32_e32 v3, 31, v2
	s_waitcnt lgkmcnt(0)
	s_sub_i32 s0, s14, s11
	s_sub_i32 s14, s15, s11
	;; [unrolled: 1-line block ×3, first 2 shown]
	s_mul_i32 s12, s15, s9
	v_lshrrev_b32_e32 v1, 4, v0
	s_mul_i32 s7, s0, s1
	v_mul_lo_u32 v0, s12, v8
	s_add_i32 s12, s12, s10
	v_lshlrev_b64 v[2:3], 2, v[2:3]
	s_add_i32 s12, s12, s7
	v_mov_b32_e32 v4, s3
	v_add_co_u32_e32 v2, vcc, s2, v2
	v_add_u32_e32 v0, s12, v0
	v_addc_co_u32_e32 v3, vcc, v4, v3, vcc
	global_store_dword v[2:3], v0, off offset:4
	v_add_u32_e32 v0, s0, v1
	v_cmp_gt_i32_e32 vcc, s14, v0
	s_and_b64 exec, exec, vcc
	s_cbranch_execz .LBB149_6
; %bb.4:
	s_load_dwordx2 s[16:17], s[4:5], 0x20
	s_load_dwordx2 s[2:3], s[4:5], 0x38
	s_load_dword s18, s[4:5], 0x0
	s_load_dwordx2 s[6:7], s[4:5], 0x10
	s_load_dwordx2 s[12:13], s[4:5], 0x48
	v_mad_u64_u32 v[4:5], s[4:5], v6, s8, v[8:9]
	s_waitcnt lgkmcnt(0)
	s_cmp_eq_u32 s18, 0
	v_mad_u64_u32 v[10:11], s[4:5], v8, s9, v[6:7]
	s_cselect_b64 vcc, -1, 0
	s_mul_i32 s0, s8, s0
	v_mul_lo_u32 v3, s15, v8
	v_cndmask_b32_e32 v4, v4, v10, vcc
	v_add3_u32 v1, v1, s0, v3
	v_add_u32_e32 v2, s10, v6
	v_mad_u64_u32 v[4:5], s[4:5], s1, v0, v[4:5]
	s_lshl_b32 s10, s1, 4
	v_mad_u64_u32 v[6:7], s[0:1], s9, v1, v[6:7]
	v_ashrrev_i32_e32 v1, 31, v0
	v_lshlrev_b64 v[8:9], 2, v[0:1]
	v_mov_b32_e32 v1, s17
	v_add_co_u32_e32 v8, vcc, s16, v8
	s_lshl_b32 s8, s9, 4
	v_addc_co_u32_e32 v9, vcc, v1, v9, vcc
	s_mov_b64 s[4:5], 0
	v_mov_b32_e32 v1, s13
	v_mov_b32_e32 v3, s3
	;; [unrolled: 1-line block ×3, first 2 shown]
.LBB149_5:                              ; =>This Inner Loop Header: Depth=1
	v_ashrrev_i32_e32 v5, 31, v4
	global_load_dword v11, v[8:9], off
	v_lshlrev_b64 v[12:13], 4, v[4:5]
	v_add_co_u32_e32 v12, vcc, s6, v12
	v_addc_co_u32_e32 v13, vcc, v10, v13, vcc
	global_load_dwordx4 v[12:15], v[12:13], off
	v_ashrrev_i32_e32 v7, 31, v6
	v_lshlrev_b64 v[16:17], 2, v[6:7]
	v_add_co_u32_e32 v8, vcc, 64, v8
	v_add_co_u32_e64 v16, s[0:1], s12, v16
	v_add_u32_e32 v0, 16, v0
	v_addc_co_u32_e32 v9, vcc, 0, v9, vcc
	v_lshlrev_b64 v[18:19], 4, v[6:7]
	v_addc_co_u32_e64 v17, s[0:1], v1, v17, s[0:1]
	v_cmp_le_i32_e32 vcc, s14, v0
	v_add_co_u32_e64 v18, s[0:1], s2, v18
	v_add_u32_e32 v4, s10, v4
	v_add_u32_e32 v6, s8, v6
	v_addc_co_u32_e64 v19, s[0:1], v3, v19, s[0:1]
	s_or_b64 s[4:5], vcc, s[4:5]
	s_waitcnt vmcnt(1)
	v_subrev_u32_e32 v5, s11, v11
	v_mad_u64_u32 v[20:21], s[0:1], v5, s9, v[2:3]
	global_store_dword v[16:17], v20, off
	s_waitcnt vmcnt(1)
	global_store_dwordx4 v[18:19], v[12:15], off
	s_andn2_b64 exec, exec, s[4:5]
	s_cbranch_execnz .LBB149_5
.LBB149_6:
	s_endpgm
	.section	.rodata,"a",@progbits
	.p2align	6, 0x0
	.amdhsa_kernel _ZN9rocsparseL35gebsr2csr_block_per_row_1_32_kernelILi256ELi2ELi8E21rocsparse_complex_numIdEEEv20rocsparse_direction_ii21rocsparse_index_base_PKT2_PKiS9_iiS4_PS5_PiSB_
		.amdhsa_group_segment_fixed_size 0
		.amdhsa_private_segment_fixed_size 0
		.amdhsa_kernarg_size 80
		.amdhsa_user_sgpr_count 6
		.amdhsa_user_sgpr_private_segment_buffer 1
		.amdhsa_user_sgpr_dispatch_ptr 0
		.amdhsa_user_sgpr_queue_ptr 0
		.amdhsa_user_sgpr_kernarg_segment_ptr 1
		.amdhsa_user_sgpr_dispatch_id 0
		.amdhsa_user_sgpr_flat_scratch_init 0
		.amdhsa_user_sgpr_kernarg_preload_length 0
		.amdhsa_user_sgpr_kernarg_preload_offset 0
		.amdhsa_user_sgpr_private_segment_size 0
		.amdhsa_uses_dynamic_stack 0
		.amdhsa_system_sgpr_private_segment_wavefront_offset 0
		.amdhsa_system_sgpr_workgroup_id_x 1
		.amdhsa_system_sgpr_workgroup_id_y 0
		.amdhsa_system_sgpr_workgroup_id_z 0
		.amdhsa_system_sgpr_workgroup_info 0
		.amdhsa_system_vgpr_workitem_id 0
		.amdhsa_next_free_vgpr 22
		.amdhsa_next_free_sgpr 19
		.amdhsa_accum_offset 24
		.amdhsa_reserve_vcc 1
		.amdhsa_reserve_flat_scratch 0
		.amdhsa_float_round_mode_32 0
		.amdhsa_float_round_mode_16_64 0
		.amdhsa_float_denorm_mode_32 3
		.amdhsa_float_denorm_mode_16_64 3
		.amdhsa_dx10_clamp 1
		.amdhsa_ieee_mode 1
		.amdhsa_fp16_overflow 0
		.amdhsa_tg_split 0
		.amdhsa_exception_fp_ieee_invalid_op 0
		.amdhsa_exception_fp_denorm_src 0
		.amdhsa_exception_fp_ieee_div_zero 0
		.amdhsa_exception_fp_ieee_overflow 0
		.amdhsa_exception_fp_ieee_underflow 0
		.amdhsa_exception_fp_ieee_inexact 0
		.amdhsa_exception_int_div_zero 0
	.end_amdhsa_kernel
	.section	.text._ZN9rocsparseL35gebsr2csr_block_per_row_1_32_kernelILi256ELi2ELi8E21rocsparse_complex_numIdEEEv20rocsparse_direction_ii21rocsparse_index_base_PKT2_PKiS9_iiS4_PS5_PiSB_,"axG",@progbits,_ZN9rocsparseL35gebsr2csr_block_per_row_1_32_kernelILi256ELi2ELi8E21rocsparse_complex_numIdEEEv20rocsparse_direction_ii21rocsparse_index_base_PKT2_PKiS9_iiS4_PS5_PiSB_,comdat
.Lfunc_end149:
	.size	_ZN9rocsparseL35gebsr2csr_block_per_row_1_32_kernelILi256ELi2ELi8E21rocsparse_complex_numIdEEEv20rocsparse_direction_ii21rocsparse_index_base_PKT2_PKiS9_iiS4_PS5_PiSB_, .Lfunc_end149-_ZN9rocsparseL35gebsr2csr_block_per_row_1_32_kernelILi256ELi2ELi8E21rocsparse_complex_numIdEEEv20rocsparse_direction_ii21rocsparse_index_base_PKT2_PKiS9_iiS4_PS5_PiSB_
                                        ; -- End function
	.section	.AMDGPU.csdata,"",@progbits
; Kernel info:
; codeLenInByte = 564
; NumSgprs: 23
; NumVgprs: 22
; NumAgprs: 0
; TotalNumVgprs: 22
; ScratchSize: 0
; MemoryBound: 0
; FloatMode: 240
; IeeeMode: 1
; LDSByteSize: 0 bytes/workgroup (compile time only)
; SGPRBlocks: 2
; VGPRBlocks: 2
; NumSGPRsForWavesPerEU: 23
; NumVGPRsForWavesPerEU: 22
; AccumOffset: 24
; Occupancy: 8
; WaveLimiterHint : 0
; COMPUTE_PGM_RSRC2:SCRATCH_EN: 0
; COMPUTE_PGM_RSRC2:USER_SGPR: 6
; COMPUTE_PGM_RSRC2:TRAP_HANDLER: 0
; COMPUTE_PGM_RSRC2:TGID_X_EN: 1
; COMPUTE_PGM_RSRC2:TGID_Y_EN: 0
; COMPUTE_PGM_RSRC2:TGID_Z_EN: 0
; COMPUTE_PGM_RSRC2:TIDIG_COMP_CNT: 0
; COMPUTE_PGM_RSRC3_GFX90A:ACCUM_OFFSET: 5
; COMPUTE_PGM_RSRC3_GFX90A:TG_SPLIT: 0
	.section	.text._ZN9rocsparseL35gebsr2csr_block_per_row_1_32_kernelILi256ELi2ELi16E21rocsparse_complex_numIdEEEv20rocsparse_direction_ii21rocsparse_index_base_PKT2_PKiS9_iiS4_PS5_PiSB_,"axG",@progbits,_ZN9rocsparseL35gebsr2csr_block_per_row_1_32_kernelILi256ELi2ELi16E21rocsparse_complex_numIdEEEv20rocsparse_direction_ii21rocsparse_index_base_PKT2_PKiS9_iiS4_PS5_PiSB_,comdat
	.globl	_ZN9rocsparseL35gebsr2csr_block_per_row_1_32_kernelILi256ELi2ELi16E21rocsparse_complex_numIdEEEv20rocsparse_direction_ii21rocsparse_index_base_PKT2_PKiS9_iiS4_PS5_PiSB_ ; -- Begin function _ZN9rocsparseL35gebsr2csr_block_per_row_1_32_kernelILi256ELi2ELi16E21rocsparse_complex_numIdEEEv20rocsparse_direction_ii21rocsparse_index_base_PKT2_PKiS9_iiS4_PS5_PiSB_
	.p2align	8
	.type	_ZN9rocsparseL35gebsr2csr_block_per_row_1_32_kernelILi256ELi2ELi16E21rocsparse_complex_numIdEEEv20rocsparse_direction_ii21rocsparse_index_base_PKT2_PKiS9_iiS4_PS5_PiSB_,@function
_ZN9rocsparseL35gebsr2csr_block_per_row_1_32_kernelILi256ELi2ELi16E21rocsparse_complex_numIdEEEv20rocsparse_direction_ii21rocsparse_index_base_PKT2_PKiS9_iiS4_PS5_PiSB_: ; @_ZN9rocsparseL35gebsr2csr_block_per_row_1_32_kernelILi256ELi2ELi16E21rocsparse_complex_numIdEEEv20rocsparse_direction_ii21rocsparse_index_base_PKT2_PKiS9_iiS4_PS5_PiSB_
; %bb.0:
	s_load_dwordx2 s[0:1], s[4:5], 0x18
	s_load_dwordx4 s[8:11], s[4:5], 0x28
	s_load_dwordx2 s[2:3], s[4:5], 0x40
	s_ashr_i32 s7, s6, 31
	s_lshl_b64 s[12:13], s[6:7], 2
	s_waitcnt lgkmcnt(0)
	s_add_u32 s12, s0, s12
	v_or_b32_e32 v1, s6, v0
	s_addc_u32 s13, s1, s13
	v_cmp_eq_u32_e32 vcc, 0, v1
	s_and_saveexec_b64 s[0:1], vcc
	s_cbranch_execz .LBB150_2
; %bb.1:
	v_mov_b32_e32 v1, 0
	v_mov_b32_e32 v2, s10
	global_store_dword v1, v2, s[2:3]
.LBB150_2:
	s_or_b64 exec, exec, s[0:1]
	v_and_b32_e32 v6, 15, v0
	v_bfe_u32 v8, v0, 4, 1
	v_cmp_gt_i32_e32 vcc, s8, v8
	v_cmp_gt_i32_e64 s[0:1], s9, v6
	s_and_b64 s[0:1], vcc, s[0:1]
	s_and_saveexec_b64 s[14:15], s[0:1]
	s_cbranch_execz .LBB150_6
; %bb.3:
	s_load_dwordx2 s[14:15], s[12:13], 0x0
	s_load_dword s11, s[4:5], 0xc
	s_mul_i32 s6, s6, s8
	v_add_u32_e32 v2, s6, v8
	s_mul_i32 s1, s9, s8
	v_ashrrev_i32_e32 v3, 31, v2
	s_waitcnt lgkmcnt(0)
	s_sub_i32 s0, s14, s11
	s_sub_i32 s14, s15, s11
	;; [unrolled: 1-line block ×3, first 2 shown]
	s_mul_i32 s12, s15, s9
	v_lshrrev_b32_e32 v1, 5, v0
	s_mul_i32 s7, s0, s1
	v_mul_lo_u32 v0, s12, v8
	s_add_i32 s12, s12, s10
	v_lshlrev_b64 v[2:3], 2, v[2:3]
	s_add_i32 s12, s12, s7
	v_mov_b32_e32 v4, s3
	v_add_co_u32_e32 v2, vcc, s2, v2
	v_add_u32_e32 v0, s12, v0
	v_addc_co_u32_e32 v3, vcc, v4, v3, vcc
	global_store_dword v[2:3], v0, off offset:4
	v_add_u32_e32 v0, s0, v1
	v_cmp_gt_i32_e32 vcc, s14, v0
	s_and_b64 exec, exec, vcc
	s_cbranch_execz .LBB150_6
; %bb.4:
	s_load_dwordx2 s[16:17], s[4:5], 0x20
	s_load_dwordx2 s[2:3], s[4:5], 0x38
	s_load_dword s18, s[4:5], 0x0
	s_load_dwordx2 s[6:7], s[4:5], 0x10
	s_load_dwordx2 s[12:13], s[4:5], 0x48
	v_mad_u64_u32 v[4:5], s[4:5], v6, s8, v[8:9]
	s_waitcnt lgkmcnt(0)
	s_cmp_eq_u32 s18, 0
	v_mad_u64_u32 v[10:11], s[4:5], v8, s9, v[6:7]
	s_cselect_b64 vcc, -1, 0
	s_mul_i32 s0, s8, s0
	v_mul_lo_u32 v3, s15, v8
	v_cndmask_b32_e32 v4, v4, v10, vcc
	v_add3_u32 v1, v1, s0, v3
	v_add_u32_e32 v2, s10, v6
	v_mad_u64_u32 v[4:5], s[4:5], s1, v0, v[4:5]
	s_lshl_b32 s10, s1, 3
	v_mad_u64_u32 v[6:7], s[0:1], s9, v1, v[6:7]
	v_ashrrev_i32_e32 v1, 31, v0
	v_lshlrev_b64 v[8:9], 2, v[0:1]
	v_mov_b32_e32 v1, s17
	v_add_co_u32_e32 v8, vcc, s16, v8
	s_lshl_b32 s8, s9, 3
	v_addc_co_u32_e32 v9, vcc, v1, v9, vcc
	s_mov_b64 s[4:5], 0
	v_mov_b32_e32 v1, s13
	v_mov_b32_e32 v3, s3
	;; [unrolled: 1-line block ×3, first 2 shown]
.LBB150_5:                              ; =>This Inner Loop Header: Depth=1
	v_ashrrev_i32_e32 v5, 31, v4
	global_load_dword v11, v[8:9], off
	v_lshlrev_b64 v[12:13], 4, v[4:5]
	v_add_co_u32_e32 v12, vcc, s6, v12
	v_addc_co_u32_e32 v13, vcc, v10, v13, vcc
	global_load_dwordx4 v[12:15], v[12:13], off
	v_ashrrev_i32_e32 v7, 31, v6
	v_lshlrev_b64 v[16:17], 2, v[6:7]
	v_add_co_u32_e32 v8, vcc, 32, v8
	v_add_co_u32_e64 v16, s[0:1], s12, v16
	v_add_u32_e32 v0, 8, v0
	v_addc_co_u32_e32 v9, vcc, 0, v9, vcc
	v_lshlrev_b64 v[18:19], 4, v[6:7]
	v_addc_co_u32_e64 v17, s[0:1], v1, v17, s[0:1]
	v_cmp_le_i32_e32 vcc, s14, v0
	v_add_co_u32_e64 v18, s[0:1], s2, v18
	v_add_u32_e32 v4, s10, v4
	v_add_u32_e32 v6, s8, v6
	v_addc_co_u32_e64 v19, s[0:1], v3, v19, s[0:1]
	s_or_b64 s[4:5], vcc, s[4:5]
	s_waitcnt vmcnt(1)
	v_subrev_u32_e32 v5, s11, v11
	v_mad_u64_u32 v[20:21], s[0:1], v5, s9, v[2:3]
	global_store_dword v[16:17], v20, off
	s_waitcnt vmcnt(1)
	global_store_dwordx4 v[18:19], v[12:15], off
	s_andn2_b64 exec, exec, s[4:5]
	s_cbranch_execnz .LBB150_5
.LBB150_6:
	s_endpgm
	.section	.rodata,"a",@progbits
	.p2align	6, 0x0
	.amdhsa_kernel _ZN9rocsparseL35gebsr2csr_block_per_row_1_32_kernelILi256ELi2ELi16E21rocsparse_complex_numIdEEEv20rocsparse_direction_ii21rocsparse_index_base_PKT2_PKiS9_iiS4_PS5_PiSB_
		.amdhsa_group_segment_fixed_size 0
		.amdhsa_private_segment_fixed_size 0
		.amdhsa_kernarg_size 80
		.amdhsa_user_sgpr_count 6
		.amdhsa_user_sgpr_private_segment_buffer 1
		.amdhsa_user_sgpr_dispatch_ptr 0
		.amdhsa_user_sgpr_queue_ptr 0
		.amdhsa_user_sgpr_kernarg_segment_ptr 1
		.amdhsa_user_sgpr_dispatch_id 0
		.amdhsa_user_sgpr_flat_scratch_init 0
		.amdhsa_user_sgpr_kernarg_preload_length 0
		.amdhsa_user_sgpr_kernarg_preload_offset 0
		.amdhsa_user_sgpr_private_segment_size 0
		.amdhsa_uses_dynamic_stack 0
		.amdhsa_system_sgpr_private_segment_wavefront_offset 0
		.amdhsa_system_sgpr_workgroup_id_x 1
		.amdhsa_system_sgpr_workgroup_id_y 0
		.amdhsa_system_sgpr_workgroup_id_z 0
		.amdhsa_system_sgpr_workgroup_info 0
		.amdhsa_system_vgpr_workitem_id 0
		.amdhsa_next_free_vgpr 22
		.amdhsa_next_free_sgpr 19
		.amdhsa_accum_offset 24
		.amdhsa_reserve_vcc 1
		.amdhsa_reserve_flat_scratch 0
		.amdhsa_float_round_mode_32 0
		.amdhsa_float_round_mode_16_64 0
		.amdhsa_float_denorm_mode_32 3
		.amdhsa_float_denorm_mode_16_64 3
		.amdhsa_dx10_clamp 1
		.amdhsa_ieee_mode 1
		.amdhsa_fp16_overflow 0
		.amdhsa_tg_split 0
		.amdhsa_exception_fp_ieee_invalid_op 0
		.amdhsa_exception_fp_denorm_src 0
		.amdhsa_exception_fp_ieee_div_zero 0
		.amdhsa_exception_fp_ieee_overflow 0
		.amdhsa_exception_fp_ieee_underflow 0
		.amdhsa_exception_fp_ieee_inexact 0
		.amdhsa_exception_int_div_zero 0
	.end_amdhsa_kernel
	.section	.text._ZN9rocsparseL35gebsr2csr_block_per_row_1_32_kernelILi256ELi2ELi16E21rocsparse_complex_numIdEEEv20rocsparse_direction_ii21rocsparse_index_base_PKT2_PKiS9_iiS4_PS5_PiSB_,"axG",@progbits,_ZN9rocsparseL35gebsr2csr_block_per_row_1_32_kernelILi256ELi2ELi16E21rocsparse_complex_numIdEEEv20rocsparse_direction_ii21rocsparse_index_base_PKT2_PKiS9_iiS4_PS5_PiSB_,comdat
.Lfunc_end150:
	.size	_ZN9rocsparseL35gebsr2csr_block_per_row_1_32_kernelILi256ELi2ELi16E21rocsparse_complex_numIdEEEv20rocsparse_direction_ii21rocsparse_index_base_PKT2_PKiS9_iiS4_PS5_PiSB_, .Lfunc_end150-_ZN9rocsparseL35gebsr2csr_block_per_row_1_32_kernelILi256ELi2ELi16E21rocsparse_complex_numIdEEEv20rocsparse_direction_ii21rocsparse_index_base_PKT2_PKiS9_iiS4_PS5_PiSB_
                                        ; -- End function
	.section	.AMDGPU.csdata,"",@progbits
; Kernel info:
; codeLenInByte = 564
; NumSgprs: 23
; NumVgprs: 22
; NumAgprs: 0
; TotalNumVgprs: 22
; ScratchSize: 0
; MemoryBound: 0
; FloatMode: 240
; IeeeMode: 1
; LDSByteSize: 0 bytes/workgroup (compile time only)
; SGPRBlocks: 2
; VGPRBlocks: 2
; NumSGPRsForWavesPerEU: 23
; NumVGPRsForWavesPerEU: 22
; AccumOffset: 24
; Occupancy: 8
; WaveLimiterHint : 0
; COMPUTE_PGM_RSRC2:SCRATCH_EN: 0
; COMPUTE_PGM_RSRC2:USER_SGPR: 6
; COMPUTE_PGM_RSRC2:TRAP_HANDLER: 0
; COMPUTE_PGM_RSRC2:TGID_X_EN: 1
; COMPUTE_PGM_RSRC2:TGID_Y_EN: 0
; COMPUTE_PGM_RSRC2:TGID_Z_EN: 0
; COMPUTE_PGM_RSRC2:TIDIG_COMP_CNT: 0
; COMPUTE_PGM_RSRC3_GFX90A:ACCUM_OFFSET: 5
; COMPUTE_PGM_RSRC3_GFX90A:TG_SPLIT: 0
	.section	.text._ZN9rocsparseL35gebsr2csr_block_per_row_1_32_kernelILi256ELi2ELi32E21rocsparse_complex_numIdEEEv20rocsparse_direction_ii21rocsparse_index_base_PKT2_PKiS9_iiS4_PS5_PiSB_,"axG",@progbits,_ZN9rocsparseL35gebsr2csr_block_per_row_1_32_kernelILi256ELi2ELi32E21rocsparse_complex_numIdEEEv20rocsparse_direction_ii21rocsparse_index_base_PKT2_PKiS9_iiS4_PS5_PiSB_,comdat
	.globl	_ZN9rocsparseL35gebsr2csr_block_per_row_1_32_kernelILi256ELi2ELi32E21rocsparse_complex_numIdEEEv20rocsparse_direction_ii21rocsparse_index_base_PKT2_PKiS9_iiS4_PS5_PiSB_ ; -- Begin function _ZN9rocsparseL35gebsr2csr_block_per_row_1_32_kernelILi256ELi2ELi32E21rocsparse_complex_numIdEEEv20rocsparse_direction_ii21rocsparse_index_base_PKT2_PKiS9_iiS4_PS5_PiSB_
	.p2align	8
	.type	_ZN9rocsparseL35gebsr2csr_block_per_row_1_32_kernelILi256ELi2ELi32E21rocsparse_complex_numIdEEEv20rocsparse_direction_ii21rocsparse_index_base_PKT2_PKiS9_iiS4_PS5_PiSB_,@function
_ZN9rocsparseL35gebsr2csr_block_per_row_1_32_kernelILi256ELi2ELi32E21rocsparse_complex_numIdEEEv20rocsparse_direction_ii21rocsparse_index_base_PKT2_PKiS9_iiS4_PS5_PiSB_: ; @_ZN9rocsparseL35gebsr2csr_block_per_row_1_32_kernelILi256ELi2ELi32E21rocsparse_complex_numIdEEEv20rocsparse_direction_ii21rocsparse_index_base_PKT2_PKiS9_iiS4_PS5_PiSB_
; %bb.0:
	s_load_dwordx2 s[0:1], s[4:5], 0x18
	s_load_dwordx4 s[8:11], s[4:5], 0x28
	s_load_dwordx2 s[2:3], s[4:5], 0x40
	s_ashr_i32 s7, s6, 31
	s_lshl_b64 s[12:13], s[6:7], 2
	s_waitcnt lgkmcnt(0)
	s_add_u32 s12, s0, s12
	v_or_b32_e32 v1, s6, v0
	s_addc_u32 s13, s1, s13
	v_cmp_eq_u32_e32 vcc, 0, v1
	s_and_saveexec_b64 s[0:1], vcc
	s_cbranch_execz .LBB151_2
; %bb.1:
	v_mov_b32_e32 v1, 0
	v_mov_b32_e32 v2, s10
	global_store_dword v1, v2, s[2:3]
.LBB151_2:
	s_or_b64 exec, exec, s[0:1]
	v_and_b32_e32 v6, 31, v0
	v_bfe_u32 v8, v0, 5, 1
	v_cmp_gt_i32_e32 vcc, s8, v8
	v_cmp_gt_i32_e64 s[0:1], s9, v6
	s_and_b64 s[0:1], vcc, s[0:1]
	s_and_saveexec_b64 s[14:15], s[0:1]
	s_cbranch_execz .LBB151_6
; %bb.3:
	s_load_dwordx2 s[14:15], s[12:13], 0x0
	s_load_dword s11, s[4:5], 0xc
	s_mul_i32 s6, s6, s8
	v_add_u32_e32 v2, s6, v8
	s_mul_i32 s1, s9, s8
	v_ashrrev_i32_e32 v3, 31, v2
	s_waitcnt lgkmcnt(0)
	s_sub_i32 s0, s14, s11
	s_sub_i32 s14, s15, s11
	;; [unrolled: 1-line block ×3, first 2 shown]
	s_mul_i32 s12, s15, s9
	v_lshrrev_b32_e32 v1, 6, v0
	s_mul_i32 s7, s0, s1
	v_mul_lo_u32 v0, s12, v8
	s_add_i32 s12, s12, s10
	v_lshlrev_b64 v[2:3], 2, v[2:3]
	s_add_i32 s12, s12, s7
	v_mov_b32_e32 v4, s3
	v_add_co_u32_e32 v2, vcc, s2, v2
	v_add_u32_e32 v0, s12, v0
	v_addc_co_u32_e32 v3, vcc, v4, v3, vcc
	global_store_dword v[2:3], v0, off offset:4
	v_add_u32_e32 v0, s0, v1
	v_cmp_gt_i32_e32 vcc, s14, v0
	s_and_b64 exec, exec, vcc
	s_cbranch_execz .LBB151_6
; %bb.4:
	s_load_dwordx2 s[16:17], s[4:5], 0x20
	s_load_dwordx2 s[2:3], s[4:5], 0x38
	s_load_dword s18, s[4:5], 0x0
	s_load_dwordx2 s[6:7], s[4:5], 0x10
	s_load_dwordx2 s[12:13], s[4:5], 0x48
	v_mad_u64_u32 v[4:5], s[4:5], v6, s8, v[8:9]
	s_waitcnt lgkmcnt(0)
	s_cmp_eq_u32 s18, 0
	v_mad_u64_u32 v[10:11], s[4:5], v8, s9, v[6:7]
	s_cselect_b64 vcc, -1, 0
	s_mul_i32 s0, s8, s0
	v_mul_lo_u32 v3, s15, v8
	v_cndmask_b32_e32 v4, v4, v10, vcc
	v_add3_u32 v1, v1, s0, v3
	v_add_u32_e32 v2, s10, v6
	v_mad_u64_u32 v[4:5], s[4:5], s1, v0, v[4:5]
	s_lshl_b32 s10, s1, 2
	v_mad_u64_u32 v[6:7], s[0:1], s9, v1, v[6:7]
	v_ashrrev_i32_e32 v1, 31, v0
	v_lshlrev_b64 v[8:9], 2, v[0:1]
	v_mov_b32_e32 v1, s17
	v_add_co_u32_e32 v8, vcc, s16, v8
	s_lshl_b32 s8, s9, 2
	v_addc_co_u32_e32 v9, vcc, v1, v9, vcc
	s_mov_b64 s[4:5], 0
	v_mov_b32_e32 v1, s13
	v_mov_b32_e32 v3, s3
	;; [unrolled: 1-line block ×3, first 2 shown]
.LBB151_5:                              ; =>This Inner Loop Header: Depth=1
	v_ashrrev_i32_e32 v5, 31, v4
	global_load_dword v11, v[8:9], off
	v_lshlrev_b64 v[12:13], 4, v[4:5]
	v_add_co_u32_e32 v12, vcc, s6, v12
	v_addc_co_u32_e32 v13, vcc, v10, v13, vcc
	global_load_dwordx4 v[12:15], v[12:13], off
	v_ashrrev_i32_e32 v7, 31, v6
	v_lshlrev_b64 v[16:17], 2, v[6:7]
	v_add_co_u32_e32 v8, vcc, 16, v8
	v_add_co_u32_e64 v16, s[0:1], s12, v16
	v_add_u32_e32 v0, 4, v0
	v_addc_co_u32_e32 v9, vcc, 0, v9, vcc
	v_lshlrev_b64 v[18:19], 4, v[6:7]
	v_addc_co_u32_e64 v17, s[0:1], v1, v17, s[0:1]
	v_cmp_le_i32_e32 vcc, s14, v0
	v_add_co_u32_e64 v18, s[0:1], s2, v18
	v_add_u32_e32 v4, s10, v4
	v_add_u32_e32 v6, s8, v6
	v_addc_co_u32_e64 v19, s[0:1], v3, v19, s[0:1]
	s_or_b64 s[4:5], vcc, s[4:5]
	s_waitcnt vmcnt(1)
	v_subrev_u32_e32 v5, s11, v11
	v_mad_u64_u32 v[20:21], s[0:1], v5, s9, v[2:3]
	global_store_dword v[16:17], v20, off
	s_waitcnt vmcnt(1)
	global_store_dwordx4 v[18:19], v[12:15], off
	s_andn2_b64 exec, exec, s[4:5]
	s_cbranch_execnz .LBB151_5
.LBB151_6:
	s_endpgm
	.section	.rodata,"a",@progbits
	.p2align	6, 0x0
	.amdhsa_kernel _ZN9rocsparseL35gebsr2csr_block_per_row_1_32_kernelILi256ELi2ELi32E21rocsparse_complex_numIdEEEv20rocsparse_direction_ii21rocsparse_index_base_PKT2_PKiS9_iiS4_PS5_PiSB_
		.amdhsa_group_segment_fixed_size 0
		.amdhsa_private_segment_fixed_size 0
		.amdhsa_kernarg_size 80
		.amdhsa_user_sgpr_count 6
		.amdhsa_user_sgpr_private_segment_buffer 1
		.amdhsa_user_sgpr_dispatch_ptr 0
		.amdhsa_user_sgpr_queue_ptr 0
		.amdhsa_user_sgpr_kernarg_segment_ptr 1
		.amdhsa_user_sgpr_dispatch_id 0
		.amdhsa_user_sgpr_flat_scratch_init 0
		.amdhsa_user_sgpr_kernarg_preload_length 0
		.amdhsa_user_sgpr_kernarg_preload_offset 0
		.amdhsa_user_sgpr_private_segment_size 0
		.amdhsa_uses_dynamic_stack 0
		.amdhsa_system_sgpr_private_segment_wavefront_offset 0
		.amdhsa_system_sgpr_workgroup_id_x 1
		.amdhsa_system_sgpr_workgroup_id_y 0
		.amdhsa_system_sgpr_workgroup_id_z 0
		.amdhsa_system_sgpr_workgroup_info 0
		.amdhsa_system_vgpr_workitem_id 0
		.amdhsa_next_free_vgpr 22
		.amdhsa_next_free_sgpr 19
		.amdhsa_accum_offset 24
		.amdhsa_reserve_vcc 1
		.amdhsa_reserve_flat_scratch 0
		.amdhsa_float_round_mode_32 0
		.amdhsa_float_round_mode_16_64 0
		.amdhsa_float_denorm_mode_32 3
		.amdhsa_float_denorm_mode_16_64 3
		.amdhsa_dx10_clamp 1
		.amdhsa_ieee_mode 1
		.amdhsa_fp16_overflow 0
		.amdhsa_tg_split 0
		.amdhsa_exception_fp_ieee_invalid_op 0
		.amdhsa_exception_fp_denorm_src 0
		.amdhsa_exception_fp_ieee_div_zero 0
		.amdhsa_exception_fp_ieee_overflow 0
		.amdhsa_exception_fp_ieee_underflow 0
		.amdhsa_exception_fp_ieee_inexact 0
		.amdhsa_exception_int_div_zero 0
	.end_amdhsa_kernel
	.section	.text._ZN9rocsparseL35gebsr2csr_block_per_row_1_32_kernelILi256ELi2ELi32E21rocsparse_complex_numIdEEEv20rocsparse_direction_ii21rocsparse_index_base_PKT2_PKiS9_iiS4_PS5_PiSB_,"axG",@progbits,_ZN9rocsparseL35gebsr2csr_block_per_row_1_32_kernelILi256ELi2ELi32E21rocsparse_complex_numIdEEEv20rocsparse_direction_ii21rocsparse_index_base_PKT2_PKiS9_iiS4_PS5_PiSB_,comdat
.Lfunc_end151:
	.size	_ZN9rocsparseL35gebsr2csr_block_per_row_1_32_kernelILi256ELi2ELi32E21rocsparse_complex_numIdEEEv20rocsparse_direction_ii21rocsparse_index_base_PKT2_PKiS9_iiS4_PS5_PiSB_, .Lfunc_end151-_ZN9rocsparseL35gebsr2csr_block_per_row_1_32_kernelILi256ELi2ELi32E21rocsparse_complex_numIdEEEv20rocsparse_direction_ii21rocsparse_index_base_PKT2_PKiS9_iiS4_PS5_PiSB_
                                        ; -- End function
	.section	.AMDGPU.csdata,"",@progbits
; Kernel info:
; codeLenInByte = 564
; NumSgprs: 23
; NumVgprs: 22
; NumAgprs: 0
; TotalNumVgprs: 22
; ScratchSize: 0
; MemoryBound: 0
; FloatMode: 240
; IeeeMode: 1
; LDSByteSize: 0 bytes/workgroup (compile time only)
; SGPRBlocks: 2
; VGPRBlocks: 2
; NumSGPRsForWavesPerEU: 23
; NumVGPRsForWavesPerEU: 22
; AccumOffset: 24
; Occupancy: 8
; WaveLimiterHint : 0
; COMPUTE_PGM_RSRC2:SCRATCH_EN: 0
; COMPUTE_PGM_RSRC2:USER_SGPR: 6
; COMPUTE_PGM_RSRC2:TRAP_HANDLER: 0
; COMPUTE_PGM_RSRC2:TGID_X_EN: 1
; COMPUTE_PGM_RSRC2:TGID_Y_EN: 0
; COMPUTE_PGM_RSRC2:TGID_Z_EN: 0
; COMPUTE_PGM_RSRC2:TIDIG_COMP_CNT: 0
; COMPUTE_PGM_RSRC3_GFX90A:ACCUM_OFFSET: 5
; COMPUTE_PGM_RSRC3_GFX90A:TG_SPLIT: 0
	.section	.text._ZN9rocsparseL37gebsr2csr_block_per_row_33_128_kernelILi256ELi2ELi64ELi2ELi32E21rocsparse_complex_numIdEEEv20rocsparse_direction_ii21rocsparse_index_base_PKT4_PKiS9_iiS4_PS5_PiSB_,"axG",@progbits,_ZN9rocsparseL37gebsr2csr_block_per_row_33_128_kernelILi256ELi2ELi64ELi2ELi32E21rocsparse_complex_numIdEEEv20rocsparse_direction_ii21rocsparse_index_base_PKT4_PKiS9_iiS4_PS5_PiSB_,comdat
	.globl	_ZN9rocsparseL37gebsr2csr_block_per_row_33_128_kernelILi256ELi2ELi64ELi2ELi32E21rocsparse_complex_numIdEEEv20rocsparse_direction_ii21rocsparse_index_base_PKT4_PKiS9_iiS4_PS5_PiSB_ ; -- Begin function _ZN9rocsparseL37gebsr2csr_block_per_row_33_128_kernelILi256ELi2ELi64ELi2ELi32E21rocsparse_complex_numIdEEEv20rocsparse_direction_ii21rocsparse_index_base_PKT4_PKiS9_iiS4_PS5_PiSB_
	.p2align	8
	.type	_ZN9rocsparseL37gebsr2csr_block_per_row_33_128_kernelILi256ELi2ELi64ELi2ELi32E21rocsparse_complex_numIdEEEv20rocsparse_direction_ii21rocsparse_index_base_PKT4_PKiS9_iiS4_PS5_PiSB_,@function
_ZN9rocsparseL37gebsr2csr_block_per_row_33_128_kernelILi256ELi2ELi64ELi2ELi32E21rocsparse_complex_numIdEEEv20rocsparse_direction_ii21rocsparse_index_base_PKT4_PKiS9_iiS4_PS5_PiSB_: ; @_ZN9rocsparseL37gebsr2csr_block_per_row_33_128_kernelILi256ELi2ELi64ELi2ELi32E21rocsparse_complex_numIdEEEv20rocsparse_direction_ii21rocsparse_index_base_PKT4_PKiS9_iiS4_PS5_PiSB_
; %bb.0:
	s_load_dwordx2 s[0:1], s[4:5], 0x18
	s_load_dwordx4 s[8:11], s[4:5], 0x28
	s_load_dwordx2 s[2:3], s[4:5], 0x40
	s_ashr_i32 s7, s6, 31
	s_lshl_b64 s[12:13], s[6:7], 2
	s_waitcnt lgkmcnt(0)
	s_add_u32 s0, s0, s12
	s_addc_u32 s1, s1, s13
	s_load_dwordx2 s[14:15], s[0:1], 0x0
	v_or_b32_e32 v1, s6, v0
	v_cmp_eq_u32_e32 vcc, 0, v1
	s_and_saveexec_b64 s[0:1], vcc
	s_cbranch_execz .LBB152_2
; %bb.1:
	v_mov_b32_e32 v1, 0
	v_mov_b32_e32 v2, s10
	global_store_dword v1, v2, s[2:3]
.LBB152_2:
	s_or_b64 exec, exec, s[0:1]
	s_load_dword s11, s[4:5], 0xc
	v_lshrrev_b32_e32 v4, 5, v0
	v_cmp_gt_i32_e64 s[0:1], s8, v4
	s_mul_i32 s23, s9, s8
	s_waitcnt lgkmcnt(0)
	s_sub_i32 s12, s14, s11
	s_sub_i32 s22, s15, s11
	s_and_saveexec_b64 s[16:17], s[0:1]
	s_cbranch_execz .LBB152_4
; %bb.3:
	s_mul_i32 s6, s6, s8
	v_add_u32_e32 v2, s6, v4
	s_mul_i32 s7, s23, s12
	s_sub_i32 s13, s22, s12
	v_ashrrev_i32_e32 v3, 31, v2
	s_mul_i32 s13, s13, s9
	s_add_i32 s7, s7, s10
	v_lshlrev_b64 v[2:3], 2, v[2:3]
	v_mul_lo_u32 v1, s13, v4
	s_add_i32 s7, s7, s13
	v_mov_b32_e32 v5, s3
	v_add_co_u32_e32 v2, vcc, s2, v2
	v_add_u32_e32 v1, s7, v1
	v_addc_co_u32_e32 v3, vcc, v5, v3, vcc
	global_store_dword v[2:3], v1, off offset:4
.LBB152_4:
	s_or_b64 exec, exec, s[16:17]
	s_cmp_ge_i32 s14, s15
	s_cbranch_scc1 .LBB152_11
; %bb.5:
	s_load_dwordx2 s[18:19], s[4:5], 0x20
	s_load_dwordx2 s[6:7], s[4:5], 0x38
	;; [unrolled: 1-line block ×4, first 2 shown]
	s_load_dword s2, s[4:5], 0x0
	s_mul_i32 s13, s8, s12
	v_and_b32_e32 v0, 31, v0
	v_add_u32_e32 v1, s13, v4
	v_mad_u64_u32 v[2:3], s[4:5], s9, v1, v[0:1]
	s_mul_i32 s4, s9, s12
	s_sub_i32 s3, s22, s12
	v_add_u32_e32 v3, s4, v0
	v_mul_lo_u32 v6, s3, v4
	s_waitcnt lgkmcnt(0)
	s_cmp_eq_u32 s2, 0
	v_cmp_gt_i32_e64 s[2:3], s9, v0
	v_mad_u64_u32 v[8:9], s[4:5], s8, v3, v[4:5]
	v_or_b32_e32 v1, 32, v0
	s_cselect_b64 vcc, -1, 0
	s_and_b64 s[4:5], s[0:1], s[2:3]
	v_cmp_gt_i32_e64 s[2:3], s9, v1
	v_add_u32_e32 v3, 32, v3
	s_and_b64 s[2:3], s[0:1], s[2:3]
	v_mad_u64_u32 v[4:5], s[0:1], s8, v3, v[4:5]
	v_add_u32_e32 v3, s13, v6
	v_mad_u64_u32 v[6:7], s[0:1], s9, v3, v[0:1]
	s_ashr_i32 s13, s12, 31
	s_lshl_b64 s[0:1], s[12:13], 2
	s_add_u32 s18, s18, s0
	s_mov_b32 s24, 0
	s_addc_u32 s19, s19, s1
	v_cndmask_b32_e32 v3, v8, v2, vcc
	s_branch .LBB152_7
.LBB152_6:                              ;   in Loop: Header=BB152_7 Depth=1
	s_or_b64 exec, exec, s[20:21]
	s_add_i32 s12, s12, 1
	s_add_i32 s24, s24, s23
	s_add_u32 s18, s18, 4
	s_addc_u32 s19, s19, 0
	s_cmp_ge_i32 s12, s22
	v_add_u32_e32 v6, s9, v6
	s_cbranch_scc1 .LBB152_11
.LBB152_7:                              ; =>This Inner Loop Header: Depth=1
	s_load_dword s0, s[18:19], 0x0
	s_waitcnt lgkmcnt(0)
	s_sub_i32 s0, s0, s11
	s_mul_i32 s8, s0, s9
	s_add_i32 s8, s8, s10
	s_and_saveexec_b64 s[20:21], s[4:5]
	s_cbranch_execz .LBB152_9
; %bb.8:                                ;   in Loop: Header=BB152_7 Depth=1
	v_add_u32_e32 v8, s24, v3
	v_ashrrev_i32_e32 v9, 31, v8
	v_lshlrev_b64 v[8:9], 4, v[8:9]
	v_mov_b32_e32 v5, s17
	v_add_co_u32_e64 v8, s[0:1], s16, v8
	v_addc_co_u32_e64 v9, s[0:1], v5, v9, s[0:1]
	global_load_dwordx4 v[8:11], v[8:9], off
	v_ashrrev_i32_e32 v7, 31, v6
	v_lshlrev_b64 v[12:13], 2, v[6:7]
	v_mov_b32_e32 v14, s15
	v_add_co_u32_e64 v12, s[0:1], s14, v12
	v_add_u32_e32 v5, s8, v0
	v_addc_co_u32_e64 v13, s[0:1], v14, v13, s[0:1]
	global_store_dword v[12:13], v5, off
	v_lshlrev_b64 v[12:13], 4, v[6:7]
	v_mov_b32_e32 v5, s7
	v_add_co_u32_e64 v12, s[0:1], s6, v12
	v_addc_co_u32_e64 v13, s[0:1], v5, v13, s[0:1]
	s_waitcnt vmcnt(1)
	global_store_dwordx4 v[12:13], v[8:11], off
.LBB152_9:                              ;   in Loop: Header=BB152_7 Depth=1
	s_or_b64 exec, exec, s[20:21]
	s_and_saveexec_b64 s[20:21], s[2:3]
	s_cbranch_execz .LBB152_6
; %bb.10:                               ;   in Loop: Header=BB152_7 Depth=1
	v_add3_u32 v5, v2, s24, 32
	v_add_u32_e32 v7, s24, v4
	v_cndmask_b32_e32 v8, v7, v5, vcc
	v_ashrrev_i32_e32 v9, 31, v8
	v_lshlrev_b64 v[8:9], 4, v[8:9]
	v_mov_b32_e32 v5, s17
	v_add_co_u32_e64 v8, s[0:1], s16, v8
	v_addc_co_u32_e64 v9, s[0:1], v5, v9, s[0:1]
	global_load_dwordx4 v[8:11], v[8:9], off
	v_add_u32_e32 v12, 32, v6
	v_ashrrev_i32_e32 v13, 31, v12
	v_lshlrev_b64 v[14:15], 2, v[12:13]
	v_mov_b32_e32 v7, s15
	v_add_co_u32_e64 v14, s[0:1], s14, v14
	v_add_u32_e32 v5, s8, v1
	v_addc_co_u32_e64 v15, s[0:1], v7, v15, s[0:1]
	v_lshlrev_b64 v[12:13], 4, v[12:13]
	global_store_dword v[14:15], v5, off
	v_mov_b32_e32 v5, s7
	v_add_co_u32_e64 v12, s[0:1], s6, v12
	v_addc_co_u32_e64 v13, s[0:1], v5, v13, s[0:1]
	s_waitcnt vmcnt(1)
	global_store_dwordx4 v[12:13], v[8:11], off
	s_branch .LBB152_6
.LBB152_11:
	s_endpgm
	.section	.rodata,"a",@progbits
	.p2align	6, 0x0
	.amdhsa_kernel _ZN9rocsparseL37gebsr2csr_block_per_row_33_128_kernelILi256ELi2ELi64ELi2ELi32E21rocsparse_complex_numIdEEEv20rocsparse_direction_ii21rocsparse_index_base_PKT4_PKiS9_iiS4_PS5_PiSB_
		.amdhsa_group_segment_fixed_size 0
		.amdhsa_private_segment_fixed_size 0
		.amdhsa_kernarg_size 80
		.amdhsa_user_sgpr_count 6
		.amdhsa_user_sgpr_private_segment_buffer 1
		.amdhsa_user_sgpr_dispatch_ptr 0
		.amdhsa_user_sgpr_queue_ptr 0
		.amdhsa_user_sgpr_kernarg_segment_ptr 1
		.amdhsa_user_sgpr_dispatch_id 0
		.amdhsa_user_sgpr_flat_scratch_init 0
		.amdhsa_user_sgpr_kernarg_preload_length 0
		.amdhsa_user_sgpr_kernarg_preload_offset 0
		.amdhsa_user_sgpr_private_segment_size 0
		.amdhsa_uses_dynamic_stack 0
		.amdhsa_system_sgpr_private_segment_wavefront_offset 0
		.amdhsa_system_sgpr_workgroup_id_x 1
		.amdhsa_system_sgpr_workgroup_id_y 0
		.amdhsa_system_sgpr_workgroup_id_z 0
		.amdhsa_system_sgpr_workgroup_info 0
		.amdhsa_system_vgpr_workitem_id 0
		.amdhsa_next_free_vgpr 16
		.amdhsa_next_free_sgpr 25
		.amdhsa_accum_offset 16
		.amdhsa_reserve_vcc 1
		.amdhsa_reserve_flat_scratch 0
		.amdhsa_float_round_mode_32 0
		.amdhsa_float_round_mode_16_64 0
		.amdhsa_float_denorm_mode_32 3
		.amdhsa_float_denorm_mode_16_64 3
		.amdhsa_dx10_clamp 1
		.amdhsa_ieee_mode 1
		.amdhsa_fp16_overflow 0
		.amdhsa_tg_split 0
		.amdhsa_exception_fp_ieee_invalid_op 0
		.amdhsa_exception_fp_denorm_src 0
		.amdhsa_exception_fp_ieee_div_zero 0
		.amdhsa_exception_fp_ieee_overflow 0
		.amdhsa_exception_fp_ieee_underflow 0
		.amdhsa_exception_fp_ieee_inexact 0
		.amdhsa_exception_int_div_zero 0
	.end_amdhsa_kernel
	.section	.text._ZN9rocsparseL37gebsr2csr_block_per_row_33_128_kernelILi256ELi2ELi64ELi2ELi32E21rocsparse_complex_numIdEEEv20rocsparse_direction_ii21rocsparse_index_base_PKT4_PKiS9_iiS4_PS5_PiSB_,"axG",@progbits,_ZN9rocsparseL37gebsr2csr_block_per_row_33_128_kernelILi256ELi2ELi64ELi2ELi32E21rocsparse_complex_numIdEEEv20rocsparse_direction_ii21rocsparse_index_base_PKT4_PKiS9_iiS4_PS5_PiSB_,comdat
.Lfunc_end152:
	.size	_ZN9rocsparseL37gebsr2csr_block_per_row_33_128_kernelILi256ELi2ELi64ELi2ELi32E21rocsparse_complex_numIdEEEv20rocsparse_direction_ii21rocsparse_index_base_PKT4_PKiS9_iiS4_PS5_PiSB_, .Lfunc_end152-_ZN9rocsparseL37gebsr2csr_block_per_row_33_128_kernelILi256ELi2ELi64ELi2ELi32E21rocsparse_complex_numIdEEEv20rocsparse_direction_ii21rocsparse_index_base_PKT4_PKiS9_iiS4_PS5_PiSB_
                                        ; -- End function
	.section	.AMDGPU.csdata,"",@progbits
; Kernel info:
; codeLenInByte = 752
; NumSgprs: 29
; NumVgprs: 16
; NumAgprs: 0
; TotalNumVgprs: 16
; ScratchSize: 0
; MemoryBound: 0
; FloatMode: 240
; IeeeMode: 1
; LDSByteSize: 0 bytes/workgroup (compile time only)
; SGPRBlocks: 3
; VGPRBlocks: 1
; NumSGPRsForWavesPerEU: 29
; NumVGPRsForWavesPerEU: 16
; AccumOffset: 16
; Occupancy: 8
; WaveLimiterHint : 0
; COMPUTE_PGM_RSRC2:SCRATCH_EN: 0
; COMPUTE_PGM_RSRC2:USER_SGPR: 6
; COMPUTE_PGM_RSRC2:TRAP_HANDLER: 0
; COMPUTE_PGM_RSRC2:TGID_X_EN: 1
; COMPUTE_PGM_RSRC2:TGID_Y_EN: 0
; COMPUTE_PGM_RSRC2:TGID_Z_EN: 0
; COMPUTE_PGM_RSRC2:TIDIG_COMP_CNT: 0
; COMPUTE_PGM_RSRC3_GFX90A:ACCUM_OFFSET: 3
; COMPUTE_PGM_RSRC3_GFX90A:TG_SPLIT: 0
	.section	.text._ZN9rocsparseL37gebsr2csr_block_per_row_33_128_kernelILi256ELi2ELi128ELi2ELi32E21rocsparse_complex_numIdEEEv20rocsparse_direction_ii21rocsparse_index_base_PKT4_PKiS9_iiS4_PS5_PiSB_,"axG",@progbits,_ZN9rocsparseL37gebsr2csr_block_per_row_33_128_kernelILi256ELi2ELi128ELi2ELi32E21rocsparse_complex_numIdEEEv20rocsparse_direction_ii21rocsparse_index_base_PKT4_PKiS9_iiS4_PS5_PiSB_,comdat
	.globl	_ZN9rocsparseL37gebsr2csr_block_per_row_33_128_kernelILi256ELi2ELi128ELi2ELi32E21rocsparse_complex_numIdEEEv20rocsparse_direction_ii21rocsparse_index_base_PKT4_PKiS9_iiS4_PS5_PiSB_ ; -- Begin function _ZN9rocsparseL37gebsr2csr_block_per_row_33_128_kernelILi256ELi2ELi128ELi2ELi32E21rocsparse_complex_numIdEEEv20rocsparse_direction_ii21rocsparse_index_base_PKT4_PKiS9_iiS4_PS5_PiSB_
	.p2align	8
	.type	_ZN9rocsparseL37gebsr2csr_block_per_row_33_128_kernelILi256ELi2ELi128ELi2ELi32E21rocsparse_complex_numIdEEEv20rocsparse_direction_ii21rocsparse_index_base_PKT4_PKiS9_iiS4_PS5_PiSB_,@function
_ZN9rocsparseL37gebsr2csr_block_per_row_33_128_kernelILi256ELi2ELi128ELi2ELi32E21rocsparse_complex_numIdEEEv20rocsparse_direction_ii21rocsparse_index_base_PKT4_PKiS9_iiS4_PS5_PiSB_: ; @_ZN9rocsparseL37gebsr2csr_block_per_row_33_128_kernelILi256ELi2ELi128ELi2ELi32E21rocsparse_complex_numIdEEEv20rocsparse_direction_ii21rocsparse_index_base_PKT4_PKiS9_iiS4_PS5_PiSB_
; %bb.0:
	s_load_dwordx2 s[0:1], s[4:5], 0x18
	s_load_dwordx4 s[8:11], s[4:5], 0x28
	s_load_dwordx2 s[2:3], s[4:5], 0x40
	s_ashr_i32 s7, s6, 31
	s_lshl_b64 s[12:13], s[6:7], 2
	s_waitcnt lgkmcnt(0)
	s_add_u32 s0, s0, s12
	s_addc_u32 s1, s1, s13
	s_load_dwordx2 s[14:15], s[0:1], 0x0
	v_or_b32_e32 v1, s6, v0
	v_cmp_eq_u32_e32 vcc, 0, v1
	s_and_saveexec_b64 s[0:1], vcc
	s_cbranch_execz .LBB153_2
; %bb.1:
	v_mov_b32_e32 v1, 0
	v_mov_b32_e32 v2, s10
	global_store_dword v1, v2, s[2:3]
.LBB153_2:
	s_or_b64 exec, exec, s[0:1]
	s_load_dword s11, s[4:5], 0xc
	v_lshrrev_b32_e32 v1, 5, v0
	v_cmp_gt_i32_e64 s[0:1], s8, v1
	s_mul_i32 s27, s9, s8
	s_waitcnt lgkmcnt(0)
	s_sub_i32 s12, s14, s11
	s_sub_i32 s26, s15, s11
	s_and_saveexec_b64 s[16:17], s[0:1]
	s_cbranch_execz .LBB153_4
; %bb.3:
	s_mul_i32 s7, s27, s12
	s_sub_i32 s13, s26, s12
	s_mul_i32 s13, s13, s9
	s_add_i32 s7, s7, s10
	v_mul_lo_u32 v2, s13, v1
	s_add_i32 s7, s7, s13
	s_mul_i32 s6, s6, s8
	v_add_u32_e32 v4, s7, v2
	v_add_u32_e32 v2, s6, v1
	v_ashrrev_i32_e32 v3, 31, v2
	v_lshlrev_b64 v[2:3], 2, v[2:3]
	v_mov_b32_e32 v5, s3
	v_add_co_u32_e32 v2, vcc, s2, v2
	v_addc_co_u32_e32 v3, vcc, v5, v3, vcc
	global_store_dword v[2:3], v4, off offset:4
.LBB153_4:
	s_or_b64 exec, exec, s[16:17]
	s_cmp_ge_i32 s14, s15
	s_cbranch_scc1 .LBB153_15
; %bb.5:
	s_load_dwordx2 s[22:23], s[4:5], 0x20
	s_load_dwordx2 s[6:7], s[4:5], 0x38
	;; [unrolled: 1-line block ×3, first 2 shown]
	s_load_dword s2, s[4:5], 0x0
	s_load_dwordx2 s[16:17], s[4:5], 0x48
	v_and_b32_e32 v0, 31, v0
	s_sub_i32 s3, s26, s12
	v_mul_lo_u32 v10, s3, v1
	s_waitcnt lgkmcnt(0)
	s_cmp_eq_u32 s2, 0
	v_cmp_gt_i32_e64 s[2:3], s9, v0
	v_or_b32_e32 v2, 32, v0
	s_cselect_b64 vcc, -1, 0
	s_and_b64 s[4:5], s[0:1], s[2:3]
	v_cmp_gt_i32_e64 s[2:3], s9, v2
	v_or_b32_e32 v3, 64, v0
	s_and_b64 s[18:19], s[0:1], s[2:3]
	v_cmp_gt_i32_e64 s[2:3], s9, v3
	v_or_b32_e32 v4, 0x60, v0
	s_and_b64 s[20:21], s[0:1], s[2:3]
	v_cmp_gt_i32_e64 s[2:3], s9, v4
	s_and_b64 s[2:3], s[0:1], s[2:3]
	s_mul_i32 s0, s8, s12
	s_mul_i32 s1, s9, s12
	s_ashr_i32 s13, s12, 31
	v_add_u32_e32 v5, s0, v1
	v_add_u32_e32 v9, s1, v0
	v_add_u32_e32 v10, s0, v10
	s_lshl_b64 s[0:1], s[12:13], 2
	v_add_u32_e32 v6, 0x60, v9
	v_add_u32_e32 v7, 64, v9
	;; [unrolled: 1-line block ×3, first 2 shown]
	s_add_u32 s22, s22, s0
	s_movk_i32 s28, 0x60
	v_mul_lo_u32 v5, s9, v5
	v_mul_lo_u32 v6, s8, v6
	;; [unrolled: 1-line block ×6, first 2 shown]
	s_addc_u32 s23, s23, s1
	s_branch .LBB153_7
.LBB153_6:                              ;   in Loop: Header=BB153_7 Depth=1
	s_or_b64 exec, exec, s[24:25]
	s_add_i32 s12, s12, 1
	s_add_u32 s22, s22, 4
	s_addc_u32 s23, s23, 0
	v_add_u32_e32 v5, s27, v5
	v_add_u32_e32 v1, s27, v1
	s_cmp_ge_i32 s12, s26
	v_add_u32_e32 v10, s9, v10
	s_cbranch_scc1 .LBB153_15
.LBB153_7:                              ; =>This Inner Loop Header: Depth=1
	s_load_dword s0, s[22:23], 0x0
	s_waitcnt lgkmcnt(0)
	s_sub_i32 s0, s0, s11
	s_mul_i32 s8, s0, s9
	s_add_i32 s8, s8, s10
	s_and_saveexec_b64 s[24:25], s[4:5]
	s_cbranch_execnz .LBB153_11
; %bb.8:                                ;   in Loop: Header=BB153_7 Depth=1
	s_or_b64 exec, exec, s[24:25]
	s_and_saveexec_b64 s[24:25], s[18:19]
	s_cbranch_execnz .LBB153_12
.LBB153_9:                              ;   in Loop: Header=BB153_7 Depth=1
	s_or_b64 exec, exec, s[24:25]
	s_and_saveexec_b64 s[24:25], s[20:21]
	s_cbranch_execnz .LBB153_13
.LBB153_10:                             ;   in Loop: Header=BB153_7 Depth=1
	s_or_b64 exec, exec, s[24:25]
	s_and_saveexec_b64 s[24:25], s[2:3]
	s_cbranch_execz .LBB153_6
	s_branch .LBB153_14
.LBB153_11:                             ;   in Loop: Header=BB153_7 Depth=1
	v_add_u32_e32 v11, v0, v5
	v_add_u32_e32 v12, v9, v1
	v_cndmask_b32_e32 v12, v12, v11, vcc
	v_ashrrev_i32_e32 v13, 31, v12
	v_lshlrev_b64 v[12:13], 4, v[12:13]
	v_mov_b32_e32 v11, s15
	v_add_co_u32_e64 v12, s[0:1], s14, v12
	v_addc_co_u32_e64 v13, s[0:1], v11, v13, s[0:1]
	global_load_dwordx4 v[12:15], v[12:13], off
	v_add_u32_e32 v16, v0, v10
	v_ashrrev_i32_e32 v17, 31, v16
	v_lshlrev_b64 v[18:19], 2, v[16:17]
	v_mov_b32_e32 v20, s17
	v_add_co_u32_e64 v18, s[0:1], s16, v18
	v_add_u32_e32 v11, s8, v0
	v_addc_co_u32_e64 v19, s[0:1], v20, v19, s[0:1]
	v_lshlrev_b64 v[16:17], 4, v[16:17]
	global_store_dword v[18:19], v11, off
	v_mov_b32_e32 v11, s7
	v_add_co_u32_e64 v16, s[0:1], s6, v16
	v_addc_co_u32_e64 v17, s[0:1], v11, v17, s[0:1]
	s_waitcnt vmcnt(1)
	global_store_dwordx4 v[16:17], v[12:15], off
	s_or_b64 exec, exec, s[24:25]
	s_and_saveexec_b64 s[24:25], s[18:19]
	s_cbranch_execz .LBB153_9
.LBB153_12:                             ;   in Loop: Header=BB153_7 Depth=1
	v_add3_u32 v11, v0, v5, 32
	v_add_u32_e32 v12, v8, v1
	v_cndmask_b32_e32 v12, v12, v11, vcc
	v_ashrrev_i32_e32 v13, 31, v12
	v_lshlrev_b64 v[12:13], 4, v[12:13]
	v_mov_b32_e32 v11, s15
	v_add_co_u32_e64 v12, s[0:1], s14, v12
	v_addc_co_u32_e64 v13, s[0:1], v11, v13, s[0:1]
	global_load_dwordx4 v[12:15], v[12:13], off
	v_add3_u32 v16, v0, v10, 32
	v_ashrrev_i32_e32 v17, 31, v16
	v_lshlrev_b64 v[18:19], 2, v[16:17]
	v_mov_b32_e32 v20, s17
	v_add_co_u32_e64 v18, s[0:1], s16, v18
	v_add_u32_e32 v11, s8, v2
	v_addc_co_u32_e64 v19, s[0:1], v20, v19, s[0:1]
	v_lshlrev_b64 v[16:17], 4, v[16:17]
	global_store_dword v[18:19], v11, off
	v_mov_b32_e32 v11, s7
	v_add_co_u32_e64 v16, s[0:1], s6, v16
	v_addc_co_u32_e64 v17, s[0:1], v11, v17, s[0:1]
	s_waitcnt vmcnt(1)
	global_store_dwordx4 v[16:17], v[12:15], off
	s_or_b64 exec, exec, s[24:25]
	s_and_saveexec_b64 s[24:25], s[20:21]
	s_cbranch_execz .LBB153_10
.LBB153_13:                             ;   in Loop: Header=BB153_7 Depth=1
	v_add3_u32 v11, v0, v5, 64
	v_add_u32_e32 v12, v7, v1
	v_cndmask_b32_e32 v12, v12, v11, vcc
	v_ashrrev_i32_e32 v13, 31, v12
	v_lshlrev_b64 v[12:13], 4, v[12:13]
	v_mov_b32_e32 v11, s15
	v_add_co_u32_e64 v12, s[0:1], s14, v12
	v_addc_co_u32_e64 v13, s[0:1], v11, v13, s[0:1]
	global_load_dwordx4 v[12:15], v[12:13], off
	v_add3_u32 v16, v0, v10, 64
	v_ashrrev_i32_e32 v17, 31, v16
	v_lshlrev_b64 v[18:19], 2, v[16:17]
	v_mov_b32_e32 v20, s17
	v_add_co_u32_e64 v18, s[0:1], s16, v18
	v_add_u32_e32 v11, s8, v3
	v_addc_co_u32_e64 v19, s[0:1], v20, v19, s[0:1]
	v_lshlrev_b64 v[16:17], 4, v[16:17]
	global_store_dword v[18:19], v11, off
	v_mov_b32_e32 v11, s7
	v_add_co_u32_e64 v16, s[0:1], s6, v16
	v_addc_co_u32_e64 v17, s[0:1], v11, v17, s[0:1]
	s_waitcnt vmcnt(1)
	global_store_dwordx4 v[16:17], v[12:15], off
	s_or_b64 exec, exec, s[24:25]
	s_and_saveexec_b64 s[24:25], s[2:3]
	s_cbranch_execz .LBB153_6
.LBB153_14:                             ;   in Loop: Header=BB153_7 Depth=1
	v_add3_u32 v11, v0, v5, s28
	v_add_u32_e32 v12, v6, v1
	v_cndmask_b32_e32 v12, v12, v11, vcc
	v_ashrrev_i32_e32 v13, 31, v12
	v_lshlrev_b64 v[12:13], 4, v[12:13]
	v_mov_b32_e32 v11, s15
	v_add_co_u32_e64 v12, s[0:1], s14, v12
	v_addc_co_u32_e64 v13, s[0:1], v11, v13, s[0:1]
	global_load_dwordx4 v[12:15], v[12:13], off
	v_add3_u32 v16, v0, v10, s28
	v_ashrrev_i32_e32 v17, 31, v16
	v_lshlrev_b64 v[18:19], 2, v[16:17]
	v_mov_b32_e32 v20, s17
	v_add_co_u32_e64 v18, s[0:1], s16, v18
	v_add_u32_e32 v11, s8, v4
	v_addc_co_u32_e64 v19, s[0:1], v20, v19, s[0:1]
	v_lshlrev_b64 v[16:17], 4, v[16:17]
	global_store_dword v[18:19], v11, off
	v_mov_b32_e32 v11, s7
	v_add_co_u32_e64 v16, s[0:1], s6, v16
	v_addc_co_u32_e64 v17, s[0:1], v11, v17, s[0:1]
	s_waitcnt vmcnt(1)
	global_store_dwordx4 v[16:17], v[12:15], off
	s_branch .LBB153_6
.LBB153_15:
	s_endpgm
	.section	.rodata,"a",@progbits
	.p2align	6, 0x0
	.amdhsa_kernel _ZN9rocsparseL37gebsr2csr_block_per_row_33_128_kernelILi256ELi2ELi128ELi2ELi32E21rocsparse_complex_numIdEEEv20rocsparse_direction_ii21rocsparse_index_base_PKT4_PKiS9_iiS4_PS5_PiSB_
		.amdhsa_group_segment_fixed_size 0
		.amdhsa_private_segment_fixed_size 0
		.amdhsa_kernarg_size 80
		.amdhsa_user_sgpr_count 6
		.amdhsa_user_sgpr_private_segment_buffer 1
		.amdhsa_user_sgpr_dispatch_ptr 0
		.amdhsa_user_sgpr_queue_ptr 0
		.amdhsa_user_sgpr_kernarg_segment_ptr 1
		.amdhsa_user_sgpr_dispatch_id 0
		.amdhsa_user_sgpr_flat_scratch_init 0
		.amdhsa_user_sgpr_kernarg_preload_length 0
		.amdhsa_user_sgpr_kernarg_preload_offset 0
		.amdhsa_user_sgpr_private_segment_size 0
		.amdhsa_uses_dynamic_stack 0
		.amdhsa_system_sgpr_private_segment_wavefront_offset 0
		.amdhsa_system_sgpr_workgroup_id_x 1
		.amdhsa_system_sgpr_workgroup_id_y 0
		.amdhsa_system_sgpr_workgroup_id_z 0
		.amdhsa_system_sgpr_workgroup_info 0
		.amdhsa_system_vgpr_workitem_id 0
		.amdhsa_next_free_vgpr 21
		.amdhsa_next_free_sgpr 29
		.amdhsa_accum_offset 24
		.amdhsa_reserve_vcc 1
		.amdhsa_reserve_flat_scratch 0
		.amdhsa_float_round_mode_32 0
		.amdhsa_float_round_mode_16_64 0
		.amdhsa_float_denorm_mode_32 3
		.amdhsa_float_denorm_mode_16_64 3
		.amdhsa_dx10_clamp 1
		.amdhsa_ieee_mode 1
		.amdhsa_fp16_overflow 0
		.amdhsa_tg_split 0
		.amdhsa_exception_fp_ieee_invalid_op 0
		.amdhsa_exception_fp_denorm_src 0
		.amdhsa_exception_fp_ieee_div_zero 0
		.amdhsa_exception_fp_ieee_overflow 0
		.amdhsa_exception_fp_ieee_underflow 0
		.amdhsa_exception_fp_ieee_inexact 0
		.amdhsa_exception_int_div_zero 0
	.end_amdhsa_kernel
	.section	.text._ZN9rocsparseL37gebsr2csr_block_per_row_33_128_kernelILi256ELi2ELi128ELi2ELi32E21rocsparse_complex_numIdEEEv20rocsparse_direction_ii21rocsparse_index_base_PKT4_PKiS9_iiS4_PS5_PiSB_,"axG",@progbits,_ZN9rocsparseL37gebsr2csr_block_per_row_33_128_kernelILi256ELi2ELi128ELi2ELi32E21rocsparse_complex_numIdEEEv20rocsparse_direction_ii21rocsparse_index_base_PKT4_PKiS9_iiS4_PS5_PiSB_,comdat
.Lfunc_end153:
	.size	_ZN9rocsparseL37gebsr2csr_block_per_row_33_128_kernelILi256ELi2ELi128ELi2ELi32E21rocsparse_complex_numIdEEEv20rocsparse_direction_ii21rocsparse_index_base_PKT4_PKiS9_iiS4_PS5_PiSB_, .Lfunc_end153-_ZN9rocsparseL37gebsr2csr_block_per_row_33_128_kernelILi256ELi2ELi128ELi2ELi32E21rocsparse_complex_numIdEEEv20rocsparse_direction_ii21rocsparse_index_base_PKT4_PKiS9_iiS4_PS5_PiSB_
                                        ; -- End function
	.section	.AMDGPU.csdata,"",@progbits
; Kernel info:
; codeLenInByte = 1192
; NumSgprs: 33
; NumVgprs: 21
; NumAgprs: 0
; TotalNumVgprs: 21
; ScratchSize: 0
; MemoryBound: 0
; FloatMode: 240
; IeeeMode: 1
; LDSByteSize: 0 bytes/workgroup (compile time only)
; SGPRBlocks: 4
; VGPRBlocks: 2
; NumSGPRsForWavesPerEU: 33
; NumVGPRsForWavesPerEU: 21
; AccumOffset: 24
; Occupancy: 8
; WaveLimiterHint : 0
; COMPUTE_PGM_RSRC2:SCRATCH_EN: 0
; COMPUTE_PGM_RSRC2:USER_SGPR: 6
; COMPUTE_PGM_RSRC2:TRAP_HANDLER: 0
; COMPUTE_PGM_RSRC2:TGID_X_EN: 1
; COMPUTE_PGM_RSRC2:TGID_Y_EN: 0
; COMPUTE_PGM_RSRC2:TGID_Z_EN: 0
; COMPUTE_PGM_RSRC2:TIDIG_COMP_CNT: 0
; COMPUTE_PGM_RSRC3_GFX90A:ACCUM_OFFSET: 5
; COMPUTE_PGM_RSRC3_GFX90A:TG_SPLIT: 0
	.section	.text._ZN9rocsparseL35gebsr2csr_block_per_row_1_32_kernelILi256ELi4ELi2E21rocsparse_complex_numIdEEEv20rocsparse_direction_ii21rocsparse_index_base_PKT2_PKiS9_iiS4_PS5_PiSB_,"axG",@progbits,_ZN9rocsparseL35gebsr2csr_block_per_row_1_32_kernelILi256ELi4ELi2E21rocsparse_complex_numIdEEEv20rocsparse_direction_ii21rocsparse_index_base_PKT2_PKiS9_iiS4_PS5_PiSB_,comdat
	.globl	_ZN9rocsparseL35gebsr2csr_block_per_row_1_32_kernelILi256ELi4ELi2E21rocsparse_complex_numIdEEEv20rocsparse_direction_ii21rocsparse_index_base_PKT2_PKiS9_iiS4_PS5_PiSB_ ; -- Begin function _ZN9rocsparseL35gebsr2csr_block_per_row_1_32_kernelILi256ELi4ELi2E21rocsparse_complex_numIdEEEv20rocsparse_direction_ii21rocsparse_index_base_PKT2_PKiS9_iiS4_PS5_PiSB_
	.p2align	8
	.type	_ZN9rocsparseL35gebsr2csr_block_per_row_1_32_kernelILi256ELi4ELi2E21rocsparse_complex_numIdEEEv20rocsparse_direction_ii21rocsparse_index_base_PKT2_PKiS9_iiS4_PS5_PiSB_,@function
_ZN9rocsparseL35gebsr2csr_block_per_row_1_32_kernelILi256ELi4ELi2E21rocsparse_complex_numIdEEEv20rocsparse_direction_ii21rocsparse_index_base_PKT2_PKiS9_iiS4_PS5_PiSB_: ; @_ZN9rocsparseL35gebsr2csr_block_per_row_1_32_kernelILi256ELi4ELi2E21rocsparse_complex_numIdEEEv20rocsparse_direction_ii21rocsparse_index_base_PKT2_PKiS9_iiS4_PS5_PiSB_
; %bb.0:
	s_load_dwordx2 s[0:1], s[4:5], 0x18
	s_load_dwordx4 s[8:11], s[4:5], 0x28
	s_load_dwordx2 s[2:3], s[4:5], 0x40
	s_ashr_i32 s7, s6, 31
	s_lshl_b64 s[12:13], s[6:7], 2
	s_waitcnt lgkmcnt(0)
	s_add_u32 s12, s0, s12
	v_or_b32_e32 v1, s6, v0
	s_addc_u32 s13, s1, s13
	v_cmp_eq_u32_e32 vcc, 0, v1
	s_and_saveexec_b64 s[0:1], vcc
	s_cbranch_execz .LBB154_2
; %bb.1:
	v_mov_b32_e32 v1, 0
	v_mov_b32_e32 v2, s10
	global_store_dword v1, v2, s[2:3]
.LBB154_2:
	s_or_b64 exec, exec, s[0:1]
	v_and_b32_e32 v6, 1, v0
	v_bfe_u32 v8, v0, 1, 2
	v_cmp_gt_i32_e32 vcc, s8, v8
	v_cmp_gt_i32_e64 s[0:1], s9, v6
	s_and_b64 s[0:1], vcc, s[0:1]
	s_and_saveexec_b64 s[14:15], s[0:1]
	s_cbranch_execz .LBB154_6
; %bb.3:
	s_load_dwordx2 s[14:15], s[12:13], 0x0
	s_load_dword s11, s[4:5], 0xc
	s_mul_i32 s6, s6, s8
	v_add_u32_e32 v2, s6, v8
	s_mul_i32 s1, s9, s8
	v_ashrrev_i32_e32 v3, 31, v2
	s_waitcnt lgkmcnt(0)
	s_sub_i32 s0, s14, s11
	s_sub_i32 s14, s15, s11
	;; [unrolled: 1-line block ×3, first 2 shown]
	s_mul_i32 s12, s15, s9
	v_lshrrev_b32_e32 v1, 3, v0
	s_mul_i32 s7, s0, s1
	v_mul_lo_u32 v0, s12, v8
	s_add_i32 s12, s12, s10
	v_lshlrev_b64 v[2:3], 2, v[2:3]
	s_add_i32 s12, s12, s7
	v_mov_b32_e32 v4, s3
	v_add_co_u32_e32 v2, vcc, s2, v2
	v_add_u32_e32 v0, s12, v0
	v_addc_co_u32_e32 v3, vcc, v4, v3, vcc
	global_store_dword v[2:3], v0, off offset:4
	v_add_u32_e32 v0, s0, v1
	v_cmp_gt_i32_e32 vcc, s14, v0
	s_and_b64 exec, exec, vcc
	s_cbranch_execz .LBB154_6
; %bb.4:
	s_load_dwordx2 s[16:17], s[4:5], 0x20
	s_load_dwordx2 s[2:3], s[4:5], 0x38
	s_load_dword s18, s[4:5], 0x0
	s_load_dwordx2 s[6:7], s[4:5], 0x10
	s_load_dwordx2 s[12:13], s[4:5], 0x48
	v_mad_u64_u32 v[4:5], s[4:5], v6, s8, v[8:9]
	s_waitcnt lgkmcnt(0)
	s_cmp_eq_u32 s18, 0
	v_mad_u64_u32 v[10:11], s[4:5], v8, s9, v[6:7]
	s_cselect_b64 vcc, -1, 0
	s_mul_i32 s0, s8, s0
	v_mul_lo_u32 v3, s15, v8
	v_cndmask_b32_e32 v4, v4, v10, vcc
	v_add3_u32 v1, v1, s0, v3
	v_add_u32_e32 v2, s10, v6
	v_mad_u64_u32 v[4:5], s[4:5], s1, v0, v[4:5]
	s_lshl_b32 s10, s1, 5
	v_mad_u64_u32 v[6:7], s[0:1], s9, v1, v[6:7]
	v_ashrrev_i32_e32 v1, 31, v0
	v_lshlrev_b64 v[8:9], 2, v[0:1]
	v_mov_b32_e32 v1, s17
	v_add_co_u32_e32 v8, vcc, s16, v8
	s_lshl_b32 s8, s9, 5
	v_addc_co_u32_e32 v9, vcc, v1, v9, vcc
	s_mov_b64 s[4:5], 0
	v_mov_b32_e32 v1, s13
	v_mov_b32_e32 v3, s3
	;; [unrolled: 1-line block ×3, first 2 shown]
.LBB154_5:                              ; =>This Inner Loop Header: Depth=1
	v_ashrrev_i32_e32 v5, 31, v4
	global_load_dword v11, v[8:9], off
	v_lshlrev_b64 v[12:13], 4, v[4:5]
	v_add_co_u32_e32 v12, vcc, s6, v12
	v_addc_co_u32_e32 v13, vcc, v10, v13, vcc
	global_load_dwordx4 v[12:15], v[12:13], off
	v_ashrrev_i32_e32 v7, 31, v6
	v_lshlrev_b64 v[16:17], 2, v[6:7]
	v_add_co_u32_e32 v8, vcc, 0x80, v8
	v_add_co_u32_e64 v16, s[0:1], s12, v16
	v_add_u32_e32 v0, 32, v0
	v_lshlrev_b64 v[18:19], 4, v[6:7]
	v_addc_co_u32_e32 v9, vcc, 0, v9, vcc
	v_addc_co_u32_e64 v17, s[0:1], v1, v17, s[0:1]
	v_cmp_le_i32_e32 vcc, s14, v0
	v_add_co_u32_e64 v18, s[0:1], s2, v18
	v_add_u32_e32 v4, s10, v4
	v_add_u32_e32 v6, s8, v6
	v_addc_co_u32_e64 v19, s[0:1], v3, v19, s[0:1]
	s_or_b64 s[4:5], vcc, s[4:5]
	s_waitcnt vmcnt(1)
	v_subrev_u32_e32 v5, s11, v11
	v_mad_u64_u32 v[20:21], s[0:1], v5, s9, v[2:3]
	global_store_dword v[16:17], v20, off
	s_waitcnt vmcnt(1)
	global_store_dwordx4 v[18:19], v[12:15], off
	s_andn2_b64 exec, exec, s[4:5]
	s_cbranch_execnz .LBB154_5
.LBB154_6:
	s_endpgm
	.section	.rodata,"a",@progbits
	.p2align	6, 0x0
	.amdhsa_kernel _ZN9rocsparseL35gebsr2csr_block_per_row_1_32_kernelILi256ELi4ELi2E21rocsparse_complex_numIdEEEv20rocsparse_direction_ii21rocsparse_index_base_PKT2_PKiS9_iiS4_PS5_PiSB_
		.amdhsa_group_segment_fixed_size 0
		.amdhsa_private_segment_fixed_size 0
		.amdhsa_kernarg_size 80
		.amdhsa_user_sgpr_count 6
		.amdhsa_user_sgpr_private_segment_buffer 1
		.amdhsa_user_sgpr_dispatch_ptr 0
		.amdhsa_user_sgpr_queue_ptr 0
		.amdhsa_user_sgpr_kernarg_segment_ptr 1
		.amdhsa_user_sgpr_dispatch_id 0
		.amdhsa_user_sgpr_flat_scratch_init 0
		.amdhsa_user_sgpr_kernarg_preload_length 0
		.amdhsa_user_sgpr_kernarg_preload_offset 0
		.amdhsa_user_sgpr_private_segment_size 0
		.amdhsa_uses_dynamic_stack 0
		.amdhsa_system_sgpr_private_segment_wavefront_offset 0
		.amdhsa_system_sgpr_workgroup_id_x 1
		.amdhsa_system_sgpr_workgroup_id_y 0
		.amdhsa_system_sgpr_workgroup_id_z 0
		.amdhsa_system_sgpr_workgroup_info 0
		.amdhsa_system_vgpr_workitem_id 0
		.amdhsa_next_free_vgpr 22
		.amdhsa_next_free_sgpr 19
		.amdhsa_accum_offset 24
		.amdhsa_reserve_vcc 1
		.amdhsa_reserve_flat_scratch 0
		.amdhsa_float_round_mode_32 0
		.amdhsa_float_round_mode_16_64 0
		.amdhsa_float_denorm_mode_32 3
		.amdhsa_float_denorm_mode_16_64 3
		.amdhsa_dx10_clamp 1
		.amdhsa_ieee_mode 1
		.amdhsa_fp16_overflow 0
		.amdhsa_tg_split 0
		.amdhsa_exception_fp_ieee_invalid_op 0
		.amdhsa_exception_fp_denorm_src 0
		.amdhsa_exception_fp_ieee_div_zero 0
		.amdhsa_exception_fp_ieee_overflow 0
		.amdhsa_exception_fp_ieee_underflow 0
		.amdhsa_exception_fp_ieee_inexact 0
		.amdhsa_exception_int_div_zero 0
	.end_amdhsa_kernel
	.section	.text._ZN9rocsparseL35gebsr2csr_block_per_row_1_32_kernelILi256ELi4ELi2E21rocsparse_complex_numIdEEEv20rocsparse_direction_ii21rocsparse_index_base_PKT2_PKiS9_iiS4_PS5_PiSB_,"axG",@progbits,_ZN9rocsparseL35gebsr2csr_block_per_row_1_32_kernelILi256ELi4ELi2E21rocsparse_complex_numIdEEEv20rocsparse_direction_ii21rocsparse_index_base_PKT2_PKiS9_iiS4_PS5_PiSB_,comdat
.Lfunc_end154:
	.size	_ZN9rocsparseL35gebsr2csr_block_per_row_1_32_kernelILi256ELi4ELi2E21rocsparse_complex_numIdEEEv20rocsparse_direction_ii21rocsparse_index_base_PKT2_PKiS9_iiS4_PS5_PiSB_, .Lfunc_end154-_ZN9rocsparseL35gebsr2csr_block_per_row_1_32_kernelILi256ELi4ELi2E21rocsparse_complex_numIdEEEv20rocsparse_direction_ii21rocsparse_index_base_PKT2_PKiS9_iiS4_PS5_PiSB_
                                        ; -- End function
	.section	.AMDGPU.csdata,"",@progbits
; Kernel info:
; codeLenInByte = 568
; NumSgprs: 23
; NumVgprs: 22
; NumAgprs: 0
; TotalNumVgprs: 22
; ScratchSize: 0
; MemoryBound: 0
; FloatMode: 240
; IeeeMode: 1
; LDSByteSize: 0 bytes/workgroup (compile time only)
; SGPRBlocks: 2
; VGPRBlocks: 2
; NumSGPRsForWavesPerEU: 23
; NumVGPRsForWavesPerEU: 22
; AccumOffset: 24
; Occupancy: 8
; WaveLimiterHint : 0
; COMPUTE_PGM_RSRC2:SCRATCH_EN: 0
; COMPUTE_PGM_RSRC2:USER_SGPR: 6
; COMPUTE_PGM_RSRC2:TRAP_HANDLER: 0
; COMPUTE_PGM_RSRC2:TGID_X_EN: 1
; COMPUTE_PGM_RSRC2:TGID_Y_EN: 0
; COMPUTE_PGM_RSRC2:TGID_Z_EN: 0
; COMPUTE_PGM_RSRC2:TIDIG_COMP_CNT: 0
; COMPUTE_PGM_RSRC3_GFX90A:ACCUM_OFFSET: 5
; COMPUTE_PGM_RSRC3_GFX90A:TG_SPLIT: 0
	.section	.text._ZN9rocsparseL35gebsr2csr_block_per_row_1_32_kernelILi256ELi4ELi4E21rocsparse_complex_numIdEEEv20rocsparse_direction_ii21rocsparse_index_base_PKT2_PKiS9_iiS4_PS5_PiSB_,"axG",@progbits,_ZN9rocsparseL35gebsr2csr_block_per_row_1_32_kernelILi256ELi4ELi4E21rocsparse_complex_numIdEEEv20rocsparse_direction_ii21rocsparse_index_base_PKT2_PKiS9_iiS4_PS5_PiSB_,comdat
	.globl	_ZN9rocsparseL35gebsr2csr_block_per_row_1_32_kernelILi256ELi4ELi4E21rocsparse_complex_numIdEEEv20rocsparse_direction_ii21rocsparse_index_base_PKT2_PKiS9_iiS4_PS5_PiSB_ ; -- Begin function _ZN9rocsparseL35gebsr2csr_block_per_row_1_32_kernelILi256ELi4ELi4E21rocsparse_complex_numIdEEEv20rocsparse_direction_ii21rocsparse_index_base_PKT2_PKiS9_iiS4_PS5_PiSB_
	.p2align	8
	.type	_ZN9rocsparseL35gebsr2csr_block_per_row_1_32_kernelILi256ELi4ELi4E21rocsparse_complex_numIdEEEv20rocsparse_direction_ii21rocsparse_index_base_PKT2_PKiS9_iiS4_PS5_PiSB_,@function
_ZN9rocsparseL35gebsr2csr_block_per_row_1_32_kernelILi256ELi4ELi4E21rocsparse_complex_numIdEEEv20rocsparse_direction_ii21rocsparse_index_base_PKT2_PKiS9_iiS4_PS5_PiSB_: ; @_ZN9rocsparseL35gebsr2csr_block_per_row_1_32_kernelILi256ELi4ELi4E21rocsparse_complex_numIdEEEv20rocsparse_direction_ii21rocsparse_index_base_PKT2_PKiS9_iiS4_PS5_PiSB_
; %bb.0:
	s_load_dwordx2 s[0:1], s[4:5], 0x18
	s_load_dwordx4 s[8:11], s[4:5], 0x28
	s_load_dwordx2 s[2:3], s[4:5], 0x40
	s_ashr_i32 s7, s6, 31
	s_lshl_b64 s[12:13], s[6:7], 2
	s_waitcnt lgkmcnt(0)
	s_add_u32 s12, s0, s12
	v_or_b32_e32 v1, s6, v0
	s_addc_u32 s13, s1, s13
	v_cmp_eq_u32_e32 vcc, 0, v1
	s_and_saveexec_b64 s[0:1], vcc
	s_cbranch_execz .LBB155_2
; %bb.1:
	v_mov_b32_e32 v1, 0
	v_mov_b32_e32 v2, s10
	global_store_dword v1, v2, s[2:3]
.LBB155_2:
	s_or_b64 exec, exec, s[0:1]
	v_and_b32_e32 v6, 3, v0
	v_bfe_u32 v8, v0, 2, 2
	v_cmp_gt_i32_e32 vcc, s8, v8
	v_cmp_gt_i32_e64 s[0:1], s9, v6
	s_and_b64 s[0:1], vcc, s[0:1]
	s_and_saveexec_b64 s[14:15], s[0:1]
	s_cbranch_execz .LBB155_6
; %bb.3:
	s_load_dwordx2 s[14:15], s[12:13], 0x0
	s_load_dword s11, s[4:5], 0xc
	s_mul_i32 s6, s6, s8
	v_add_u32_e32 v2, s6, v8
	s_mul_i32 s1, s9, s8
	v_ashrrev_i32_e32 v3, 31, v2
	s_waitcnt lgkmcnt(0)
	s_sub_i32 s0, s14, s11
	s_sub_i32 s14, s15, s11
	;; [unrolled: 1-line block ×3, first 2 shown]
	s_mul_i32 s12, s15, s9
	v_lshrrev_b32_e32 v1, 4, v0
	s_mul_i32 s7, s0, s1
	v_mul_lo_u32 v0, s12, v8
	s_add_i32 s12, s12, s10
	v_lshlrev_b64 v[2:3], 2, v[2:3]
	s_add_i32 s12, s12, s7
	v_mov_b32_e32 v4, s3
	v_add_co_u32_e32 v2, vcc, s2, v2
	v_add_u32_e32 v0, s12, v0
	v_addc_co_u32_e32 v3, vcc, v4, v3, vcc
	global_store_dword v[2:3], v0, off offset:4
	v_add_u32_e32 v0, s0, v1
	v_cmp_gt_i32_e32 vcc, s14, v0
	s_and_b64 exec, exec, vcc
	s_cbranch_execz .LBB155_6
; %bb.4:
	s_load_dwordx2 s[16:17], s[4:5], 0x20
	s_load_dwordx2 s[2:3], s[4:5], 0x38
	s_load_dword s18, s[4:5], 0x0
	s_load_dwordx2 s[6:7], s[4:5], 0x10
	s_load_dwordx2 s[12:13], s[4:5], 0x48
	v_mad_u64_u32 v[4:5], s[4:5], v6, s8, v[8:9]
	s_waitcnt lgkmcnt(0)
	s_cmp_eq_u32 s18, 0
	v_mad_u64_u32 v[10:11], s[4:5], v8, s9, v[6:7]
	s_cselect_b64 vcc, -1, 0
	s_mul_i32 s0, s8, s0
	v_mul_lo_u32 v3, s15, v8
	v_cndmask_b32_e32 v4, v4, v10, vcc
	v_add3_u32 v1, v1, s0, v3
	v_add_u32_e32 v2, s10, v6
	v_mad_u64_u32 v[4:5], s[4:5], s1, v0, v[4:5]
	s_lshl_b32 s10, s1, 4
	v_mad_u64_u32 v[6:7], s[0:1], s9, v1, v[6:7]
	v_ashrrev_i32_e32 v1, 31, v0
	v_lshlrev_b64 v[8:9], 2, v[0:1]
	v_mov_b32_e32 v1, s17
	v_add_co_u32_e32 v8, vcc, s16, v8
	s_lshl_b32 s8, s9, 4
	v_addc_co_u32_e32 v9, vcc, v1, v9, vcc
	s_mov_b64 s[4:5], 0
	v_mov_b32_e32 v1, s13
	v_mov_b32_e32 v3, s3
	v_mov_b32_e32 v10, s7
.LBB155_5:                              ; =>This Inner Loop Header: Depth=1
	v_ashrrev_i32_e32 v5, 31, v4
	global_load_dword v11, v[8:9], off
	v_lshlrev_b64 v[12:13], 4, v[4:5]
	v_add_co_u32_e32 v12, vcc, s6, v12
	v_addc_co_u32_e32 v13, vcc, v10, v13, vcc
	global_load_dwordx4 v[12:15], v[12:13], off
	v_ashrrev_i32_e32 v7, 31, v6
	v_lshlrev_b64 v[16:17], 2, v[6:7]
	v_add_co_u32_e32 v8, vcc, 64, v8
	v_add_co_u32_e64 v16, s[0:1], s12, v16
	v_add_u32_e32 v0, 16, v0
	v_addc_co_u32_e32 v9, vcc, 0, v9, vcc
	v_lshlrev_b64 v[18:19], 4, v[6:7]
	v_addc_co_u32_e64 v17, s[0:1], v1, v17, s[0:1]
	v_cmp_le_i32_e32 vcc, s14, v0
	v_add_co_u32_e64 v18, s[0:1], s2, v18
	v_add_u32_e32 v4, s10, v4
	v_add_u32_e32 v6, s8, v6
	v_addc_co_u32_e64 v19, s[0:1], v3, v19, s[0:1]
	s_or_b64 s[4:5], vcc, s[4:5]
	s_waitcnt vmcnt(1)
	v_subrev_u32_e32 v5, s11, v11
	v_mad_u64_u32 v[20:21], s[0:1], v5, s9, v[2:3]
	global_store_dword v[16:17], v20, off
	s_waitcnt vmcnt(1)
	global_store_dwordx4 v[18:19], v[12:15], off
	s_andn2_b64 exec, exec, s[4:5]
	s_cbranch_execnz .LBB155_5
.LBB155_6:
	s_endpgm
	.section	.rodata,"a",@progbits
	.p2align	6, 0x0
	.amdhsa_kernel _ZN9rocsparseL35gebsr2csr_block_per_row_1_32_kernelILi256ELi4ELi4E21rocsparse_complex_numIdEEEv20rocsparse_direction_ii21rocsparse_index_base_PKT2_PKiS9_iiS4_PS5_PiSB_
		.amdhsa_group_segment_fixed_size 0
		.amdhsa_private_segment_fixed_size 0
		.amdhsa_kernarg_size 80
		.amdhsa_user_sgpr_count 6
		.amdhsa_user_sgpr_private_segment_buffer 1
		.amdhsa_user_sgpr_dispatch_ptr 0
		.amdhsa_user_sgpr_queue_ptr 0
		.amdhsa_user_sgpr_kernarg_segment_ptr 1
		.amdhsa_user_sgpr_dispatch_id 0
		.amdhsa_user_sgpr_flat_scratch_init 0
		.amdhsa_user_sgpr_kernarg_preload_length 0
		.amdhsa_user_sgpr_kernarg_preload_offset 0
		.amdhsa_user_sgpr_private_segment_size 0
		.amdhsa_uses_dynamic_stack 0
		.amdhsa_system_sgpr_private_segment_wavefront_offset 0
		.amdhsa_system_sgpr_workgroup_id_x 1
		.amdhsa_system_sgpr_workgroup_id_y 0
		.amdhsa_system_sgpr_workgroup_id_z 0
		.amdhsa_system_sgpr_workgroup_info 0
		.amdhsa_system_vgpr_workitem_id 0
		.amdhsa_next_free_vgpr 22
		.amdhsa_next_free_sgpr 19
		.amdhsa_accum_offset 24
		.amdhsa_reserve_vcc 1
		.amdhsa_reserve_flat_scratch 0
		.amdhsa_float_round_mode_32 0
		.amdhsa_float_round_mode_16_64 0
		.amdhsa_float_denorm_mode_32 3
		.amdhsa_float_denorm_mode_16_64 3
		.amdhsa_dx10_clamp 1
		.amdhsa_ieee_mode 1
		.amdhsa_fp16_overflow 0
		.amdhsa_tg_split 0
		.amdhsa_exception_fp_ieee_invalid_op 0
		.amdhsa_exception_fp_denorm_src 0
		.amdhsa_exception_fp_ieee_div_zero 0
		.amdhsa_exception_fp_ieee_overflow 0
		.amdhsa_exception_fp_ieee_underflow 0
		.amdhsa_exception_fp_ieee_inexact 0
		.amdhsa_exception_int_div_zero 0
	.end_amdhsa_kernel
	.section	.text._ZN9rocsparseL35gebsr2csr_block_per_row_1_32_kernelILi256ELi4ELi4E21rocsparse_complex_numIdEEEv20rocsparse_direction_ii21rocsparse_index_base_PKT2_PKiS9_iiS4_PS5_PiSB_,"axG",@progbits,_ZN9rocsparseL35gebsr2csr_block_per_row_1_32_kernelILi256ELi4ELi4E21rocsparse_complex_numIdEEEv20rocsparse_direction_ii21rocsparse_index_base_PKT2_PKiS9_iiS4_PS5_PiSB_,comdat
.Lfunc_end155:
	.size	_ZN9rocsparseL35gebsr2csr_block_per_row_1_32_kernelILi256ELi4ELi4E21rocsparse_complex_numIdEEEv20rocsparse_direction_ii21rocsparse_index_base_PKT2_PKiS9_iiS4_PS5_PiSB_, .Lfunc_end155-_ZN9rocsparseL35gebsr2csr_block_per_row_1_32_kernelILi256ELi4ELi4E21rocsparse_complex_numIdEEEv20rocsparse_direction_ii21rocsparse_index_base_PKT2_PKiS9_iiS4_PS5_PiSB_
                                        ; -- End function
	.section	.AMDGPU.csdata,"",@progbits
; Kernel info:
; codeLenInByte = 564
; NumSgprs: 23
; NumVgprs: 22
; NumAgprs: 0
; TotalNumVgprs: 22
; ScratchSize: 0
; MemoryBound: 0
; FloatMode: 240
; IeeeMode: 1
; LDSByteSize: 0 bytes/workgroup (compile time only)
; SGPRBlocks: 2
; VGPRBlocks: 2
; NumSGPRsForWavesPerEU: 23
; NumVGPRsForWavesPerEU: 22
; AccumOffset: 24
; Occupancy: 8
; WaveLimiterHint : 0
; COMPUTE_PGM_RSRC2:SCRATCH_EN: 0
; COMPUTE_PGM_RSRC2:USER_SGPR: 6
; COMPUTE_PGM_RSRC2:TRAP_HANDLER: 0
; COMPUTE_PGM_RSRC2:TGID_X_EN: 1
; COMPUTE_PGM_RSRC2:TGID_Y_EN: 0
; COMPUTE_PGM_RSRC2:TGID_Z_EN: 0
; COMPUTE_PGM_RSRC2:TIDIG_COMP_CNT: 0
; COMPUTE_PGM_RSRC3_GFX90A:ACCUM_OFFSET: 5
; COMPUTE_PGM_RSRC3_GFX90A:TG_SPLIT: 0
	.section	.text._ZN9rocsparseL35gebsr2csr_block_per_row_1_32_kernelILi256ELi4ELi8E21rocsparse_complex_numIdEEEv20rocsparse_direction_ii21rocsparse_index_base_PKT2_PKiS9_iiS4_PS5_PiSB_,"axG",@progbits,_ZN9rocsparseL35gebsr2csr_block_per_row_1_32_kernelILi256ELi4ELi8E21rocsparse_complex_numIdEEEv20rocsparse_direction_ii21rocsparse_index_base_PKT2_PKiS9_iiS4_PS5_PiSB_,comdat
	.globl	_ZN9rocsparseL35gebsr2csr_block_per_row_1_32_kernelILi256ELi4ELi8E21rocsparse_complex_numIdEEEv20rocsparse_direction_ii21rocsparse_index_base_PKT2_PKiS9_iiS4_PS5_PiSB_ ; -- Begin function _ZN9rocsparseL35gebsr2csr_block_per_row_1_32_kernelILi256ELi4ELi8E21rocsparse_complex_numIdEEEv20rocsparse_direction_ii21rocsparse_index_base_PKT2_PKiS9_iiS4_PS5_PiSB_
	.p2align	8
	.type	_ZN9rocsparseL35gebsr2csr_block_per_row_1_32_kernelILi256ELi4ELi8E21rocsparse_complex_numIdEEEv20rocsparse_direction_ii21rocsparse_index_base_PKT2_PKiS9_iiS4_PS5_PiSB_,@function
_ZN9rocsparseL35gebsr2csr_block_per_row_1_32_kernelILi256ELi4ELi8E21rocsparse_complex_numIdEEEv20rocsparse_direction_ii21rocsparse_index_base_PKT2_PKiS9_iiS4_PS5_PiSB_: ; @_ZN9rocsparseL35gebsr2csr_block_per_row_1_32_kernelILi256ELi4ELi8E21rocsparse_complex_numIdEEEv20rocsparse_direction_ii21rocsparse_index_base_PKT2_PKiS9_iiS4_PS5_PiSB_
; %bb.0:
	s_load_dwordx2 s[0:1], s[4:5], 0x18
	s_load_dwordx4 s[8:11], s[4:5], 0x28
	s_load_dwordx2 s[2:3], s[4:5], 0x40
	s_ashr_i32 s7, s6, 31
	s_lshl_b64 s[12:13], s[6:7], 2
	s_waitcnt lgkmcnt(0)
	s_add_u32 s12, s0, s12
	v_or_b32_e32 v1, s6, v0
	s_addc_u32 s13, s1, s13
	v_cmp_eq_u32_e32 vcc, 0, v1
	s_and_saveexec_b64 s[0:1], vcc
	s_cbranch_execz .LBB156_2
; %bb.1:
	v_mov_b32_e32 v1, 0
	v_mov_b32_e32 v2, s10
	global_store_dword v1, v2, s[2:3]
.LBB156_2:
	s_or_b64 exec, exec, s[0:1]
	v_and_b32_e32 v6, 7, v0
	v_bfe_u32 v8, v0, 3, 2
	v_cmp_gt_i32_e32 vcc, s8, v8
	v_cmp_gt_i32_e64 s[0:1], s9, v6
	s_and_b64 s[0:1], vcc, s[0:1]
	s_and_saveexec_b64 s[14:15], s[0:1]
	s_cbranch_execz .LBB156_6
; %bb.3:
	s_load_dwordx2 s[14:15], s[12:13], 0x0
	s_load_dword s11, s[4:5], 0xc
	s_mul_i32 s6, s6, s8
	v_add_u32_e32 v2, s6, v8
	s_mul_i32 s1, s9, s8
	v_ashrrev_i32_e32 v3, 31, v2
	s_waitcnt lgkmcnt(0)
	s_sub_i32 s0, s14, s11
	s_sub_i32 s14, s15, s11
	;; [unrolled: 1-line block ×3, first 2 shown]
	s_mul_i32 s12, s15, s9
	v_lshrrev_b32_e32 v1, 5, v0
	s_mul_i32 s7, s0, s1
	v_mul_lo_u32 v0, s12, v8
	s_add_i32 s12, s12, s10
	v_lshlrev_b64 v[2:3], 2, v[2:3]
	s_add_i32 s12, s12, s7
	v_mov_b32_e32 v4, s3
	v_add_co_u32_e32 v2, vcc, s2, v2
	v_add_u32_e32 v0, s12, v0
	v_addc_co_u32_e32 v3, vcc, v4, v3, vcc
	global_store_dword v[2:3], v0, off offset:4
	v_add_u32_e32 v0, s0, v1
	v_cmp_gt_i32_e32 vcc, s14, v0
	s_and_b64 exec, exec, vcc
	s_cbranch_execz .LBB156_6
; %bb.4:
	s_load_dwordx2 s[16:17], s[4:5], 0x20
	s_load_dwordx2 s[2:3], s[4:5], 0x38
	s_load_dword s18, s[4:5], 0x0
	s_load_dwordx2 s[6:7], s[4:5], 0x10
	s_load_dwordx2 s[12:13], s[4:5], 0x48
	v_mad_u64_u32 v[4:5], s[4:5], v6, s8, v[8:9]
	s_waitcnt lgkmcnt(0)
	s_cmp_eq_u32 s18, 0
	v_mad_u64_u32 v[10:11], s[4:5], v8, s9, v[6:7]
	s_cselect_b64 vcc, -1, 0
	s_mul_i32 s0, s8, s0
	v_mul_lo_u32 v3, s15, v8
	v_cndmask_b32_e32 v4, v4, v10, vcc
	v_add3_u32 v1, v1, s0, v3
	v_add_u32_e32 v2, s10, v6
	v_mad_u64_u32 v[4:5], s[4:5], s1, v0, v[4:5]
	s_lshl_b32 s10, s1, 3
	v_mad_u64_u32 v[6:7], s[0:1], s9, v1, v[6:7]
	v_ashrrev_i32_e32 v1, 31, v0
	v_lshlrev_b64 v[8:9], 2, v[0:1]
	v_mov_b32_e32 v1, s17
	v_add_co_u32_e32 v8, vcc, s16, v8
	s_lshl_b32 s8, s9, 3
	v_addc_co_u32_e32 v9, vcc, v1, v9, vcc
	s_mov_b64 s[4:5], 0
	v_mov_b32_e32 v1, s13
	v_mov_b32_e32 v3, s3
	;; [unrolled: 1-line block ×3, first 2 shown]
.LBB156_5:                              ; =>This Inner Loop Header: Depth=1
	v_ashrrev_i32_e32 v5, 31, v4
	global_load_dword v11, v[8:9], off
	v_lshlrev_b64 v[12:13], 4, v[4:5]
	v_add_co_u32_e32 v12, vcc, s6, v12
	v_addc_co_u32_e32 v13, vcc, v10, v13, vcc
	global_load_dwordx4 v[12:15], v[12:13], off
	v_ashrrev_i32_e32 v7, 31, v6
	v_lshlrev_b64 v[16:17], 2, v[6:7]
	v_add_co_u32_e32 v8, vcc, 32, v8
	v_add_co_u32_e64 v16, s[0:1], s12, v16
	v_add_u32_e32 v0, 8, v0
	v_addc_co_u32_e32 v9, vcc, 0, v9, vcc
	v_lshlrev_b64 v[18:19], 4, v[6:7]
	v_addc_co_u32_e64 v17, s[0:1], v1, v17, s[0:1]
	v_cmp_le_i32_e32 vcc, s14, v0
	v_add_co_u32_e64 v18, s[0:1], s2, v18
	v_add_u32_e32 v4, s10, v4
	v_add_u32_e32 v6, s8, v6
	v_addc_co_u32_e64 v19, s[0:1], v3, v19, s[0:1]
	s_or_b64 s[4:5], vcc, s[4:5]
	s_waitcnt vmcnt(1)
	v_subrev_u32_e32 v5, s11, v11
	v_mad_u64_u32 v[20:21], s[0:1], v5, s9, v[2:3]
	global_store_dword v[16:17], v20, off
	s_waitcnt vmcnt(1)
	global_store_dwordx4 v[18:19], v[12:15], off
	s_andn2_b64 exec, exec, s[4:5]
	s_cbranch_execnz .LBB156_5
.LBB156_6:
	s_endpgm
	.section	.rodata,"a",@progbits
	.p2align	6, 0x0
	.amdhsa_kernel _ZN9rocsparseL35gebsr2csr_block_per_row_1_32_kernelILi256ELi4ELi8E21rocsparse_complex_numIdEEEv20rocsparse_direction_ii21rocsparse_index_base_PKT2_PKiS9_iiS4_PS5_PiSB_
		.amdhsa_group_segment_fixed_size 0
		.amdhsa_private_segment_fixed_size 0
		.amdhsa_kernarg_size 80
		.amdhsa_user_sgpr_count 6
		.amdhsa_user_sgpr_private_segment_buffer 1
		.amdhsa_user_sgpr_dispatch_ptr 0
		.amdhsa_user_sgpr_queue_ptr 0
		.amdhsa_user_sgpr_kernarg_segment_ptr 1
		.amdhsa_user_sgpr_dispatch_id 0
		.amdhsa_user_sgpr_flat_scratch_init 0
		.amdhsa_user_sgpr_kernarg_preload_length 0
		.amdhsa_user_sgpr_kernarg_preload_offset 0
		.amdhsa_user_sgpr_private_segment_size 0
		.amdhsa_uses_dynamic_stack 0
		.amdhsa_system_sgpr_private_segment_wavefront_offset 0
		.amdhsa_system_sgpr_workgroup_id_x 1
		.amdhsa_system_sgpr_workgroup_id_y 0
		.amdhsa_system_sgpr_workgroup_id_z 0
		.amdhsa_system_sgpr_workgroup_info 0
		.amdhsa_system_vgpr_workitem_id 0
		.amdhsa_next_free_vgpr 22
		.amdhsa_next_free_sgpr 19
		.amdhsa_accum_offset 24
		.amdhsa_reserve_vcc 1
		.amdhsa_reserve_flat_scratch 0
		.amdhsa_float_round_mode_32 0
		.amdhsa_float_round_mode_16_64 0
		.amdhsa_float_denorm_mode_32 3
		.amdhsa_float_denorm_mode_16_64 3
		.amdhsa_dx10_clamp 1
		.amdhsa_ieee_mode 1
		.amdhsa_fp16_overflow 0
		.amdhsa_tg_split 0
		.amdhsa_exception_fp_ieee_invalid_op 0
		.amdhsa_exception_fp_denorm_src 0
		.amdhsa_exception_fp_ieee_div_zero 0
		.amdhsa_exception_fp_ieee_overflow 0
		.amdhsa_exception_fp_ieee_underflow 0
		.amdhsa_exception_fp_ieee_inexact 0
		.amdhsa_exception_int_div_zero 0
	.end_amdhsa_kernel
	.section	.text._ZN9rocsparseL35gebsr2csr_block_per_row_1_32_kernelILi256ELi4ELi8E21rocsparse_complex_numIdEEEv20rocsparse_direction_ii21rocsparse_index_base_PKT2_PKiS9_iiS4_PS5_PiSB_,"axG",@progbits,_ZN9rocsparseL35gebsr2csr_block_per_row_1_32_kernelILi256ELi4ELi8E21rocsparse_complex_numIdEEEv20rocsparse_direction_ii21rocsparse_index_base_PKT2_PKiS9_iiS4_PS5_PiSB_,comdat
.Lfunc_end156:
	.size	_ZN9rocsparseL35gebsr2csr_block_per_row_1_32_kernelILi256ELi4ELi8E21rocsparse_complex_numIdEEEv20rocsparse_direction_ii21rocsparse_index_base_PKT2_PKiS9_iiS4_PS5_PiSB_, .Lfunc_end156-_ZN9rocsparseL35gebsr2csr_block_per_row_1_32_kernelILi256ELi4ELi8E21rocsparse_complex_numIdEEEv20rocsparse_direction_ii21rocsparse_index_base_PKT2_PKiS9_iiS4_PS5_PiSB_
                                        ; -- End function
	.section	.AMDGPU.csdata,"",@progbits
; Kernel info:
; codeLenInByte = 564
; NumSgprs: 23
; NumVgprs: 22
; NumAgprs: 0
; TotalNumVgprs: 22
; ScratchSize: 0
; MemoryBound: 0
; FloatMode: 240
; IeeeMode: 1
; LDSByteSize: 0 bytes/workgroup (compile time only)
; SGPRBlocks: 2
; VGPRBlocks: 2
; NumSGPRsForWavesPerEU: 23
; NumVGPRsForWavesPerEU: 22
; AccumOffset: 24
; Occupancy: 8
; WaveLimiterHint : 0
; COMPUTE_PGM_RSRC2:SCRATCH_EN: 0
; COMPUTE_PGM_RSRC2:USER_SGPR: 6
; COMPUTE_PGM_RSRC2:TRAP_HANDLER: 0
; COMPUTE_PGM_RSRC2:TGID_X_EN: 1
; COMPUTE_PGM_RSRC2:TGID_Y_EN: 0
; COMPUTE_PGM_RSRC2:TGID_Z_EN: 0
; COMPUTE_PGM_RSRC2:TIDIG_COMP_CNT: 0
; COMPUTE_PGM_RSRC3_GFX90A:ACCUM_OFFSET: 5
; COMPUTE_PGM_RSRC3_GFX90A:TG_SPLIT: 0
	.section	.text._ZN9rocsparseL35gebsr2csr_block_per_row_1_32_kernelILi1024ELi4ELi16E21rocsparse_complex_numIdEEEv20rocsparse_direction_ii21rocsparse_index_base_PKT2_PKiS9_iiS4_PS5_PiSB_,"axG",@progbits,_ZN9rocsparseL35gebsr2csr_block_per_row_1_32_kernelILi1024ELi4ELi16E21rocsparse_complex_numIdEEEv20rocsparse_direction_ii21rocsparse_index_base_PKT2_PKiS9_iiS4_PS5_PiSB_,comdat
	.globl	_ZN9rocsparseL35gebsr2csr_block_per_row_1_32_kernelILi1024ELi4ELi16E21rocsparse_complex_numIdEEEv20rocsparse_direction_ii21rocsparse_index_base_PKT2_PKiS9_iiS4_PS5_PiSB_ ; -- Begin function _ZN9rocsparseL35gebsr2csr_block_per_row_1_32_kernelILi1024ELi4ELi16E21rocsparse_complex_numIdEEEv20rocsparse_direction_ii21rocsparse_index_base_PKT2_PKiS9_iiS4_PS5_PiSB_
	.p2align	8
	.type	_ZN9rocsparseL35gebsr2csr_block_per_row_1_32_kernelILi1024ELi4ELi16E21rocsparse_complex_numIdEEEv20rocsparse_direction_ii21rocsparse_index_base_PKT2_PKiS9_iiS4_PS5_PiSB_,@function
_ZN9rocsparseL35gebsr2csr_block_per_row_1_32_kernelILi1024ELi4ELi16E21rocsparse_complex_numIdEEEv20rocsparse_direction_ii21rocsparse_index_base_PKT2_PKiS9_iiS4_PS5_PiSB_: ; @_ZN9rocsparseL35gebsr2csr_block_per_row_1_32_kernelILi1024ELi4ELi16E21rocsparse_complex_numIdEEEv20rocsparse_direction_ii21rocsparse_index_base_PKT2_PKiS9_iiS4_PS5_PiSB_
; %bb.0:
	s_load_dwordx2 s[0:1], s[4:5], 0x18
	s_load_dwordx4 s[8:11], s[4:5], 0x28
	s_load_dwordx2 s[2:3], s[4:5], 0x40
	s_ashr_i32 s7, s6, 31
	s_lshl_b64 s[12:13], s[6:7], 2
	s_waitcnt lgkmcnt(0)
	s_add_u32 s12, s0, s12
	v_or_b32_e32 v1, s6, v0
	s_addc_u32 s13, s1, s13
	v_cmp_eq_u32_e32 vcc, 0, v1
	s_and_saveexec_b64 s[0:1], vcc
	s_cbranch_execz .LBB157_2
; %bb.1:
	v_mov_b32_e32 v1, 0
	v_mov_b32_e32 v2, s10
	global_store_dword v1, v2, s[2:3]
.LBB157_2:
	s_or_b64 exec, exec, s[0:1]
	v_and_b32_e32 v6, 15, v0
	v_bfe_u32 v8, v0, 4, 2
	v_cmp_gt_i32_e32 vcc, s8, v8
	v_cmp_gt_i32_e64 s[0:1], s9, v6
	s_and_b64 s[0:1], vcc, s[0:1]
	s_and_saveexec_b64 s[14:15], s[0:1]
	s_cbranch_execz .LBB157_6
; %bb.3:
	s_load_dwordx2 s[14:15], s[12:13], 0x0
	s_load_dword s11, s[4:5], 0xc
	s_mul_i32 s6, s6, s8
	v_add_u32_e32 v2, s6, v8
	s_mul_i32 s1, s9, s8
	v_ashrrev_i32_e32 v3, 31, v2
	s_waitcnt lgkmcnt(0)
	s_sub_i32 s0, s14, s11
	s_sub_i32 s14, s15, s11
	;; [unrolled: 1-line block ×3, first 2 shown]
	s_mul_i32 s12, s15, s9
	v_lshrrev_b32_e32 v1, 6, v0
	s_mul_i32 s7, s0, s1
	v_mul_lo_u32 v0, s12, v8
	s_add_i32 s12, s12, s10
	v_lshlrev_b64 v[2:3], 2, v[2:3]
	s_add_i32 s12, s12, s7
	v_mov_b32_e32 v4, s3
	v_add_co_u32_e32 v2, vcc, s2, v2
	v_add_u32_e32 v0, s12, v0
	v_addc_co_u32_e32 v3, vcc, v4, v3, vcc
	global_store_dword v[2:3], v0, off offset:4
	v_add_u32_e32 v0, s0, v1
	v_cmp_gt_i32_e32 vcc, s14, v0
	s_and_b64 exec, exec, vcc
	s_cbranch_execz .LBB157_6
; %bb.4:
	s_load_dwordx2 s[16:17], s[4:5], 0x20
	s_load_dwordx2 s[2:3], s[4:5], 0x38
	s_load_dword s18, s[4:5], 0x0
	s_load_dwordx2 s[6:7], s[4:5], 0x10
	s_load_dwordx2 s[12:13], s[4:5], 0x48
	v_mad_u64_u32 v[4:5], s[4:5], v6, s8, v[8:9]
	s_waitcnt lgkmcnt(0)
	s_cmp_eq_u32 s18, 0
	v_mad_u64_u32 v[10:11], s[4:5], v8, s9, v[6:7]
	s_cselect_b64 vcc, -1, 0
	s_mul_i32 s0, s8, s0
	v_mul_lo_u32 v3, s15, v8
	v_cndmask_b32_e32 v4, v4, v10, vcc
	v_add3_u32 v1, v1, s0, v3
	v_add_u32_e32 v2, s10, v6
	v_mad_u64_u32 v[4:5], s[4:5], s1, v0, v[4:5]
	s_lshl_b32 s10, s1, 4
	v_mad_u64_u32 v[6:7], s[0:1], s9, v1, v[6:7]
	v_ashrrev_i32_e32 v1, 31, v0
	v_lshlrev_b64 v[8:9], 2, v[0:1]
	v_mov_b32_e32 v1, s17
	v_add_co_u32_e32 v8, vcc, s16, v8
	s_lshl_b32 s8, s9, 4
	v_addc_co_u32_e32 v9, vcc, v1, v9, vcc
	s_mov_b64 s[4:5], 0
	v_mov_b32_e32 v1, s13
	v_mov_b32_e32 v3, s3
	;; [unrolled: 1-line block ×3, first 2 shown]
.LBB157_5:                              ; =>This Inner Loop Header: Depth=1
	v_ashrrev_i32_e32 v5, 31, v4
	global_load_dword v11, v[8:9], off
	v_lshlrev_b64 v[12:13], 4, v[4:5]
	v_add_co_u32_e32 v12, vcc, s6, v12
	v_addc_co_u32_e32 v13, vcc, v10, v13, vcc
	global_load_dwordx4 v[12:15], v[12:13], off
	v_ashrrev_i32_e32 v7, 31, v6
	v_lshlrev_b64 v[16:17], 2, v[6:7]
	v_add_co_u32_e32 v8, vcc, 64, v8
	v_add_co_u32_e64 v16, s[0:1], s12, v16
	v_add_u32_e32 v0, 16, v0
	v_addc_co_u32_e32 v9, vcc, 0, v9, vcc
	v_lshlrev_b64 v[18:19], 4, v[6:7]
	v_addc_co_u32_e64 v17, s[0:1], v1, v17, s[0:1]
	v_cmp_le_i32_e32 vcc, s14, v0
	v_add_co_u32_e64 v18, s[0:1], s2, v18
	v_add_u32_e32 v4, s10, v4
	v_add_u32_e32 v6, s8, v6
	v_addc_co_u32_e64 v19, s[0:1], v3, v19, s[0:1]
	s_or_b64 s[4:5], vcc, s[4:5]
	s_waitcnt vmcnt(1)
	v_subrev_u32_e32 v5, s11, v11
	v_mad_u64_u32 v[20:21], s[0:1], v5, s9, v[2:3]
	global_store_dword v[16:17], v20, off
	s_waitcnt vmcnt(1)
	global_store_dwordx4 v[18:19], v[12:15], off
	s_andn2_b64 exec, exec, s[4:5]
	s_cbranch_execnz .LBB157_5
.LBB157_6:
	s_endpgm
	.section	.rodata,"a",@progbits
	.p2align	6, 0x0
	.amdhsa_kernel _ZN9rocsparseL35gebsr2csr_block_per_row_1_32_kernelILi1024ELi4ELi16E21rocsparse_complex_numIdEEEv20rocsparse_direction_ii21rocsparse_index_base_PKT2_PKiS9_iiS4_PS5_PiSB_
		.amdhsa_group_segment_fixed_size 0
		.amdhsa_private_segment_fixed_size 0
		.amdhsa_kernarg_size 80
		.amdhsa_user_sgpr_count 6
		.amdhsa_user_sgpr_private_segment_buffer 1
		.amdhsa_user_sgpr_dispatch_ptr 0
		.amdhsa_user_sgpr_queue_ptr 0
		.amdhsa_user_sgpr_kernarg_segment_ptr 1
		.amdhsa_user_sgpr_dispatch_id 0
		.amdhsa_user_sgpr_flat_scratch_init 0
		.amdhsa_user_sgpr_kernarg_preload_length 0
		.amdhsa_user_sgpr_kernarg_preload_offset 0
		.amdhsa_user_sgpr_private_segment_size 0
		.amdhsa_uses_dynamic_stack 0
		.amdhsa_system_sgpr_private_segment_wavefront_offset 0
		.amdhsa_system_sgpr_workgroup_id_x 1
		.amdhsa_system_sgpr_workgroup_id_y 0
		.amdhsa_system_sgpr_workgroup_id_z 0
		.amdhsa_system_sgpr_workgroup_info 0
		.amdhsa_system_vgpr_workitem_id 0
		.amdhsa_next_free_vgpr 22
		.amdhsa_next_free_sgpr 19
		.amdhsa_accum_offset 24
		.amdhsa_reserve_vcc 1
		.amdhsa_reserve_flat_scratch 0
		.amdhsa_float_round_mode_32 0
		.amdhsa_float_round_mode_16_64 0
		.amdhsa_float_denorm_mode_32 3
		.amdhsa_float_denorm_mode_16_64 3
		.amdhsa_dx10_clamp 1
		.amdhsa_ieee_mode 1
		.amdhsa_fp16_overflow 0
		.amdhsa_tg_split 0
		.amdhsa_exception_fp_ieee_invalid_op 0
		.amdhsa_exception_fp_denorm_src 0
		.amdhsa_exception_fp_ieee_div_zero 0
		.amdhsa_exception_fp_ieee_overflow 0
		.amdhsa_exception_fp_ieee_underflow 0
		.amdhsa_exception_fp_ieee_inexact 0
		.amdhsa_exception_int_div_zero 0
	.end_amdhsa_kernel
	.section	.text._ZN9rocsparseL35gebsr2csr_block_per_row_1_32_kernelILi1024ELi4ELi16E21rocsparse_complex_numIdEEEv20rocsparse_direction_ii21rocsparse_index_base_PKT2_PKiS9_iiS4_PS5_PiSB_,"axG",@progbits,_ZN9rocsparseL35gebsr2csr_block_per_row_1_32_kernelILi1024ELi4ELi16E21rocsparse_complex_numIdEEEv20rocsparse_direction_ii21rocsparse_index_base_PKT2_PKiS9_iiS4_PS5_PiSB_,comdat
.Lfunc_end157:
	.size	_ZN9rocsparseL35gebsr2csr_block_per_row_1_32_kernelILi1024ELi4ELi16E21rocsparse_complex_numIdEEEv20rocsparse_direction_ii21rocsparse_index_base_PKT2_PKiS9_iiS4_PS5_PiSB_, .Lfunc_end157-_ZN9rocsparseL35gebsr2csr_block_per_row_1_32_kernelILi1024ELi4ELi16E21rocsparse_complex_numIdEEEv20rocsparse_direction_ii21rocsparse_index_base_PKT2_PKiS9_iiS4_PS5_PiSB_
                                        ; -- End function
	.section	.AMDGPU.csdata,"",@progbits
; Kernel info:
; codeLenInByte = 564
; NumSgprs: 23
; NumVgprs: 22
; NumAgprs: 0
; TotalNumVgprs: 22
; ScratchSize: 0
; MemoryBound: 0
; FloatMode: 240
; IeeeMode: 1
; LDSByteSize: 0 bytes/workgroup (compile time only)
; SGPRBlocks: 2
; VGPRBlocks: 2
; NumSGPRsForWavesPerEU: 23
; NumVGPRsForWavesPerEU: 22
; AccumOffset: 24
; Occupancy: 8
; WaveLimiterHint : 0
; COMPUTE_PGM_RSRC2:SCRATCH_EN: 0
; COMPUTE_PGM_RSRC2:USER_SGPR: 6
; COMPUTE_PGM_RSRC2:TRAP_HANDLER: 0
; COMPUTE_PGM_RSRC2:TGID_X_EN: 1
; COMPUTE_PGM_RSRC2:TGID_Y_EN: 0
; COMPUTE_PGM_RSRC2:TGID_Z_EN: 0
; COMPUTE_PGM_RSRC2:TIDIG_COMP_CNT: 0
; COMPUTE_PGM_RSRC3_GFX90A:ACCUM_OFFSET: 5
; COMPUTE_PGM_RSRC3_GFX90A:TG_SPLIT: 0
	.section	.text._ZN9rocsparseL35gebsr2csr_block_per_row_1_32_kernelILi1024ELi4ELi32E21rocsparse_complex_numIdEEEv20rocsparse_direction_ii21rocsparse_index_base_PKT2_PKiS9_iiS4_PS5_PiSB_,"axG",@progbits,_ZN9rocsparseL35gebsr2csr_block_per_row_1_32_kernelILi1024ELi4ELi32E21rocsparse_complex_numIdEEEv20rocsparse_direction_ii21rocsparse_index_base_PKT2_PKiS9_iiS4_PS5_PiSB_,comdat
	.globl	_ZN9rocsparseL35gebsr2csr_block_per_row_1_32_kernelILi1024ELi4ELi32E21rocsparse_complex_numIdEEEv20rocsparse_direction_ii21rocsparse_index_base_PKT2_PKiS9_iiS4_PS5_PiSB_ ; -- Begin function _ZN9rocsparseL35gebsr2csr_block_per_row_1_32_kernelILi1024ELi4ELi32E21rocsparse_complex_numIdEEEv20rocsparse_direction_ii21rocsparse_index_base_PKT2_PKiS9_iiS4_PS5_PiSB_
	.p2align	8
	.type	_ZN9rocsparseL35gebsr2csr_block_per_row_1_32_kernelILi1024ELi4ELi32E21rocsparse_complex_numIdEEEv20rocsparse_direction_ii21rocsparse_index_base_PKT2_PKiS9_iiS4_PS5_PiSB_,@function
_ZN9rocsparseL35gebsr2csr_block_per_row_1_32_kernelILi1024ELi4ELi32E21rocsparse_complex_numIdEEEv20rocsparse_direction_ii21rocsparse_index_base_PKT2_PKiS9_iiS4_PS5_PiSB_: ; @_ZN9rocsparseL35gebsr2csr_block_per_row_1_32_kernelILi1024ELi4ELi32E21rocsparse_complex_numIdEEEv20rocsparse_direction_ii21rocsparse_index_base_PKT2_PKiS9_iiS4_PS5_PiSB_
; %bb.0:
	s_load_dwordx2 s[0:1], s[4:5], 0x18
	s_load_dwordx4 s[8:11], s[4:5], 0x28
	s_load_dwordx2 s[2:3], s[4:5], 0x40
	s_ashr_i32 s7, s6, 31
	s_lshl_b64 s[12:13], s[6:7], 2
	s_waitcnt lgkmcnt(0)
	s_add_u32 s12, s0, s12
	v_or_b32_e32 v1, s6, v0
	s_addc_u32 s13, s1, s13
	v_cmp_eq_u32_e32 vcc, 0, v1
	s_and_saveexec_b64 s[0:1], vcc
	s_cbranch_execz .LBB158_2
; %bb.1:
	v_mov_b32_e32 v1, 0
	v_mov_b32_e32 v2, s10
	global_store_dword v1, v2, s[2:3]
.LBB158_2:
	s_or_b64 exec, exec, s[0:1]
	v_and_b32_e32 v6, 31, v0
	v_bfe_u32 v8, v0, 5, 2
	v_cmp_gt_i32_e32 vcc, s8, v8
	v_cmp_gt_i32_e64 s[0:1], s9, v6
	s_and_b64 s[0:1], vcc, s[0:1]
	s_and_saveexec_b64 s[14:15], s[0:1]
	s_cbranch_execz .LBB158_6
; %bb.3:
	s_load_dwordx2 s[14:15], s[12:13], 0x0
	s_load_dword s11, s[4:5], 0xc
	s_mul_i32 s6, s6, s8
	v_add_u32_e32 v2, s6, v8
	s_mul_i32 s1, s9, s8
	v_ashrrev_i32_e32 v3, 31, v2
	s_waitcnt lgkmcnt(0)
	s_sub_i32 s0, s14, s11
	s_sub_i32 s14, s15, s11
	;; [unrolled: 1-line block ×3, first 2 shown]
	s_mul_i32 s12, s15, s9
	v_lshrrev_b32_e32 v1, 7, v0
	s_mul_i32 s7, s0, s1
	v_mul_lo_u32 v0, s12, v8
	s_add_i32 s12, s12, s10
	v_lshlrev_b64 v[2:3], 2, v[2:3]
	s_add_i32 s12, s12, s7
	v_mov_b32_e32 v4, s3
	v_add_co_u32_e32 v2, vcc, s2, v2
	v_add_u32_e32 v0, s12, v0
	v_addc_co_u32_e32 v3, vcc, v4, v3, vcc
	global_store_dword v[2:3], v0, off offset:4
	v_add_u32_e32 v0, s0, v1
	v_cmp_gt_i32_e32 vcc, s14, v0
	s_and_b64 exec, exec, vcc
	s_cbranch_execz .LBB158_6
; %bb.4:
	s_load_dwordx2 s[16:17], s[4:5], 0x20
	s_load_dwordx2 s[2:3], s[4:5], 0x38
	s_load_dword s18, s[4:5], 0x0
	s_load_dwordx2 s[6:7], s[4:5], 0x10
	s_load_dwordx2 s[12:13], s[4:5], 0x48
	v_mad_u64_u32 v[4:5], s[4:5], v6, s8, v[8:9]
	s_waitcnt lgkmcnt(0)
	s_cmp_eq_u32 s18, 0
	v_mad_u64_u32 v[10:11], s[4:5], v8, s9, v[6:7]
	s_cselect_b64 vcc, -1, 0
	s_mul_i32 s0, s8, s0
	v_mul_lo_u32 v3, s15, v8
	v_cndmask_b32_e32 v4, v4, v10, vcc
	v_add3_u32 v1, v1, s0, v3
	v_add_u32_e32 v2, s10, v6
	v_mad_u64_u32 v[4:5], s[4:5], s1, v0, v[4:5]
	s_lshl_b32 s10, s1, 3
	v_mad_u64_u32 v[6:7], s[0:1], s9, v1, v[6:7]
	v_ashrrev_i32_e32 v1, 31, v0
	v_lshlrev_b64 v[8:9], 2, v[0:1]
	v_mov_b32_e32 v1, s17
	v_add_co_u32_e32 v8, vcc, s16, v8
	s_lshl_b32 s8, s9, 3
	v_addc_co_u32_e32 v9, vcc, v1, v9, vcc
	s_mov_b64 s[4:5], 0
	v_mov_b32_e32 v1, s13
	v_mov_b32_e32 v3, s3
	;; [unrolled: 1-line block ×3, first 2 shown]
.LBB158_5:                              ; =>This Inner Loop Header: Depth=1
	v_ashrrev_i32_e32 v5, 31, v4
	global_load_dword v11, v[8:9], off
	v_lshlrev_b64 v[12:13], 4, v[4:5]
	v_add_co_u32_e32 v12, vcc, s6, v12
	v_addc_co_u32_e32 v13, vcc, v10, v13, vcc
	global_load_dwordx4 v[12:15], v[12:13], off
	v_ashrrev_i32_e32 v7, 31, v6
	v_lshlrev_b64 v[16:17], 2, v[6:7]
	v_add_co_u32_e32 v8, vcc, 32, v8
	v_add_co_u32_e64 v16, s[0:1], s12, v16
	v_add_u32_e32 v0, 8, v0
	v_addc_co_u32_e32 v9, vcc, 0, v9, vcc
	v_lshlrev_b64 v[18:19], 4, v[6:7]
	v_addc_co_u32_e64 v17, s[0:1], v1, v17, s[0:1]
	v_cmp_le_i32_e32 vcc, s14, v0
	v_add_co_u32_e64 v18, s[0:1], s2, v18
	v_add_u32_e32 v4, s10, v4
	v_add_u32_e32 v6, s8, v6
	v_addc_co_u32_e64 v19, s[0:1], v3, v19, s[0:1]
	s_or_b64 s[4:5], vcc, s[4:5]
	s_waitcnt vmcnt(1)
	v_subrev_u32_e32 v5, s11, v11
	v_mad_u64_u32 v[20:21], s[0:1], v5, s9, v[2:3]
	global_store_dword v[16:17], v20, off
	s_waitcnt vmcnt(1)
	global_store_dwordx4 v[18:19], v[12:15], off
	s_andn2_b64 exec, exec, s[4:5]
	s_cbranch_execnz .LBB158_5
.LBB158_6:
	s_endpgm
	.section	.rodata,"a",@progbits
	.p2align	6, 0x0
	.amdhsa_kernel _ZN9rocsparseL35gebsr2csr_block_per_row_1_32_kernelILi1024ELi4ELi32E21rocsparse_complex_numIdEEEv20rocsparse_direction_ii21rocsparse_index_base_PKT2_PKiS9_iiS4_PS5_PiSB_
		.amdhsa_group_segment_fixed_size 0
		.amdhsa_private_segment_fixed_size 0
		.amdhsa_kernarg_size 80
		.amdhsa_user_sgpr_count 6
		.amdhsa_user_sgpr_private_segment_buffer 1
		.amdhsa_user_sgpr_dispatch_ptr 0
		.amdhsa_user_sgpr_queue_ptr 0
		.amdhsa_user_sgpr_kernarg_segment_ptr 1
		.amdhsa_user_sgpr_dispatch_id 0
		.amdhsa_user_sgpr_flat_scratch_init 0
		.amdhsa_user_sgpr_kernarg_preload_length 0
		.amdhsa_user_sgpr_kernarg_preload_offset 0
		.amdhsa_user_sgpr_private_segment_size 0
		.amdhsa_uses_dynamic_stack 0
		.amdhsa_system_sgpr_private_segment_wavefront_offset 0
		.amdhsa_system_sgpr_workgroup_id_x 1
		.amdhsa_system_sgpr_workgroup_id_y 0
		.amdhsa_system_sgpr_workgroup_id_z 0
		.amdhsa_system_sgpr_workgroup_info 0
		.amdhsa_system_vgpr_workitem_id 0
		.amdhsa_next_free_vgpr 22
		.amdhsa_next_free_sgpr 19
		.amdhsa_accum_offset 24
		.amdhsa_reserve_vcc 1
		.amdhsa_reserve_flat_scratch 0
		.amdhsa_float_round_mode_32 0
		.amdhsa_float_round_mode_16_64 0
		.amdhsa_float_denorm_mode_32 3
		.amdhsa_float_denorm_mode_16_64 3
		.amdhsa_dx10_clamp 1
		.amdhsa_ieee_mode 1
		.amdhsa_fp16_overflow 0
		.amdhsa_tg_split 0
		.amdhsa_exception_fp_ieee_invalid_op 0
		.amdhsa_exception_fp_denorm_src 0
		.amdhsa_exception_fp_ieee_div_zero 0
		.amdhsa_exception_fp_ieee_overflow 0
		.amdhsa_exception_fp_ieee_underflow 0
		.amdhsa_exception_fp_ieee_inexact 0
		.amdhsa_exception_int_div_zero 0
	.end_amdhsa_kernel
	.section	.text._ZN9rocsparseL35gebsr2csr_block_per_row_1_32_kernelILi1024ELi4ELi32E21rocsparse_complex_numIdEEEv20rocsparse_direction_ii21rocsparse_index_base_PKT2_PKiS9_iiS4_PS5_PiSB_,"axG",@progbits,_ZN9rocsparseL35gebsr2csr_block_per_row_1_32_kernelILi1024ELi4ELi32E21rocsparse_complex_numIdEEEv20rocsparse_direction_ii21rocsparse_index_base_PKT2_PKiS9_iiS4_PS5_PiSB_,comdat
.Lfunc_end158:
	.size	_ZN9rocsparseL35gebsr2csr_block_per_row_1_32_kernelILi1024ELi4ELi32E21rocsparse_complex_numIdEEEv20rocsparse_direction_ii21rocsparse_index_base_PKT2_PKiS9_iiS4_PS5_PiSB_, .Lfunc_end158-_ZN9rocsparseL35gebsr2csr_block_per_row_1_32_kernelILi1024ELi4ELi32E21rocsparse_complex_numIdEEEv20rocsparse_direction_ii21rocsparse_index_base_PKT2_PKiS9_iiS4_PS5_PiSB_
                                        ; -- End function
	.section	.AMDGPU.csdata,"",@progbits
; Kernel info:
; codeLenInByte = 564
; NumSgprs: 23
; NumVgprs: 22
; NumAgprs: 0
; TotalNumVgprs: 22
; ScratchSize: 0
; MemoryBound: 0
; FloatMode: 240
; IeeeMode: 1
; LDSByteSize: 0 bytes/workgroup (compile time only)
; SGPRBlocks: 2
; VGPRBlocks: 2
; NumSGPRsForWavesPerEU: 23
; NumVGPRsForWavesPerEU: 22
; AccumOffset: 24
; Occupancy: 8
; WaveLimiterHint : 0
; COMPUTE_PGM_RSRC2:SCRATCH_EN: 0
; COMPUTE_PGM_RSRC2:USER_SGPR: 6
; COMPUTE_PGM_RSRC2:TRAP_HANDLER: 0
; COMPUTE_PGM_RSRC2:TGID_X_EN: 1
; COMPUTE_PGM_RSRC2:TGID_Y_EN: 0
; COMPUTE_PGM_RSRC2:TGID_Z_EN: 0
; COMPUTE_PGM_RSRC2:TIDIG_COMP_CNT: 0
; COMPUTE_PGM_RSRC3_GFX90A:ACCUM_OFFSET: 5
; COMPUTE_PGM_RSRC3_GFX90A:TG_SPLIT: 0
	.section	.text._ZN9rocsparseL37gebsr2csr_block_per_row_33_128_kernelILi1024ELi4ELi64ELi4ELi32E21rocsparse_complex_numIdEEEv20rocsparse_direction_ii21rocsparse_index_base_PKT4_PKiS9_iiS4_PS5_PiSB_,"axG",@progbits,_ZN9rocsparseL37gebsr2csr_block_per_row_33_128_kernelILi1024ELi4ELi64ELi4ELi32E21rocsparse_complex_numIdEEEv20rocsparse_direction_ii21rocsparse_index_base_PKT4_PKiS9_iiS4_PS5_PiSB_,comdat
	.globl	_ZN9rocsparseL37gebsr2csr_block_per_row_33_128_kernelILi1024ELi4ELi64ELi4ELi32E21rocsparse_complex_numIdEEEv20rocsparse_direction_ii21rocsparse_index_base_PKT4_PKiS9_iiS4_PS5_PiSB_ ; -- Begin function _ZN9rocsparseL37gebsr2csr_block_per_row_33_128_kernelILi1024ELi4ELi64ELi4ELi32E21rocsparse_complex_numIdEEEv20rocsparse_direction_ii21rocsparse_index_base_PKT4_PKiS9_iiS4_PS5_PiSB_
	.p2align	8
	.type	_ZN9rocsparseL37gebsr2csr_block_per_row_33_128_kernelILi1024ELi4ELi64ELi4ELi32E21rocsparse_complex_numIdEEEv20rocsparse_direction_ii21rocsparse_index_base_PKT4_PKiS9_iiS4_PS5_PiSB_,@function
_ZN9rocsparseL37gebsr2csr_block_per_row_33_128_kernelILi1024ELi4ELi64ELi4ELi32E21rocsparse_complex_numIdEEEv20rocsparse_direction_ii21rocsparse_index_base_PKT4_PKiS9_iiS4_PS5_PiSB_: ; @_ZN9rocsparseL37gebsr2csr_block_per_row_33_128_kernelILi1024ELi4ELi64ELi4ELi32E21rocsparse_complex_numIdEEEv20rocsparse_direction_ii21rocsparse_index_base_PKT4_PKiS9_iiS4_PS5_PiSB_
; %bb.0:
	s_load_dwordx2 s[0:1], s[4:5], 0x18
	s_load_dwordx4 s[8:11], s[4:5], 0x28
	s_load_dwordx2 s[2:3], s[4:5], 0x40
	s_ashr_i32 s7, s6, 31
	s_lshl_b64 s[12:13], s[6:7], 2
	s_waitcnt lgkmcnt(0)
	s_add_u32 s0, s0, s12
	s_addc_u32 s1, s1, s13
	s_load_dwordx2 s[14:15], s[0:1], 0x0
	v_or_b32_e32 v1, s6, v0
	v_cmp_eq_u32_e32 vcc, 0, v1
	s_and_saveexec_b64 s[0:1], vcc
	s_cbranch_execz .LBB159_2
; %bb.1:
	v_mov_b32_e32 v1, 0
	v_mov_b32_e32 v2, s10
	global_store_dword v1, v2, s[2:3]
.LBB159_2:
	s_or_b64 exec, exec, s[0:1]
	s_load_dword s11, s[4:5], 0xc
	v_lshrrev_b32_e32 v4, 5, v0
	v_cmp_gt_i32_e64 s[0:1], s8, v4
	s_mul_i32 s23, s9, s8
	s_waitcnt lgkmcnt(0)
	s_sub_i32 s12, s14, s11
	s_sub_i32 s22, s15, s11
	s_and_saveexec_b64 s[16:17], s[0:1]
	s_cbranch_execz .LBB159_4
; %bb.3:
	s_mul_i32 s6, s6, s8
	v_add_u32_e32 v2, s6, v4
	s_mul_i32 s7, s23, s12
	s_sub_i32 s13, s22, s12
	v_ashrrev_i32_e32 v3, 31, v2
	s_mul_i32 s13, s13, s9
	s_add_i32 s7, s7, s10
	v_lshlrev_b64 v[2:3], 2, v[2:3]
	v_mul_lo_u32 v1, s13, v4
	s_add_i32 s7, s7, s13
	v_mov_b32_e32 v5, s3
	v_add_co_u32_e32 v2, vcc, s2, v2
	v_add_u32_e32 v1, s7, v1
	v_addc_co_u32_e32 v3, vcc, v5, v3, vcc
	global_store_dword v[2:3], v1, off offset:4
.LBB159_4:
	s_or_b64 exec, exec, s[16:17]
	s_cmp_ge_i32 s14, s15
	s_cbranch_scc1 .LBB159_11
; %bb.5:
	s_load_dwordx2 s[18:19], s[4:5], 0x20
	s_load_dwordx2 s[6:7], s[4:5], 0x38
	;; [unrolled: 1-line block ×4, first 2 shown]
	s_load_dword s2, s[4:5], 0x0
	s_mul_i32 s13, s8, s12
	v_and_b32_e32 v0, 31, v0
	v_add_u32_e32 v1, s13, v4
	v_mad_u64_u32 v[2:3], s[4:5], s9, v1, v[0:1]
	s_mul_i32 s4, s9, s12
	s_sub_i32 s3, s22, s12
	v_add_u32_e32 v3, s4, v0
	v_mul_lo_u32 v6, s3, v4
	s_waitcnt lgkmcnt(0)
	s_cmp_eq_u32 s2, 0
	v_cmp_gt_i32_e64 s[2:3], s9, v0
	v_mad_u64_u32 v[8:9], s[4:5], s8, v3, v[4:5]
	v_or_b32_e32 v1, 32, v0
	s_cselect_b64 vcc, -1, 0
	s_and_b64 s[4:5], s[0:1], s[2:3]
	v_cmp_gt_i32_e64 s[2:3], s9, v1
	v_add_u32_e32 v3, 32, v3
	s_and_b64 s[2:3], s[0:1], s[2:3]
	v_mad_u64_u32 v[4:5], s[0:1], s8, v3, v[4:5]
	v_add_u32_e32 v3, s13, v6
	v_mad_u64_u32 v[6:7], s[0:1], s9, v3, v[0:1]
	s_ashr_i32 s13, s12, 31
	s_lshl_b64 s[0:1], s[12:13], 2
	s_add_u32 s18, s18, s0
	s_mov_b32 s24, 0
	s_addc_u32 s19, s19, s1
	v_cndmask_b32_e32 v3, v8, v2, vcc
	s_branch .LBB159_7
.LBB159_6:                              ;   in Loop: Header=BB159_7 Depth=1
	s_or_b64 exec, exec, s[20:21]
	s_add_i32 s12, s12, 1
	s_add_i32 s24, s24, s23
	s_add_u32 s18, s18, 4
	s_addc_u32 s19, s19, 0
	s_cmp_ge_i32 s12, s22
	v_add_u32_e32 v6, s9, v6
	s_cbranch_scc1 .LBB159_11
.LBB159_7:                              ; =>This Inner Loop Header: Depth=1
	s_load_dword s0, s[18:19], 0x0
	s_waitcnt lgkmcnt(0)
	s_sub_i32 s0, s0, s11
	s_mul_i32 s8, s0, s9
	s_add_i32 s8, s8, s10
	s_and_saveexec_b64 s[20:21], s[4:5]
	s_cbranch_execz .LBB159_9
; %bb.8:                                ;   in Loop: Header=BB159_7 Depth=1
	v_add_u32_e32 v8, s24, v3
	v_ashrrev_i32_e32 v9, 31, v8
	v_lshlrev_b64 v[8:9], 4, v[8:9]
	v_mov_b32_e32 v5, s17
	v_add_co_u32_e64 v8, s[0:1], s16, v8
	v_addc_co_u32_e64 v9, s[0:1], v5, v9, s[0:1]
	global_load_dwordx4 v[8:11], v[8:9], off
	v_ashrrev_i32_e32 v7, 31, v6
	v_lshlrev_b64 v[12:13], 2, v[6:7]
	v_mov_b32_e32 v14, s15
	v_add_co_u32_e64 v12, s[0:1], s14, v12
	v_add_u32_e32 v5, s8, v0
	v_addc_co_u32_e64 v13, s[0:1], v14, v13, s[0:1]
	global_store_dword v[12:13], v5, off
	v_lshlrev_b64 v[12:13], 4, v[6:7]
	v_mov_b32_e32 v5, s7
	v_add_co_u32_e64 v12, s[0:1], s6, v12
	v_addc_co_u32_e64 v13, s[0:1], v5, v13, s[0:1]
	s_waitcnt vmcnt(1)
	global_store_dwordx4 v[12:13], v[8:11], off
.LBB159_9:                              ;   in Loop: Header=BB159_7 Depth=1
	s_or_b64 exec, exec, s[20:21]
	s_and_saveexec_b64 s[20:21], s[2:3]
	s_cbranch_execz .LBB159_6
; %bb.10:                               ;   in Loop: Header=BB159_7 Depth=1
	v_add3_u32 v5, v2, s24, 32
	v_add_u32_e32 v7, s24, v4
	v_cndmask_b32_e32 v8, v7, v5, vcc
	v_ashrrev_i32_e32 v9, 31, v8
	v_lshlrev_b64 v[8:9], 4, v[8:9]
	v_mov_b32_e32 v5, s17
	v_add_co_u32_e64 v8, s[0:1], s16, v8
	v_addc_co_u32_e64 v9, s[0:1], v5, v9, s[0:1]
	global_load_dwordx4 v[8:11], v[8:9], off
	v_add_u32_e32 v12, 32, v6
	v_ashrrev_i32_e32 v13, 31, v12
	v_lshlrev_b64 v[14:15], 2, v[12:13]
	v_mov_b32_e32 v7, s15
	v_add_co_u32_e64 v14, s[0:1], s14, v14
	v_add_u32_e32 v5, s8, v1
	v_addc_co_u32_e64 v15, s[0:1], v7, v15, s[0:1]
	v_lshlrev_b64 v[12:13], 4, v[12:13]
	global_store_dword v[14:15], v5, off
	v_mov_b32_e32 v5, s7
	v_add_co_u32_e64 v12, s[0:1], s6, v12
	v_addc_co_u32_e64 v13, s[0:1], v5, v13, s[0:1]
	s_waitcnt vmcnt(1)
	global_store_dwordx4 v[12:13], v[8:11], off
	s_branch .LBB159_6
.LBB159_11:
	s_endpgm
	.section	.rodata,"a",@progbits
	.p2align	6, 0x0
	.amdhsa_kernel _ZN9rocsparseL37gebsr2csr_block_per_row_33_128_kernelILi1024ELi4ELi64ELi4ELi32E21rocsparse_complex_numIdEEEv20rocsparse_direction_ii21rocsparse_index_base_PKT4_PKiS9_iiS4_PS5_PiSB_
		.amdhsa_group_segment_fixed_size 0
		.amdhsa_private_segment_fixed_size 0
		.amdhsa_kernarg_size 80
		.amdhsa_user_sgpr_count 6
		.amdhsa_user_sgpr_private_segment_buffer 1
		.amdhsa_user_sgpr_dispatch_ptr 0
		.amdhsa_user_sgpr_queue_ptr 0
		.amdhsa_user_sgpr_kernarg_segment_ptr 1
		.amdhsa_user_sgpr_dispatch_id 0
		.amdhsa_user_sgpr_flat_scratch_init 0
		.amdhsa_user_sgpr_kernarg_preload_length 0
		.amdhsa_user_sgpr_kernarg_preload_offset 0
		.amdhsa_user_sgpr_private_segment_size 0
		.amdhsa_uses_dynamic_stack 0
		.amdhsa_system_sgpr_private_segment_wavefront_offset 0
		.amdhsa_system_sgpr_workgroup_id_x 1
		.amdhsa_system_sgpr_workgroup_id_y 0
		.amdhsa_system_sgpr_workgroup_id_z 0
		.amdhsa_system_sgpr_workgroup_info 0
		.amdhsa_system_vgpr_workitem_id 0
		.amdhsa_next_free_vgpr 16
		.amdhsa_next_free_sgpr 25
		.amdhsa_accum_offset 16
		.amdhsa_reserve_vcc 1
		.amdhsa_reserve_flat_scratch 0
		.amdhsa_float_round_mode_32 0
		.amdhsa_float_round_mode_16_64 0
		.amdhsa_float_denorm_mode_32 3
		.amdhsa_float_denorm_mode_16_64 3
		.amdhsa_dx10_clamp 1
		.amdhsa_ieee_mode 1
		.amdhsa_fp16_overflow 0
		.amdhsa_tg_split 0
		.amdhsa_exception_fp_ieee_invalid_op 0
		.amdhsa_exception_fp_denorm_src 0
		.amdhsa_exception_fp_ieee_div_zero 0
		.amdhsa_exception_fp_ieee_overflow 0
		.amdhsa_exception_fp_ieee_underflow 0
		.amdhsa_exception_fp_ieee_inexact 0
		.amdhsa_exception_int_div_zero 0
	.end_amdhsa_kernel
	.section	.text._ZN9rocsparseL37gebsr2csr_block_per_row_33_128_kernelILi1024ELi4ELi64ELi4ELi32E21rocsparse_complex_numIdEEEv20rocsparse_direction_ii21rocsparse_index_base_PKT4_PKiS9_iiS4_PS5_PiSB_,"axG",@progbits,_ZN9rocsparseL37gebsr2csr_block_per_row_33_128_kernelILi1024ELi4ELi64ELi4ELi32E21rocsparse_complex_numIdEEEv20rocsparse_direction_ii21rocsparse_index_base_PKT4_PKiS9_iiS4_PS5_PiSB_,comdat
.Lfunc_end159:
	.size	_ZN9rocsparseL37gebsr2csr_block_per_row_33_128_kernelILi1024ELi4ELi64ELi4ELi32E21rocsparse_complex_numIdEEEv20rocsparse_direction_ii21rocsparse_index_base_PKT4_PKiS9_iiS4_PS5_PiSB_, .Lfunc_end159-_ZN9rocsparseL37gebsr2csr_block_per_row_33_128_kernelILi1024ELi4ELi64ELi4ELi32E21rocsparse_complex_numIdEEEv20rocsparse_direction_ii21rocsparse_index_base_PKT4_PKiS9_iiS4_PS5_PiSB_
                                        ; -- End function
	.section	.AMDGPU.csdata,"",@progbits
; Kernel info:
; codeLenInByte = 752
; NumSgprs: 29
; NumVgprs: 16
; NumAgprs: 0
; TotalNumVgprs: 16
; ScratchSize: 0
; MemoryBound: 0
; FloatMode: 240
; IeeeMode: 1
; LDSByteSize: 0 bytes/workgroup (compile time only)
; SGPRBlocks: 3
; VGPRBlocks: 1
; NumSGPRsForWavesPerEU: 29
; NumVGPRsForWavesPerEU: 16
; AccumOffset: 16
; Occupancy: 8
; WaveLimiterHint : 0
; COMPUTE_PGM_RSRC2:SCRATCH_EN: 0
; COMPUTE_PGM_RSRC2:USER_SGPR: 6
; COMPUTE_PGM_RSRC2:TRAP_HANDLER: 0
; COMPUTE_PGM_RSRC2:TGID_X_EN: 1
; COMPUTE_PGM_RSRC2:TGID_Y_EN: 0
; COMPUTE_PGM_RSRC2:TGID_Z_EN: 0
; COMPUTE_PGM_RSRC2:TIDIG_COMP_CNT: 0
; COMPUTE_PGM_RSRC3_GFX90A:ACCUM_OFFSET: 3
; COMPUTE_PGM_RSRC3_GFX90A:TG_SPLIT: 0
	.section	.text._ZN9rocsparseL37gebsr2csr_block_per_row_33_128_kernelILi1024ELi4ELi128ELi4ELi32E21rocsparse_complex_numIdEEEv20rocsparse_direction_ii21rocsparse_index_base_PKT4_PKiS9_iiS4_PS5_PiSB_,"axG",@progbits,_ZN9rocsparseL37gebsr2csr_block_per_row_33_128_kernelILi1024ELi4ELi128ELi4ELi32E21rocsparse_complex_numIdEEEv20rocsparse_direction_ii21rocsparse_index_base_PKT4_PKiS9_iiS4_PS5_PiSB_,comdat
	.globl	_ZN9rocsparseL37gebsr2csr_block_per_row_33_128_kernelILi1024ELi4ELi128ELi4ELi32E21rocsparse_complex_numIdEEEv20rocsparse_direction_ii21rocsparse_index_base_PKT4_PKiS9_iiS4_PS5_PiSB_ ; -- Begin function _ZN9rocsparseL37gebsr2csr_block_per_row_33_128_kernelILi1024ELi4ELi128ELi4ELi32E21rocsparse_complex_numIdEEEv20rocsparse_direction_ii21rocsparse_index_base_PKT4_PKiS9_iiS4_PS5_PiSB_
	.p2align	8
	.type	_ZN9rocsparseL37gebsr2csr_block_per_row_33_128_kernelILi1024ELi4ELi128ELi4ELi32E21rocsparse_complex_numIdEEEv20rocsparse_direction_ii21rocsparse_index_base_PKT4_PKiS9_iiS4_PS5_PiSB_,@function
_ZN9rocsparseL37gebsr2csr_block_per_row_33_128_kernelILi1024ELi4ELi128ELi4ELi32E21rocsparse_complex_numIdEEEv20rocsparse_direction_ii21rocsparse_index_base_PKT4_PKiS9_iiS4_PS5_PiSB_: ; @_ZN9rocsparseL37gebsr2csr_block_per_row_33_128_kernelILi1024ELi4ELi128ELi4ELi32E21rocsparse_complex_numIdEEEv20rocsparse_direction_ii21rocsparse_index_base_PKT4_PKiS9_iiS4_PS5_PiSB_
; %bb.0:
	s_load_dwordx2 s[0:1], s[4:5], 0x18
	s_load_dwordx4 s[8:11], s[4:5], 0x28
	s_load_dwordx2 s[2:3], s[4:5], 0x40
	s_ashr_i32 s7, s6, 31
	s_lshl_b64 s[12:13], s[6:7], 2
	s_waitcnt lgkmcnt(0)
	s_add_u32 s0, s0, s12
	s_addc_u32 s1, s1, s13
	s_load_dwordx2 s[14:15], s[0:1], 0x0
	v_or_b32_e32 v1, s6, v0
	v_cmp_eq_u32_e32 vcc, 0, v1
	s_and_saveexec_b64 s[0:1], vcc
	s_cbranch_execz .LBB160_2
; %bb.1:
	v_mov_b32_e32 v1, 0
	v_mov_b32_e32 v2, s10
	global_store_dword v1, v2, s[2:3]
.LBB160_2:
	s_or_b64 exec, exec, s[0:1]
	s_load_dword s11, s[4:5], 0xc
	v_lshrrev_b32_e32 v1, 5, v0
	v_cmp_gt_i32_e64 s[0:1], s8, v1
	s_mul_i32 s27, s9, s8
	s_waitcnt lgkmcnt(0)
	s_sub_i32 s12, s14, s11
	s_sub_i32 s26, s15, s11
	s_and_saveexec_b64 s[16:17], s[0:1]
	s_cbranch_execz .LBB160_4
; %bb.3:
	s_mul_i32 s7, s27, s12
	s_sub_i32 s13, s26, s12
	s_mul_i32 s13, s13, s9
	s_add_i32 s7, s7, s10
	v_mul_lo_u32 v2, s13, v1
	s_add_i32 s7, s7, s13
	s_mul_i32 s6, s6, s8
	v_add_u32_e32 v4, s7, v2
	v_add_u32_e32 v2, s6, v1
	v_ashrrev_i32_e32 v3, 31, v2
	v_lshlrev_b64 v[2:3], 2, v[2:3]
	v_mov_b32_e32 v5, s3
	v_add_co_u32_e32 v2, vcc, s2, v2
	v_addc_co_u32_e32 v3, vcc, v5, v3, vcc
	global_store_dword v[2:3], v4, off offset:4
.LBB160_4:
	s_or_b64 exec, exec, s[16:17]
	s_cmp_ge_i32 s14, s15
	s_cbranch_scc1 .LBB160_15
; %bb.5:
	s_load_dwordx2 s[22:23], s[4:5], 0x20
	s_load_dwordx2 s[6:7], s[4:5], 0x38
	;; [unrolled: 1-line block ×3, first 2 shown]
	s_load_dword s2, s[4:5], 0x0
	s_load_dwordx2 s[16:17], s[4:5], 0x48
	v_and_b32_e32 v0, 31, v0
	s_sub_i32 s3, s26, s12
	v_mul_lo_u32 v10, s3, v1
	s_waitcnt lgkmcnt(0)
	s_cmp_eq_u32 s2, 0
	v_cmp_gt_i32_e64 s[2:3], s9, v0
	v_or_b32_e32 v2, 32, v0
	s_cselect_b64 vcc, -1, 0
	s_and_b64 s[4:5], s[0:1], s[2:3]
	v_cmp_gt_i32_e64 s[2:3], s9, v2
	v_or_b32_e32 v3, 64, v0
	s_and_b64 s[18:19], s[0:1], s[2:3]
	v_cmp_gt_i32_e64 s[2:3], s9, v3
	v_or_b32_e32 v4, 0x60, v0
	s_and_b64 s[20:21], s[0:1], s[2:3]
	v_cmp_gt_i32_e64 s[2:3], s9, v4
	s_and_b64 s[2:3], s[0:1], s[2:3]
	s_mul_i32 s0, s8, s12
	s_mul_i32 s1, s9, s12
	s_ashr_i32 s13, s12, 31
	v_add_u32_e32 v5, s0, v1
	v_add_u32_e32 v9, s1, v0
	v_add_u32_e32 v10, s0, v10
	s_lshl_b64 s[0:1], s[12:13], 2
	v_add_u32_e32 v6, 0x60, v9
	v_add_u32_e32 v7, 64, v9
	;; [unrolled: 1-line block ×3, first 2 shown]
	s_add_u32 s22, s22, s0
	s_movk_i32 s28, 0x60
	v_mul_lo_u32 v5, s9, v5
	v_mul_lo_u32 v6, s8, v6
	;; [unrolled: 1-line block ×6, first 2 shown]
	s_addc_u32 s23, s23, s1
	s_branch .LBB160_7
.LBB160_6:                              ;   in Loop: Header=BB160_7 Depth=1
	s_or_b64 exec, exec, s[24:25]
	s_add_i32 s12, s12, 1
	s_add_u32 s22, s22, 4
	s_addc_u32 s23, s23, 0
	v_add_u32_e32 v5, s27, v5
	v_add_u32_e32 v1, s27, v1
	s_cmp_ge_i32 s12, s26
	v_add_u32_e32 v10, s9, v10
	s_cbranch_scc1 .LBB160_15
.LBB160_7:                              ; =>This Inner Loop Header: Depth=1
	s_load_dword s0, s[22:23], 0x0
	s_waitcnt lgkmcnt(0)
	s_sub_i32 s0, s0, s11
	s_mul_i32 s8, s0, s9
	s_add_i32 s8, s8, s10
	s_and_saveexec_b64 s[24:25], s[4:5]
	s_cbranch_execnz .LBB160_11
; %bb.8:                                ;   in Loop: Header=BB160_7 Depth=1
	s_or_b64 exec, exec, s[24:25]
	s_and_saveexec_b64 s[24:25], s[18:19]
	s_cbranch_execnz .LBB160_12
.LBB160_9:                              ;   in Loop: Header=BB160_7 Depth=1
	s_or_b64 exec, exec, s[24:25]
	s_and_saveexec_b64 s[24:25], s[20:21]
	s_cbranch_execnz .LBB160_13
.LBB160_10:                             ;   in Loop: Header=BB160_7 Depth=1
	s_or_b64 exec, exec, s[24:25]
	s_and_saveexec_b64 s[24:25], s[2:3]
	s_cbranch_execz .LBB160_6
	s_branch .LBB160_14
.LBB160_11:                             ;   in Loop: Header=BB160_7 Depth=1
	v_add_u32_e32 v11, v0, v5
	v_add_u32_e32 v12, v9, v1
	v_cndmask_b32_e32 v12, v12, v11, vcc
	v_ashrrev_i32_e32 v13, 31, v12
	v_lshlrev_b64 v[12:13], 4, v[12:13]
	v_mov_b32_e32 v11, s15
	v_add_co_u32_e64 v12, s[0:1], s14, v12
	v_addc_co_u32_e64 v13, s[0:1], v11, v13, s[0:1]
	global_load_dwordx4 v[12:15], v[12:13], off
	v_add_u32_e32 v16, v0, v10
	v_ashrrev_i32_e32 v17, 31, v16
	v_lshlrev_b64 v[18:19], 2, v[16:17]
	v_mov_b32_e32 v20, s17
	v_add_co_u32_e64 v18, s[0:1], s16, v18
	v_add_u32_e32 v11, s8, v0
	v_addc_co_u32_e64 v19, s[0:1], v20, v19, s[0:1]
	v_lshlrev_b64 v[16:17], 4, v[16:17]
	global_store_dword v[18:19], v11, off
	v_mov_b32_e32 v11, s7
	v_add_co_u32_e64 v16, s[0:1], s6, v16
	v_addc_co_u32_e64 v17, s[0:1], v11, v17, s[0:1]
	s_waitcnt vmcnt(1)
	global_store_dwordx4 v[16:17], v[12:15], off
	s_or_b64 exec, exec, s[24:25]
	s_and_saveexec_b64 s[24:25], s[18:19]
	s_cbranch_execz .LBB160_9
.LBB160_12:                             ;   in Loop: Header=BB160_7 Depth=1
	v_add3_u32 v11, v0, v5, 32
	v_add_u32_e32 v12, v8, v1
	v_cndmask_b32_e32 v12, v12, v11, vcc
	v_ashrrev_i32_e32 v13, 31, v12
	v_lshlrev_b64 v[12:13], 4, v[12:13]
	v_mov_b32_e32 v11, s15
	v_add_co_u32_e64 v12, s[0:1], s14, v12
	v_addc_co_u32_e64 v13, s[0:1], v11, v13, s[0:1]
	global_load_dwordx4 v[12:15], v[12:13], off
	v_add3_u32 v16, v0, v10, 32
	v_ashrrev_i32_e32 v17, 31, v16
	v_lshlrev_b64 v[18:19], 2, v[16:17]
	v_mov_b32_e32 v20, s17
	v_add_co_u32_e64 v18, s[0:1], s16, v18
	v_add_u32_e32 v11, s8, v2
	v_addc_co_u32_e64 v19, s[0:1], v20, v19, s[0:1]
	v_lshlrev_b64 v[16:17], 4, v[16:17]
	global_store_dword v[18:19], v11, off
	v_mov_b32_e32 v11, s7
	v_add_co_u32_e64 v16, s[0:1], s6, v16
	v_addc_co_u32_e64 v17, s[0:1], v11, v17, s[0:1]
	s_waitcnt vmcnt(1)
	global_store_dwordx4 v[16:17], v[12:15], off
	s_or_b64 exec, exec, s[24:25]
	s_and_saveexec_b64 s[24:25], s[20:21]
	s_cbranch_execz .LBB160_10
.LBB160_13:                             ;   in Loop: Header=BB160_7 Depth=1
	v_add3_u32 v11, v0, v5, 64
	v_add_u32_e32 v12, v7, v1
	v_cndmask_b32_e32 v12, v12, v11, vcc
	v_ashrrev_i32_e32 v13, 31, v12
	v_lshlrev_b64 v[12:13], 4, v[12:13]
	v_mov_b32_e32 v11, s15
	v_add_co_u32_e64 v12, s[0:1], s14, v12
	v_addc_co_u32_e64 v13, s[0:1], v11, v13, s[0:1]
	global_load_dwordx4 v[12:15], v[12:13], off
	v_add3_u32 v16, v0, v10, 64
	v_ashrrev_i32_e32 v17, 31, v16
	v_lshlrev_b64 v[18:19], 2, v[16:17]
	v_mov_b32_e32 v20, s17
	v_add_co_u32_e64 v18, s[0:1], s16, v18
	v_add_u32_e32 v11, s8, v3
	v_addc_co_u32_e64 v19, s[0:1], v20, v19, s[0:1]
	v_lshlrev_b64 v[16:17], 4, v[16:17]
	global_store_dword v[18:19], v11, off
	v_mov_b32_e32 v11, s7
	v_add_co_u32_e64 v16, s[0:1], s6, v16
	v_addc_co_u32_e64 v17, s[0:1], v11, v17, s[0:1]
	s_waitcnt vmcnt(1)
	global_store_dwordx4 v[16:17], v[12:15], off
	s_or_b64 exec, exec, s[24:25]
	s_and_saveexec_b64 s[24:25], s[2:3]
	s_cbranch_execz .LBB160_6
.LBB160_14:                             ;   in Loop: Header=BB160_7 Depth=1
	v_add3_u32 v11, v0, v5, s28
	v_add_u32_e32 v12, v6, v1
	v_cndmask_b32_e32 v12, v12, v11, vcc
	v_ashrrev_i32_e32 v13, 31, v12
	v_lshlrev_b64 v[12:13], 4, v[12:13]
	v_mov_b32_e32 v11, s15
	v_add_co_u32_e64 v12, s[0:1], s14, v12
	v_addc_co_u32_e64 v13, s[0:1], v11, v13, s[0:1]
	global_load_dwordx4 v[12:15], v[12:13], off
	v_add3_u32 v16, v0, v10, s28
	v_ashrrev_i32_e32 v17, 31, v16
	v_lshlrev_b64 v[18:19], 2, v[16:17]
	v_mov_b32_e32 v20, s17
	v_add_co_u32_e64 v18, s[0:1], s16, v18
	v_add_u32_e32 v11, s8, v4
	v_addc_co_u32_e64 v19, s[0:1], v20, v19, s[0:1]
	v_lshlrev_b64 v[16:17], 4, v[16:17]
	global_store_dword v[18:19], v11, off
	v_mov_b32_e32 v11, s7
	v_add_co_u32_e64 v16, s[0:1], s6, v16
	v_addc_co_u32_e64 v17, s[0:1], v11, v17, s[0:1]
	s_waitcnt vmcnt(1)
	global_store_dwordx4 v[16:17], v[12:15], off
	s_branch .LBB160_6
.LBB160_15:
	s_endpgm
	.section	.rodata,"a",@progbits
	.p2align	6, 0x0
	.amdhsa_kernel _ZN9rocsparseL37gebsr2csr_block_per_row_33_128_kernelILi1024ELi4ELi128ELi4ELi32E21rocsparse_complex_numIdEEEv20rocsparse_direction_ii21rocsparse_index_base_PKT4_PKiS9_iiS4_PS5_PiSB_
		.amdhsa_group_segment_fixed_size 0
		.amdhsa_private_segment_fixed_size 0
		.amdhsa_kernarg_size 80
		.amdhsa_user_sgpr_count 6
		.amdhsa_user_sgpr_private_segment_buffer 1
		.amdhsa_user_sgpr_dispatch_ptr 0
		.amdhsa_user_sgpr_queue_ptr 0
		.amdhsa_user_sgpr_kernarg_segment_ptr 1
		.amdhsa_user_sgpr_dispatch_id 0
		.amdhsa_user_sgpr_flat_scratch_init 0
		.amdhsa_user_sgpr_kernarg_preload_length 0
		.amdhsa_user_sgpr_kernarg_preload_offset 0
		.amdhsa_user_sgpr_private_segment_size 0
		.amdhsa_uses_dynamic_stack 0
		.amdhsa_system_sgpr_private_segment_wavefront_offset 0
		.amdhsa_system_sgpr_workgroup_id_x 1
		.amdhsa_system_sgpr_workgroup_id_y 0
		.amdhsa_system_sgpr_workgroup_id_z 0
		.amdhsa_system_sgpr_workgroup_info 0
		.amdhsa_system_vgpr_workitem_id 0
		.amdhsa_next_free_vgpr 21
		.amdhsa_next_free_sgpr 29
		.amdhsa_accum_offset 24
		.amdhsa_reserve_vcc 1
		.amdhsa_reserve_flat_scratch 0
		.amdhsa_float_round_mode_32 0
		.amdhsa_float_round_mode_16_64 0
		.amdhsa_float_denorm_mode_32 3
		.amdhsa_float_denorm_mode_16_64 3
		.amdhsa_dx10_clamp 1
		.amdhsa_ieee_mode 1
		.amdhsa_fp16_overflow 0
		.amdhsa_tg_split 0
		.amdhsa_exception_fp_ieee_invalid_op 0
		.amdhsa_exception_fp_denorm_src 0
		.amdhsa_exception_fp_ieee_div_zero 0
		.amdhsa_exception_fp_ieee_overflow 0
		.amdhsa_exception_fp_ieee_underflow 0
		.amdhsa_exception_fp_ieee_inexact 0
		.amdhsa_exception_int_div_zero 0
	.end_amdhsa_kernel
	.section	.text._ZN9rocsparseL37gebsr2csr_block_per_row_33_128_kernelILi1024ELi4ELi128ELi4ELi32E21rocsparse_complex_numIdEEEv20rocsparse_direction_ii21rocsparse_index_base_PKT4_PKiS9_iiS4_PS5_PiSB_,"axG",@progbits,_ZN9rocsparseL37gebsr2csr_block_per_row_33_128_kernelILi1024ELi4ELi128ELi4ELi32E21rocsparse_complex_numIdEEEv20rocsparse_direction_ii21rocsparse_index_base_PKT4_PKiS9_iiS4_PS5_PiSB_,comdat
.Lfunc_end160:
	.size	_ZN9rocsparseL37gebsr2csr_block_per_row_33_128_kernelILi1024ELi4ELi128ELi4ELi32E21rocsparse_complex_numIdEEEv20rocsparse_direction_ii21rocsparse_index_base_PKT4_PKiS9_iiS4_PS5_PiSB_, .Lfunc_end160-_ZN9rocsparseL37gebsr2csr_block_per_row_33_128_kernelILi1024ELi4ELi128ELi4ELi32E21rocsparse_complex_numIdEEEv20rocsparse_direction_ii21rocsparse_index_base_PKT4_PKiS9_iiS4_PS5_PiSB_
                                        ; -- End function
	.section	.AMDGPU.csdata,"",@progbits
; Kernel info:
; codeLenInByte = 1192
; NumSgprs: 33
; NumVgprs: 21
; NumAgprs: 0
; TotalNumVgprs: 21
; ScratchSize: 0
; MemoryBound: 0
; FloatMode: 240
; IeeeMode: 1
; LDSByteSize: 0 bytes/workgroup (compile time only)
; SGPRBlocks: 4
; VGPRBlocks: 2
; NumSGPRsForWavesPerEU: 33
; NumVGPRsForWavesPerEU: 21
; AccumOffset: 24
; Occupancy: 8
; WaveLimiterHint : 0
; COMPUTE_PGM_RSRC2:SCRATCH_EN: 0
; COMPUTE_PGM_RSRC2:USER_SGPR: 6
; COMPUTE_PGM_RSRC2:TRAP_HANDLER: 0
; COMPUTE_PGM_RSRC2:TGID_X_EN: 1
; COMPUTE_PGM_RSRC2:TGID_Y_EN: 0
; COMPUTE_PGM_RSRC2:TGID_Z_EN: 0
; COMPUTE_PGM_RSRC2:TIDIG_COMP_CNT: 0
; COMPUTE_PGM_RSRC3_GFX90A:ACCUM_OFFSET: 5
; COMPUTE_PGM_RSRC3_GFX90A:TG_SPLIT: 0
	.section	.text._ZN9rocsparseL35gebsr2csr_block_per_row_1_32_kernelILi1024ELi8ELi2E21rocsparse_complex_numIdEEEv20rocsparse_direction_ii21rocsparse_index_base_PKT2_PKiS9_iiS4_PS5_PiSB_,"axG",@progbits,_ZN9rocsparseL35gebsr2csr_block_per_row_1_32_kernelILi1024ELi8ELi2E21rocsparse_complex_numIdEEEv20rocsparse_direction_ii21rocsparse_index_base_PKT2_PKiS9_iiS4_PS5_PiSB_,comdat
	.globl	_ZN9rocsparseL35gebsr2csr_block_per_row_1_32_kernelILi1024ELi8ELi2E21rocsparse_complex_numIdEEEv20rocsparse_direction_ii21rocsparse_index_base_PKT2_PKiS9_iiS4_PS5_PiSB_ ; -- Begin function _ZN9rocsparseL35gebsr2csr_block_per_row_1_32_kernelILi1024ELi8ELi2E21rocsparse_complex_numIdEEEv20rocsparse_direction_ii21rocsparse_index_base_PKT2_PKiS9_iiS4_PS5_PiSB_
	.p2align	8
	.type	_ZN9rocsparseL35gebsr2csr_block_per_row_1_32_kernelILi1024ELi8ELi2E21rocsparse_complex_numIdEEEv20rocsparse_direction_ii21rocsparse_index_base_PKT2_PKiS9_iiS4_PS5_PiSB_,@function
_ZN9rocsparseL35gebsr2csr_block_per_row_1_32_kernelILi1024ELi8ELi2E21rocsparse_complex_numIdEEEv20rocsparse_direction_ii21rocsparse_index_base_PKT2_PKiS9_iiS4_PS5_PiSB_: ; @_ZN9rocsparseL35gebsr2csr_block_per_row_1_32_kernelILi1024ELi8ELi2E21rocsparse_complex_numIdEEEv20rocsparse_direction_ii21rocsparse_index_base_PKT2_PKiS9_iiS4_PS5_PiSB_
; %bb.0:
	s_load_dwordx2 s[0:1], s[4:5], 0x18
	s_load_dwordx4 s[8:11], s[4:5], 0x28
	s_load_dwordx2 s[2:3], s[4:5], 0x40
	s_ashr_i32 s7, s6, 31
	s_lshl_b64 s[12:13], s[6:7], 2
	s_waitcnt lgkmcnt(0)
	s_add_u32 s12, s0, s12
	v_or_b32_e32 v1, s6, v0
	s_addc_u32 s13, s1, s13
	v_cmp_eq_u32_e32 vcc, 0, v1
	s_and_saveexec_b64 s[0:1], vcc
	s_cbranch_execz .LBB161_2
; %bb.1:
	v_mov_b32_e32 v1, 0
	v_mov_b32_e32 v2, s10
	global_store_dword v1, v2, s[2:3]
.LBB161_2:
	s_or_b64 exec, exec, s[0:1]
	v_and_b32_e32 v6, 1, v0
	v_bfe_u32 v8, v0, 1, 3
	v_cmp_gt_i32_e32 vcc, s8, v8
	v_cmp_gt_i32_e64 s[0:1], s9, v6
	s_and_b64 s[0:1], vcc, s[0:1]
	s_and_saveexec_b64 s[14:15], s[0:1]
	s_cbranch_execz .LBB161_6
; %bb.3:
	s_load_dwordx2 s[14:15], s[12:13], 0x0
	s_load_dword s11, s[4:5], 0xc
	s_mul_i32 s6, s6, s8
	v_add_u32_e32 v2, s6, v8
	s_mul_i32 s1, s9, s8
	v_ashrrev_i32_e32 v3, 31, v2
	s_waitcnt lgkmcnt(0)
	s_sub_i32 s0, s14, s11
	s_sub_i32 s14, s15, s11
	;; [unrolled: 1-line block ×3, first 2 shown]
	s_mul_i32 s12, s15, s9
	v_lshrrev_b32_e32 v1, 4, v0
	s_mul_i32 s7, s0, s1
	v_mul_lo_u32 v0, s12, v8
	s_add_i32 s12, s12, s10
	v_lshlrev_b64 v[2:3], 2, v[2:3]
	s_add_i32 s12, s12, s7
	v_mov_b32_e32 v4, s3
	v_add_co_u32_e32 v2, vcc, s2, v2
	v_add_u32_e32 v0, s12, v0
	v_addc_co_u32_e32 v3, vcc, v4, v3, vcc
	global_store_dword v[2:3], v0, off offset:4
	v_add_u32_e32 v0, s0, v1
	v_cmp_gt_i32_e32 vcc, s14, v0
	s_and_b64 exec, exec, vcc
	s_cbranch_execz .LBB161_6
; %bb.4:
	s_load_dwordx2 s[16:17], s[4:5], 0x20
	s_load_dwordx2 s[2:3], s[4:5], 0x38
	s_load_dword s18, s[4:5], 0x0
	s_load_dwordx2 s[6:7], s[4:5], 0x10
	s_load_dwordx2 s[12:13], s[4:5], 0x48
	v_mad_u64_u32 v[4:5], s[4:5], v6, s8, v[8:9]
	s_waitcnt lgkmcnt(0)
	s_cmp_eq_u32 s18, 0
	v_mad_u64_u32 v[10:11], s[4:5], v8, s9, v[6:7]
	s_cselect_b64 vcc, -1, 0
	s_mul_i32 s0, s8, s0
	v_mul_lo_u32 v3, s15, v8
	v_cndmask_b32_e32 v4, v4, v10, vcc
	v_add3_u32 v1, v1, s0, v3
	v_add_u32_e32 v2, s10, v6
	v_mad_u64_u32 v[4:5], s[4:5], s1, v0, v[4:5]
	s_lshl_b32 s10, s1, 6
	v_mad_u64_u32 v[6:7], s[0:1], s9, v1, v[6:7]
	v_ashrrev_i32_e32 v1, 31, v0
	v_lshlrev_b64 v[8:9], 2, v[0:1]
	v_mov_b32_e32 v1, s17
	v_add_co_u32_e32 v8, vcc, s16, v8
	s_lshl_b32 s8, s9, 6
	v_addc_co_u32_e32 v9, vcc, v1, v9, vcc
	s_mov_b64 s[4:5], 0
	v_mov_b32_e32 v1, s13
	v_mov_b32_e32 v3, s3
	;; [unrolled: 1-line block ×3, first 2 shown]
.LBB161_5:                              ; =>This Inner Loop Header: Depth=1
	v_ashrrev_i32_e32 v5, 31, v4
	global_load_dword v11, v[8:9], off
	v_lshlrev_b64 v[12:13], 4, v[4:5]
	v_add_co_u32_e32 v12, vcc, s6, v12
	v_addc_co_u32_e32 v13, vcc, v10, v13, vcc
	global_load_dwordx4 v[12:15], v[12:13], off
	v_ashrrev_i32_e32 v7, 31, v6
	v_lshlrev_b64 v[16:17], 2, v[6:7]
	v_add_co_u32_e32 v8, vcc, 0x100, v8
	v_add_co_u32_e64 v16, s[0:1], s12, v16
	v_add_u32_e32 v0, 64, v0
	v_lshlrev_b64 v[18:19], 4, v[6:7]
	v_addc_co_u32_e32 v9, vcc, 0, v9, vcc
	v_addc_co_u32_e64 v17, s[0:1], v1, v17, s[0:1]
	v_cmp_le_i32_e32 vcc, s14, v0
	v_add_co_u32_e64 v18, s[0:1], s2, v18
	v_add_u32_e32 v4, s10, v4
	v_add_u32_e32 v6, s8, v6
	v_addc_co_u32_e64 v19, s[0:1], v3, v19, s[0:1]
	s_or_b64 s[4:5], vcc, s[4:5]
	s_waitcnt vmcnt(1)
	v_subrev_u32_e32 v5, s11, v11
	v_mad_u64_u32 v[20:21], s[0:1], v5, s9, v[2:3]
	global_store_dword v[16:17], v20, off
	s_waitcnt vmcnt(1)
	global_store_dwordx4 v[18:19], v[12:15], off
	s_andn2_b64 exec, exec, s[4:5]
	s_cbranch_execnz .LBB161_5
.LBB161_6:
	s_endpgm
	.section	.rodata,"a",@progbits
	.p2align	6, 0x0
	.amdhsa_kernel _ZN9rocsparseL35gebsr2csr_block_per_row_1_32_kernelILi1024ELi8ELi2E21rocsparse_complex_numIdEEEv20rocsparse_direction_ii21rocsparse_index_base_PKT2_PKiS9_iiS4_PS5_PiSB_
		.amdhsa_group_segment_fixed_size 0
		.amdhsa_private_segment_fixed_size 0
		.amdhsa_kernarg_size 80
		.amdhsa_user_sgpr_count 6
		.amdhsa_user_sgpr_private_segment_buffer 1
		.amdhsa_user_sgpr_dispatch_ptr 0
		.amdhsa_user_sgpr_queue_ptr 0
		.amdhsa_user_sgpr_kernarg_segment_ptr 1
		.amdhsa_user_sgpr_dispatch_id 0
		.amdhsa_user_sgpr_flat_scratch_init 0
		.amdhsa_user_sgpr_kernarg_preload_length 0
		.amdhsa_user_sgpr_kernarg_preload_offset 0
		.amdhsa_user_sgpr_private_segment_size 0
		.amdhsa_uses_dynamic_stack 0
		.amdhsa_system_sgpr_private_segment_wavefront_offset 0
		.amdhsa_system_sgpr_workgroup_id_x 1
		.amdhsa_system_sgpr_workgroup_id_y 0
		.amdhsa_system_sgpr_workgroup_id_z 0
		.amdhsa_system_sgpr_workgroup_info 0
		.amdhsa_system_vgpr_workitem_id 0
		.amdhsa_next_free_vgpr 22
		.amdhsa_next_free_sgpr 19
		.amdhsa_accum_offset 24
		.amdhsa_reserve_vcc 1
		.amdhsa_reserve_flat_scratch 0
		.amdhsa_float_round_mode_32 0
		.amdhsa_float_round_mode_16_64 0
		.amdhsa_float_denorm_mode_32 3
		.amdhsa_float_denorm_mode_16_64 3
		.amdhsa_dx10_clamp 1
		.amdhsa_ieee_mode 1
		.amdhsa_fp16_overflow 0
		.amdhsa_tg_split 0
		.amdhsa_exception_fp_ieee_invalid_op 0
		.amdhsa_exception_fp_denorm_src 0
		.amdhsa_exception_fp_ieee_div_zero 0
		.amdhsa_exception_fp_ieee_overflow 0
		.amdhsa_exception_fp_ieee_underflow 0
		.amdhsa_exception_fp_ieee_inexact 0
		.amdhsa_exception_int_div_zero 0
	.end_amdhsa_kernel
	.section	.text._ZN9rocsparseL35gebsr2csr_block_per_row_1_32_kernelILi1024ELi8ELi2E21rocsparse_complex_numIdEEEv20rocsparse_direction_ii21rocsparse_index_base_PKT2_PKiS9_iiS4_PS5_PiSB_,"axG",@progbits,_ZN9rocsparseL35gebsr2csr_block_per_row_1_32_kernelILi1024ELi8ELi2E21rocsparse_complex_numIdEEEv20rocsparse_direction_ii21rocsparse_index_base_PKT2_PKiS9_iiS4_PS5_PiSB_,comdat
.Lfunc_end161:
	.size	_ZN9rocsparseL35gebsr2csr_block_per_row_1_32_kernelILi1024ELi8ELi2E21rocsparse_complex_numIdEEEv20rocsparse_direction_ii21rocsparse_index_base_PKT2_PKiS9_iiS4_PS5_PiSB_, .Lfunc_end161-_ZN9rocsparseL35gebsr2csr_block_per_row_1_32_kernelILi1024ELi8ELi2E21rocsparse_complex_numIdEEEv20rocsparse_direction_ii21rocsparse_index_base_PKT2_PKiS9_iiS4_PS5_PiSB_
                                        ; -- End function
	.section	.AMDGPU.csdata,"",@progbits
; Kernel info:
; codeLenInByte = 568
; NumSgprs: 23
; NumVgprs: 22
; NumAgprs: 0
; TotalNumVgprs: 22
; ScratchSize: 0
; MemoryBound: 0
; FloatMode: 240
; IeeeMode: 1
; LDSByteSize: 0 bytes/workgroup (compile time only)
; SGPRBlocks: 2
; VGPRBlocks: 2
; NumSGPRsForWavesPerEU: 23
; NumVGPRsForWavesPerEU: 22
; AccumOffset: 24
; Occupancy: 8
; WaveLimiterHint : 0
; COMPUTE_PGM_RSRC2:SCRATCH_EN: 0
; COMPUTE_PGM_RSRC2:USER_SGPR: 6
; COMPUTE_PGM_RSRC2:TRAP_HANDLER: 0
; COMPUTE_PGM_RSRC2:TGID_X_EN: 1
; COMPUTE_PGM_RSRC2:TGID_Y_EN: 0
; COMPUTE_PGM_RSRC2:TGID_Z_EN: 0
; COMPUTE_PGM_RSRC2:TIDIG_COMP_CNT: 0
; COMPUTE_PGM_RSRC3_GFX90A:ACCUM_OFFSET: 5
; COMPUTE_PGM_RSRC3_GFX90A:TG_SPLIT: 0
	.section	.text._ZN9rocsparseL35gebsr2csr_block_per_row_1_32_kernelILi1024ELi8ELi4E21rocsparse_complex_numIdEEEv20rocsparse_direction_ii21rocsparse_index_base_PKT2_PKiS9_iiS4_PS5_PiSB_,"axG",@progbits,_ZN9rocsparseL35gebsr2csr_block_per_row_1_32_kernelILi1024ELi8ELi4E21rocsparse_complex_numIdEEEv20rocsparse_direction_ii21rocsparse_index_base_PKT2_PKiS9_iiS4_PS5_PiSB_,comdat
	.globl	_ZN9rocsparseL35gebsr2csr_block_per_row_1_32_kernelILi1024ELi8ELi4E21rocsparse_complex_numIdEEEv20rocsparse_direction_ii21rocsparse_index_base_PKT2_PKiS9_iiS4_PS5_PiSB_ ; -- Begin function _ZN9rocsparseL35gebsr2csr_block_per_row_1_32_kernelILi1024ELi8ELi4E21rocsparse_complex_numIdEEEv20rocsparse_direction_ii21rocsparse_index_base_PKT2_PKiS9_iiS4_PS5_PiSB_
	.p2align	8
	.type	_ZN9rocsparseL35gebsr2csr_block_per_row_1_32_kernelILi1024ELi8ELi4E21rocsparse_complex_numIdEEEv20rocsparse_direction_ii21rocsparse_index_base_PKT2_PKiS9_iiS4_PS5_PiSB_,@function
_ZN9rocsparseL35gebsr2csr_block_per_row_1_32_kernelILi1024ELi8ELi4E21rocsparse_complex_numIdEEEv20rocsparse_direction_ii21rocsparse_index_base_PKT2_PKiS9_iiS4_PS5_PiSB_: ; @_ZN9rocsparseL35gebsr2csr_block_per_row_1_32_kernelILi1024ELi8ELi4E21rocsparse_complex_numIdEEEv20rocsparse_direction_ii21rocsparse_index_base_PKT2_PKiS9_iiS4_PS5_PiSB_
; %bb.0:
	s_load_dwordx2 s[0:1], s[4:5], 0x18
	s_load_dwordx4 s[8:11], s[4:5], 0x28
	s_load_dwordx2 s[2:3], s[4:5], 0x40
	s_ashr_i32 s7, s6, 31
	s_lshl_b64 s[12:13], s[6:7], 2
	s_waitcnt lgkmcnt(0)
	s_add_u32 s12, s0, s12
	v_or_b32_e32 v1, s6, v0
	s_addc_u32 s13, s1, s13
	v_cmp_eq_u32_e32 vcc, 0, v1
	s_and_saveexec_b64 s[0:1], vcc
	s_cbranch_execz .LBB162_2
; %bb.1:
	v_mov_b32_e32 v1, 0
	v_mov_b32_e32 v2, s10
	global_store_dword v1, v2, s[2:3]
.LBB162_2:
	s_or_b64 exec, exec, s[0:1]
	v_and_b32_e32 v6, 3, v0
	v_bfe_u32 v8, v0, 2, 3
	v_cmp_gt_i32_e32 vcc, s8, v8
	v_cmp_gt_i32_e64 s[0:1], s9, v6
	s_and_b64 s[0:1], vcc, s[0:1]
	s_and_saveexec_b64 s[14:15], s[0:1]
	s_cbranch_execz .LBB162_6
; %bb.3:
	s_load_dwordx2 s[14:15], s[12:13], 0x0
	s_load_dword s11, s[4:5], 0xc
	s_mul_i32 s6, s6, s8
	v_add_u32_e32 v2, s6, v8
	s_mul_i32 s1, s9, s8
	v_ashrrev_i32_e32 v3, 31, v2
	s_waitcnt lgkmcnt(0)
	s_sub_i32 s0, s14, s11
	s_sub_i32 s14, s15, s11
	;; [unrolled: 1-line block ×3, first 2 shown]
	s_mul_i32 s12, s15, s9
	v_lshrrev_b32_e32 v1, 5, v0
	s_mul_i32 s7, s0, s1
	v_mul_lo_u32 v0, s12, v8
	s_add_i32 s12, s12, s10
	v_lshlrev_b64 v[2:3], 2, v[2:3]
	s_add_i32 s12, s12, s7
	v_mov_b32_e32 v4, s3
	v_add_co_u32_e32 v2, vcc, s2, v2
	v_add_u32_e32 v0, s12, v0
	v_addc_co_u32_e32 v3, vcc, v4, v3, vcc
	global_store_dword v[2:3], v0, off offset:4
	v_add_u32_e32 v0, s0, v1
	v_cmp_gt_i32_e32 vcc, s14, v0
	s_and_b64 exec, exec, vcc
	s_cbranch_execz .LBB162_6
; %bb.4:
	s_load_dwordx2 s[16:17], s[4:5], 0x20
	s_load_dwordx2 s[2:3], s[4:5], 0x38
	s_load_dword s18, s[4:5], 0x0
	s_load_dwordx2 s[6:7], s[4:5], 0x10
	s_load_dwordx2 s[12:13], s[4:5], 0x48
	v_mad_u64_u32 v[4:5], s[4:5], v6, s8, v[8:9]
	s_waitcnt lgkmcnt(0)
	s_cmp_eq_u32 s18, 0
	v_mad_u64_u32 v[10:11], s[4:5], v8, s9, v[6:7]
	s_cselect_b64 vcc, -1, 0
	s_mul_i32 s0, s8, s0
	v_mul_lo_u32 v3, s15, v8
	v_cndmask_b32_e32 v4, v4, v10, vcc
	v_add3_u32 v1, v1, s0, v3
	v_add_u32_e32 v2, s10, v6
	v_mad_u64_u32 v[4:5], s[4:5], s1, v0, v[4:5]
	s_lshl_b32 s10, s1, 5
	v_mad_u64_u32 v[6:7], s[0:1], s9, v1, v[6:7]
	v_ashrrev_i32_e32 v1, 31, v0
	v_lshlrev_b64 v[8:9], 2, v[0:1]
	v_mov_b32_e32 v1, s17
	v_add_co_u32_e32 v8, vcc, s16, v8
	s_lshl_b32 s8, s9, 5
	v_addc_co_u32_e32 v9, vcc, v1, v9, vcc
	s_mov_b64 s[4:5], 0
	v_mov_b32_e32 v1, s13
	v_mov_b32_e32 v3, s3
	;; [unrolled: 1-line block ×3, first 2 shown]
.LBB162_5:                              ; =>This Inner Loop Header: Depth=1
	v_ashrrev_i32_e32 v5, 31, v4
	global_load_dword v11, v[8:9], off
	v_lshlrev_b64 v[12:13], 4, v[4:5]
	v_add_co_u32_e32 v12, vcc, s6, v12
	v_addc_co_u32_e32 v13, vcc, v10, v13, vcc
	global_load_dwordx4 v[12:15], v[12:13], off
	v_ashrrev_i32_e32 v7, 31, v6
	v_lshlrev_b64 v[16:17], 2, v[6:7]
	v_add_co_u32_e32 v8, vcc, 0x80, v8
	v_add_co_u32_e64 v16, s[0:1], s12, v16
	v_add_u32_e32 v0, 32, v0
	v_lshlrev_b64 v[18:19], 4, v[6:7]
	v_addc_co_u32_e32 v9, vcc, 0, v9, vcc
	v_addc_co_u32_e64 v17, s[0:1], v1, v17, s[0:1]
	v_cmp_le_i32_e32 vcc, s14, v0
	v_add_co_u32_e64 v18, s[0:1], s2, v18
	v_add_u32_e32 v4, s10, v4
	v_add_u32_e32 v6, s8, v6
	v_addc_co_u32_e64 v19, s[0:1], v3, v19, s[0:1]
	s_or_b64 s[4:5], vcc, s[4:5]
	s_waitcnt vmcnt(1)
	v_subrev_u32_e32 v5, s11, v11
	v_mad_u64_u32 v[20:21], s[0:1], v5, s9, v[2:3]
	global_store_dword v[16:17], v20, off
	s_waitcnt vmcnt(1)
	global_store_dwordx4 v[18:19], v[12:15], off
	s_andn2_b64 exec, exec, s[4:5]
	s_cbranch_execnz .LBB162_5
.LBB162_6:
	s_endpgm
	.section	.rodata,"a",@progbits
	.p2align	6, 0x0
	.amdhsa_kernel _ZN9rocsparseL35gebsr2csr_block_per_row_1_32_kernelILi1024ELi8ELi4E21rocsparse_complex_numIdEEEv20rocsparse_direction_ii21rocsparse_index_base_PKT2_PKiS9_iiS4_PS5_PiSB_
		.amdhsa_group_segment_fixed_size 0
		.amdhsa_private_segment_fixed_size 0
		.amdhsa_kernarg_size 80
		.amdhsa_user_sgpr_count 6
		.amdhsa_user_sgpr_private_segment_buffer 1
		.amdhsa_user_sgpr_dispatch_ptr 0
		.amdhsa_user_sgpr_queue_ptr 0
		.amdhsa_user_sgpr_kernarg_segment_ptr 1
		.amdhsa_user_sgpr_dispatch_id 0
		.amdhsa_user_sgpr_flat_scratch_init 0
		.amdhsa_user_sgpr_kernarg_preload_length 0
		.amdhsa_user_sgpr_kernarg_preload_offset 0
		.amdhsa_user_sgpr_private_segment_size 0
		.amdhsa_uses_dynamic_stack 0
		.amdhsa_system_sgpr_private_segment_wavefront_offset 0
		.amdhsa_system_sgpr_workgroup_id_x 1
		.amdhsa_system_sgpr_workgroup_id_y 0
		.amdhsa_system_sgpr_workgroup_id_z 0
		.amdhsa_system_sgpr_workgroup_info 0
		.amdhsa_system_vgpr_workitem_id 0
		.amdhsa_next_free_vgpr 22
		.amdhsa_next_free_sgpr 19
		.amdhsa_accum_offset 24
		.amdhsa_reserve_vcc 1
		.amdhsa_reserve_flat_scratch 0
		.amdhsa_float_round_mode_32 0
		.amdhsa_float_round_mode_16_64 0
		.amdhsa_float_denorm_mode_32 3
		.amdhsa_float_denorm_mode_16_64 3
		.amdhsa_dx10_clamp 1
		.amdhsa_ieee_mode 1
		.amdhsa_fp16_overflow 0
		.amdhsa_tg_split 0
		.amdhsa_exception_fp_ieee_invalid_op 0
		.amdhsa_exception_fp_denorm_src 0
		.amdhsa_exception_fp_ieee_div_zero 0
		.amdhsa_exception_fp_ieee_overflow 0
		.amdhsa_exception_fp_ieee_underflow 0
		.amdhsa_exception_fp_ieee_inexact 0
		.amdhsa_exception_int_div_zero 0
	.end_amdhsa_kernel
	.section	.text._ZN9rocsparseL35gebsr2csr_block_per_row_1_32_kernelILi1024ELi8ELi4E21rocsparse_complex_numIdEEEv20rocsparse_direction_ii21rocsparse_index_base_PKT2_PKiS9_iiS4_PS5_PiSB_,"axG",@progbits,_ZN9rocsparseL35gebsr2csr_block_per_row_1_32_kernelILi1024ELi8ELi4E21rocsparse_complex_numIdEEEv20rocsparse_direction_ii21rocsparse_index_base_PKT2_PKiS9_iiS4_PS5_PiSB_,comdat
.Lfunc_end162:
	.size	_ZN9rocsparseL35gebsr2csr_block_per_row_1_32_kernelILi1024ELi8ELi4E21rocsparse_complex_numIdEEEv20rocsparse_direction_ii21rocsparse_index_base_PKT2_PKiS9_iiS4_PS5_PiSB_, .Lfunc_end162-_ZN9rocsparseL35gebsr2csr_block_per_row_1_32_kernelILi1024ELi8ELi4E21rocsparse_complex_numIdEEEv20rocsparse_direction_ii21rocsparse_index_base_PKT2_PKiS9_iiS4_PS5_PiSB_
                                        ; -- End function
	.section	.AMDGPU.csdata,"",@progbits
; Kernel info:
; codeLenInByte = 568
; NumSgprs: 23
; NumVgprs: 22
; NumAgprs: 0
; TotalNumVgprs: 22
; ScratchSize: 0
; MemoryBound: 0
; FloatMode: 240
; IeeeMode: 1
; LDSByteSize: 0 bytes/workgroup (compile time only)
; SGPRBlocks: 2
; VGPRBlocks: 2
; NumSGPRsForWavesPerEU: 23
; NumVGPRsForWavesPerEU: 22
; AccumOffset: 24
; Occupancy: 8
; WaveLimiterHint : 0
; COMPUTE_PGM_RSRC2:SCRATCH_EN: 0
; COMPUTE_PGM_RSRC2:USER_SGPR: 6
; COMPUTE_PGM_RSRC2:TRAP_HANDLER: 0
; COMPUTE_PGM_RSRC2:TGID_X_EN: 1
; COMPUTE_PGM_RSRC2:TGID_Y_EN: 0
; COMPUTE_PGM_RSRC2:TGID_Z_EN: 0
; COMPUTE_PGM_RSRC2:TIDIG_COMP_CNT: 0
; COMPUTE_PGM_RSRC3_GFX90A:ACCUM_OFFSET: 5
; COMPUTE_PGM_RSRC3_GFX90A:TG_SPLIT: 0
	.section	.text._ZN9rocsparseL35gebsr2csr_block_per_row_1_32_kernelILi1024ELi8ELi8E21rocsparse_complex_numIdEEEv20rocsparse_direction_ii21rocsparse_index_base_PKT2_PKiS9_iiS4_PS5_PiSB_,"axG",@progbits,_ZN9rocsparseL35gebsr2csr_block_per_row_1_32_kernelILi1024ELi8ELi8E21rocsparse_complex_numIdEEEv20rocsparse_direction_ii21rocsparse_index_base_PKT2_PKiS9_iiS4_PS5_PiSB_,comdat
	.globl	_ZN9rocsparseL35gebsr2csr_block_per_row_1_32_kernelILi1024ELi8ELi8E21rocsparse_complex_numIdEEEv20rocsparse_direction_ii21rocsparse_index_base_PKT2_PKiS9_iiS4_PS5_PiSB_ ; -- Begin function _ZN9rocsparseL35gebsr2csr_block_per_row_1_32_kernelILi1024ELi8ELi8E21rocsparse_complex_numIdEEEv20rocsparse_direction_ii21rocsparse_index_base_PKT2_PKiS9_iiS4_PS5_PiSB_
	.p2align	8
	.type	_ZN9rocsparseL35gebsr2csr_block_per_row_1_32_kernelILi1024ELi8ELi8E21rocsparse_complex_numIdEEEv20rocsparse_direction_ii21rocsparse_index_base_PKT2_PKiS9_iiS4_PS5_PiSB_,@function
_ZN9rocsparseL35gebsr2csr_block_per_row_1_32_kernelILi1024ELi8ELi8E21rocsparse_complex_numIdEEEv20rocsparse_direction_ii21rocsparse_index_base_PKT2_PKiS9_iiS4_PS5_PiSB_: ; @_ZN9rocsparseL35gebsr2csr_block_per_row_1_32_kernelILi1024ELi8ELi8E21rocsparse_complex_numIdEEEv20rocsparse_direction_ii21rocsparse_index_base_PKT2_PKiS9_iiS4_PS5_PiSB_
; %bb.0:
	s_load_dwordx2 s[0:1], s[4:5], 0x18
	s_load_dwordx4 s[8:11], s[4:5], 0x28
	s_load_dwordx2 s[2:3], s[4:5], 0x40
	s_ashr_i32 s7, s6, 31
	s_lshl_b64 s[12:13], s[6:7], 2
	s_waitcnt lgkmcnt(0)
	s_add_u32 s12, s0, s12
	v_or_b32_e32 v1, s6, v0
	s_addc_u32 s13, s1, s13
	v_cmp_eq_u32_e32 vcc, 0, v1
	s_and_saveexec_b64 s[0:1], vcc
	s_cbranch_execz .LBB163_2
; %bb.1:
	v_mov_b32_e32 v1, 0
	v_mov_b32_e32 v2, s10
	global_store_dword v1, v2, s[2:3]
.LBB163_2:
	s_or_b64 exec, exec, s[0:1]
	v_and_b32_e32 v6, 7, v0
	v_bfe_u32 v8, v0, 3, 3
	v_cmp_gt_i32_e32 vcc, s8, v8
	v_cmp_gt_i32_e64 s[0:1], s9, v6
	s_and_b64 s[0:1], vcc, s[0:1]
	s_and_saveexec_b64 s[14:15], s[0:1]
	s_cbranch_execz .LBB163_6
; %bb.3:
	s_load_dwordx2 s[14:15], s[12:13], 0x0
	s_load_dword s11, s[4:5], 0xc
	s_mul_i32 s6, s6, s8
	v_add_u32_e32 v2, s6, v8
	s_mul_i32 s1, s9, s8
	v_ashrrev_i32_e32 v3, 31, v2
	s_waitcnt lgkmcnt(0)
	s_sub_i32 s0, s14, s11
	s_sub_i32 s14, s15, s11
	;; [unrolled: 1-line block ×3, first 2 shown]
	s_mul_i32 s12, s15, s9
	v_lshrrev_b32_e32 v1, 6, v0
	s_mul_i32 s7, s0, s1
	v_mul_lo_u32 v0, s12, v8
	s_add_i32 s12, s12, s10
	v_lshlrev_b64 v[2:3], 2, v[2:3]
	s_add_i32 s12, s12, s7
	v_mov_b32_e32 v4, s3
	v_add_co_u32_e32 v2, vcc, s2, v2
	v_add_u32_e32 v0, s12, v0
	v_addc_co_u32_e32 v3, vcc, v4, v3, vcc
	global_store_dword v[2:3], v0, off offset:4
	v_add_u32_e32 v0, s0, v1
	v_cmp_gt_i32_e32 vcc, s14, v0
	s_and_b64 exec, exec, vcc
	s_cbranch_execz .LBB163_6
; %bb.4:
	s_load_dwordx2 s[16:17], s[4:5], 0x20
	s_load_dwordx2 s[2:3], s[4:5], 0x38
	s_load_dword s18, s[4:5], 0x0
	s_load_dwordx2 s[6:7], s[4:5], 0x10
	s_load_dwordx2 s[12:13], s[4:5], 0x48
	v_mad_u64_u32 v[4:5], s[4:5], v6, s8, v[8:9]
	s_waitcnt lgkmcnt(0)
	s_cmp_eq_u32 s18, 0
	v_mad_u64_u32 v[10:11], s[4:5], v8, s9, v[6:7]
	s_cselect_b64 vcc, -1, 0
	s_mul_i32 s0, s8, s0
	v_mul_lo_u32 v3, s15, v8
	v_cndmask_b32_e32 v4, v4, v10, vcc
	v_add3_u32 v1, v1, s0, v3
	v_add_u32_e32 v2, s10, v6
	v_mad_u64_u32 v[4:5], s[4:5], s1, v0, v[4:5]
	s_lshl_b32 s10, s1, 4
	v_mad_u64_u32 v[6:7], s[0:1], s9, v1, v[6:7]
	v_ashrrev_i32_e32 v1, 31, v0
	v_lshlrev_b64 v[8:9], 2, v[0:1]
	v_mov_b32_e32 v1, s17
	v_add_co_u32_e32 v8, vcc, s16, v8
	s_lshl_b32 s8, s9, 4
	v_addc_co_u32_e32 v9, vcc, v1, v9, vcc
	s_mov_b64 s[4:5], 0
	v_mov_b32_e32 v1, s13
	v_mov_b32_e32 v3, s3
	;; [unrolled: 1-line block ×3, first 2 shown]
.LBB163_5:                              ; =>This Inner Loop Header: Depth=1
	v_ashrrev_i32_e32 v5, 31, v4
	global_load_dword v11, v[8:9], off
	v_lshlrev_b64 v[12:13], 4, v[4:5]
	v_add_co_u32_e32 v12, vcc, s6, v12
	v_addc_co_u32_e32 v13, vcc, v10, v13, vcc
	global_load_dwordx4 v[12:15], v[12:13], off
	v_ashrrev_i32_e32 v7, 31, v6
	v_lshlrev_b64 v[16:17], 2, v[6:7]
	v_add_co_u32_e32 v8, vcc, 64, v8
	v_add_co_u32_e64 v16, s[0:1], s12, v16
	v_add_u32_e32 v0, 16, v0
	v_addc_co_u32_e32 v9, vcc, 0, v9, vcc
	v_lshlrev_b64 v[18:19], 4, v[6:7]
	v_addc_co_u32_e64 v17, s[0:1], v1, v17, s[0:1]
	v_cmp_le_i32_e32 vcc, s14, v0
	v_add_co_u32_e64 v18, s[0:1], s2, v18
	v_add_u32_e32 v4, s10, v4
	v_add_u32_e32 v6, s8, v6
	v_addc_co_u32_e64 v19, s[0:1], v3, v19, s[0:1]
	s_or_b64 s[4:5], vcc, s[4:5]
	s_waitcnt vmcnt(1)
	v_subrev_u32_e32 v5, s11, v11
	v_mad_u64_u32 v[20:21], s[0:1], v5, s9, v[2:3]
	global_store_dword v[16:17], v20, off
	s_waitcnt vmcnt(1)
	global_store_dwordx4 v[18:19], v[12:15], off
	s_andn2_b64 exec, exec, s[4:5]
	s_cbranch_execnz .LBB163_5
.LBB163_6:
	s_endpgm
	.section	.rodata,"a",@progbits
	.p2align	6, 0x0
	.amdhsa_kernel _ZN9rocsparseL35gebsr2csr_block_per_row_1_32_kernelILi1024ELi8ELi8E21rocsparse_complex_numIdEEEv20rocsparse_direction_ii21rocsparse_index_base_PKT2_PKiS9_iiS4_PS5_PiSB_
		.amdhsa_group_segment_fixed_size 0
		.amdhsa_private_segment_fixed_size 0
		.amdhsa_kernarg_size 80
		.amdhsa_user_sgpr_count 6
		.amdhsa_user_sgpr_private_segment_buffer 1
		.amdhsa_user_sgpr_dispatch_ptr 0
		.amdhsa_user_sgpr_queue_ptr 0
		.amdhsa_user_sgpr_kernarg_segment_ptr 1
		.amdhsa_user_sgpr_dispatch_id 0
		.amdhsa_user_sgpr_flat_scratch_init 0
		.amdhsa_user_sgpr_kernarg_preload_length 0
		.amdhsa_user_sgpr_kernarg_preload_offset 0
		.amdhsa_user_sgpr_private_segment_size 0
		.amdhsa_uses_dynamic_stack 0
		.amdhsa_system_sgpr_private_segment_wavefront_offset 0
		.amdhsa_system_sgpr_workgroup_id_x 1
		.amdhsa_system_sgpr_workgroup_id_y 0
		.amdhsa_system_sgpr_workgroup_id_z 0
		.amdhsa_system_sgpr_workgroup_info 0
		.amdhsa_system_vgpr_workitem_id 0
		.amdhsa_next_free_vgpr 22
		.amdhsa_next_free_sgpr 19
		.amdhsa_accum_offset 24
		.amdhsa_reserve_vcc 1
		.amdhsa_reserve_flat_scratch 0
		.amdhsa_float_round_mode_32 0
		.amdhsa_float_round_mode_16_64 0
		.amdhsa_float_denorm_mode_32 3
		.amdhsa_float_denorm_mode_16_64 3
		.amdhsa_dx10_clamp 1
		.amdhsa_ieee_mode 1
		.amdhsa_fp16_overflow 0
		.amdhsa_tg_split 0
		.amdhsa_exception_fp_ieee_invalid_op 0
		.amdhsa_exception_fp_denorm_src 0
		.amdhsa_exception_fp_ieee_div_zero 0
		.amdhsa_exception_fp_ieee_overflow 0
		.amdhsa_exception_fp_ieee_underflow 0
		.amdhsa_exception_fp_ieee_inexact 0
		.amdhsa_exception_int_div_zero 0
	.end_amdhsa_kernel
	.section	.text._ZN9rocsparseL35gebsr2csr_block_per_row_1_32_kernelILi1024ELi8ELi8E21rocsparse_complex_numIdEEEv20rocsparse_direction_ii21rocsparse_index_base_PKT2_PKiS9_iiS4_PS5_PiSB_,"axG",@progbits,_ZN9rocsparseL35gebsr2csr_block_per_row_1_32_kernelILi1024ELi8ELi8E21rocsparse_complex_numIdEEEv20rocsparse_direction_ii21rocsparse_index_base_PKT2_PKiS9_iiS4_PS5_PiSB_,comdat
.Lfunc_end163:
	.size	_ZN9rocsparseL35gebsr2csr_block_per_row_1_32_kernelILi1024ELi8ELi8E21rocsparse_complex_numIdEEEv20rocsparse_direction_ii21rocsparse_index_base_PKT2_PKiS9_iiS4_PS5_PiSB_, .Lfunc_end163-_ZN9rocsparseL35gebsr2csr_block_per_row_1_32_kernelILi1024ELi8ELi8E21rocsparse_complex_numIdEEEv20rocsparse_direction_ii21rocsparse_index_base_PKT2_PKiS9_iiS4_PS5_PiSB_
                                        ; -- End function
	.section	.AMDGPU.csdata,"",@progbits
; Kernel info:
; codeLenInByte = 564
; NumSgprs: 23
; NumVgprs: 22
; NumAgprs: 0
; TotalNumVgprs: 22
; ScratchSize: 0
; MemoryBound: 0
; FloatMode: 240
; IeeeMode: 1
; LDSByteSize: 0 bytes/workgroup (compile time only)
; SGPRBlocks: 2
; VGPRBlocks: 2
; NumSGPRsForWavesPerEU: 23
; NumVGPRsForWavesPerEU: 22
; AccumOffset: 24
; Occupancy: 8
; WaveLimiterHint : 0
; COMPUTE_PGM_RSRC2:SCRATCH_EN: 0
; COMPUTE_PGM_RSRC2:USER_SGPR: 6
; COMPUTE_PGM_RSRC2:TRAP_HANDLER: 0
; COMPUTE_PGM_RSRC2:TGID_X_EN: 1
; COMPUTE_PGM_RSRC2:TGID_Y_EN: 0
; COMPUTE_PGM_RSRC2:TGID_Z_EN: 0
; COMPUTE_PGM_RSRC2:TIDIG_COMP_CNT: 0
; COMPUTE_PGM_RSRC3_GFX90A:ACCUM_OFFSET: 5
; COMPUTE_PGM_RSRC3_GFX90A:TG_SPLIT: 0
	.section	.text._ZN9rocsparseL35gebsr2csr_block_per_row_1_32_kernelILi1024ELi8ELi16E21rocsparse_complex_numIdEEEv20rocsparse_direction_ii21rocsparse_index_base_PKT2_PKiS9_iiS4_PS5_PiSB_,"axG",@progbits,_ZN9rocsparseL35gebsr2csr_block_per_row_1_32_kernelILi1024ELi8ELi16E21rocsparse_complex_numIdEEEv20rocsparse_direction_ii21rocsparse_index_base_PKT2_PKiS9_iiS4_PS5_PiSB_,comdat
	.globl	_ZN9rocsparseL35gebsr2csr_block_per_row_1_32_kernelILi1024ELi8ELi16E21rocsparse_complex_numIdEEEv20rocsparse_direction_ii21rocsparse_index_base_PKT2_PKiS9_iiS4_PS5_PiSB_ ; -- Begin function _ZN9rocsparseL35gebsr2csr_block_per_row_1_32_kernelILi1024ELi8ELi16E21rocsparse_complex_numIdEEEv20rocsparse_direction_ii21rocsparse_index_base_PKT2_PKiS9_iiS4_PS5_PiSB_
	.p2align	8
	.type	_ZN9rocsparseL35gebsr2csr_block_per_row_1_32_kernelILi1024ELi8ELi16E21rocsparse_complex_numIdEEEv20rocsparse_direction_ii21rocsparse_index_base_PKT2_PKiS9_iiS4_PS5_PiSB_,@function
_ZN9rocsparseL35gebsr2csr_block_per_row_1_32_kernelILi1024ELi8ELi16E21rocsparse_complex_numIdEEEv20rocsparse_direction_ii21rocsparse_index_base_PKT2_PKiS9_iiS4_PS5_PiSB_: ; @_ZN9rocsparseL35gebsr2csr_block_per_row_1_32_kernelILi1024ELi8ELi16E21rocsparse_complex_numIdEEEv20rocsparse_direction_ii21rocsparse_index_base_PKT2_PKiS9_iiS4_PS5_PiSB_
; %bb.0:
	s_load_dwordx2 s[0:1], s[4:5], 0x18
	s_load_dwordx4 s[8:11], s[4:5], 0x28
	s_load_dwordx2 s[2:3], s[4:5], 0x40
	s_ashr_i32 s7, s6, 31
	s_lshl_b64 s[12:13], s[6:7], 2
	s_waitcnt lgkmcnt(0)
	s_add_u32 s12, s0, s12
	v_or_b32_e32 v1, s6, v0
	s_addc_u32 s13, s1, s13
	v_cmp_eq_u32_e32 vcc, 0, v1
	s_and_saveexec_b64 s[0:1], vcc
	s_cbranch_execz .LBB164_2
; %bb.1:
	v_mov_b32_e32 v1, 0
	v_mov_b32_e32 v2, s10
	global_store_dword v1, v2, s[2:3]
.LBB164_2:
	s_or_b64 exec, exec, s[0:1]
	v_and_b32_e32 v6, 15, v0
	v_bfe_u32 v8, v0, 4, 3
	v_cmp_gt_i32_e32 vcc, s8, v8
	v_cmp_gt_i32_e64 s[0:1], s9, v6
	s_and_b64 s[0:1], vcc, s[0:1]
	s_and_saveexec_b64 s[14:15], s[0:1]
	s_cbranch_execz .LBB164_6
; %bb.3:
	s_load_dwordx2 s[14:15], s[12:13], 0x0
	s_load_dword s11, s[4:5], 0xc
	s_mul_i32 s6, s6, s8
	v_add_u32_e32 v2, s6, v8
	s_mul_i32 s1, s9, s8
	v_ashrrev_i32_e32 v3, 31, v2
	s_waitcnt lgkmcnt(0)
	s_sub_i32 s0, s14, s11
	s_sub_i32 s14, s15, s11
	;; [unrolled: 1-line block ×3, first 2 shown]
	s_mul_i32 s12, s15, s9
	v_lshrrev_b32_e32 v1, 7, v0
	s_mul_i32 s7, s0, s1
	v_mul_lo_u32 v0, s12, v8
	s_add_i32 s12, s12, s10
	v_lshlrev_b64 v[2:3], 2, v[2:3]
	s_add_i32 s12, s12, s7
	v_mov_b32_e32 v4, s3
	v_add_co_u32_e32 v2, vcc, s2, v2
	v_add_u32_e32 v0, s12, v0
	v_addc_co_u32_e32 v3, vcc, v4, v3, vcc
	global_store_dword v[2:3], v0, off offset:4
	v_add_u32_e32 v0, s0, v1
	v_cmp_gt_i32_e32 vcc, s14, v0
	s_and_b64 exec, exec, vcc
	s_cbranch_execz .LBB164_6
; %bb.4:
	s_load_dwordx2 s[16:17], s[4:5], 0x20
	s_load_dwordx2 s[2:3], s[4:5], 0x38
	s_load_dword s18, s[4:5], 0x0
	s_load_dwordx2 s[6:7], s[4:5], 0x10
	s_load_dwordx2 s[12:13], s[4:5], 0x48
	v_mad_u64_u32 v[4:5], s[4:5], v6, s8, v[8:9]
	s_waitcnt lgkmcnt(0)
	s_cmp_eq_u32 s18, 0
	v_mad_u64_u32 v[10:11], s[4:5], v8, s9, v[6:7]
	s_cselect_b64 vcc, -1, 0
	s_mul_i32 s0, s8, s0
	v_mul_lo_u32 v3, s15, v8
	v_cndmask_b32_e32 v4, v4, v10, vcc
	v_add3_u32 v1, v1, s0, v3
	v_add_u32_e32 v2, s10, v6
	v_mad_u64_u32 v[4:5], s[4:5], s1, v0, v[4:5]
	s_lshl_b32 s10, s1, 3
	v_mad_u64_u32 v[6:7], s[0:1], s9, v1, v[6:7]
	v_ashrrev_i32_e32 v1, 31, v0
	v_lshlrev_b64 v[8:9], 2, v[0:1]
	v_mov_b32_e32 v1, s17
	v_add_co_u32_e32 v8, vcc, s16, v8
	s_lshl_b32 s8, s9, 3
	v_addc_co_u32_e32 v9, vcc, v1, v9, vcc
	s_mov_b64 s[4:5], 0
	v_mov_b32_e32 v1, s13
	v_mov_b32_e32 v3, s3
	;; [unrolled: 1-line block ×3, first 2 shown]
.LBB164_5:                              ; =>This Inner Loop Header: Depth=1
	v_ashrrev_i32_e32 v5, 31, v4
	global_load_dword v11, v[8:9], off
	v_lshlrev_b64 v[12:13], 4, v[4:5]
	v_add_co_u32_e32 v12, vcc, s6, v12
	v_addc_co_u32_e32 v13, vcc, v10, v13, vcc
	global_load_dwordx4 v[12:15], v[12:13], off
	v_ashrrev_i32_e32 v7, 31, v6
	v_lshlrev_b64 v[16:17], 2, v[6:7]
	v_add_co_u32_e32 v8, vcc, 32, v8
	v_add_co_u32_e64 v16, s[0:1], s12, v16
	v_add_u32_e32 v0, 8, v0
	v_addc_co_u32_e32 v9, vcc, 0, v9, vcc
	v_lshlrev_b64 v[18:19], 4, v[6:7]
	v_addc_co_u32_e64 v17, s[0:1], v1, v17, s[0:1]
	v_cmp_le_i32_e32 vcc, s14, v0
	v_add_co_u32_e64 v18, s[0:1], s2, v18
	v_add_u32_e32 v4, s10, v4
	v_add_u32_e32 v6, s8, v6
	v_addc_co_u32_e64 v19, s[0:1], v3, v19, s[0:1]
	s_or_b64 s[4:5], vcc, s[4:5]
	s_waitcnt vmcnt(1)
	v_subrev_u32_e32 v5, s11, v11
	v_mad_u64_u32 v[20:21], s[0:1], v5, s9, v[2:3]
	global_store_dword v[16:17], v20, off
	s_waitcnt vmcnt(1)
	global_store_dwordx4 v[18:19], v[12:15], off
	s_andn2_b64 exec, exec, s[4:5]
	s_cbranch_execnz .LBB164_5
.LBB164_6:
	s_endpgm
	.section	.rodata,"a",@progbits
	.p2align	6, 0x0
	.amdhsa_kernel _ZN9rocsparseL35gebsr2csr_block_per_row_1_32_kernelILi1024ELi8ELi16E21rocsparse_complex_numIdEEEv20rocsparse_direction_ii21rocsparse_index_base_PKT2_PKiS9_iiS4_PS5_PiSB_
		.amdhsa_group_segment_fixed_size 0
		.amdhsa_private_segment_fixed_size 0
		.amdhsa_kernarg_size 80
		.amdhsa_user_sgpr_count 6
		.amdhsa_user_sgpr_private_segment_buffer 1
		.amdhsa_user_sgpr_dispatch_ptr 0
		.amdhsa_user_sgpr_queue_ptr 0
		.amdhsa_user_sgpr_kernarg_segment_ptr 1
		.amdhsa_user_sgpr_dispatch_id 0
		.amdhsa_user_sgpr_flat_scratch_init 0
		.amdhsa_user_sgpr_kernarg_preload_length 0
		.amdhsa_user_sgpr_kernarg_preload_offset 0
		.amdhsa_user_sgpr_private_segment_size 0
		.amdhsa_uses_dynamic_stack 0
		.amdhsa_system_sgpr_private_segment_wavefront_offset 0
		.amdhsa_system_sgpr_workgroup_id_x 1
		.amdhsa_system_sgpr_workgroup_id_y 0
		.amdhsa_system_sgpr_workgroup_id_z 0
		.amdhsa_system_sgpr_workgroup_info 0
		.amdhsa_system_vgpr_workitem_id 0
		.amdhsa_next_free_vgpr 22
		.amdhsa_next_free_sgpr 19
		.amdhsa_accum_offset 24
		.amdhsa_reserve_vcc 1
		.amdhsa_reserve_flat_scratch 0
		.amdhsa_float_round_mode_32 0
		.amdhsa_float_round_mode_16_64 0
		.amdhsa_float_denorm_mode_32 3
		.amdhsa_float_denorm_mode_16_64 3
		.amdhsa_dx10_clamp 1
		.amdhsa_ieee_mode 1
		.amdhsa_fp16_overflow 0
		.amdhsa_tg_split 0
		.amdhsa_exception_fp_ieee_invalid_op 0
		.amdhsa_exception_fp_denorm_src 0
		.amdhsa_exception_fp_ieee_div_zero 0
		.amdhsa_exception_fp_ieee_overflow 0
		.amdhsa_exception_fp_ieee_underflow 0
		.amdhsa_exception_fp_ieee_inexact 0
		.amdhsa_exception_int_div_zero 0
	.end_amdhsa_kernel
	.section	.text._ZN9rocsparseL35gebsr2csr_block_per_row_1_32_kernelILi1024ELi8ELi16E21rocsparse_complex_numIdEEEv20rocsparse_direction_ii21rocsparse_index_base_PKT2_PKiS9_iiS4_PS5_PiSB_,"axG",@progbits,_ZN9rocsparseL35gebsr2csr_block_per_row_1_32_kernelILi1024ELi8ELi16E21rocsparse_complex_numIdEEEv20rocsparse_direction_ii21rocsparse_index_base_PKT2_PKiS9_iiS4_PS5_PiSB_,comdat
.Lfunc_end164:
	.size	_ZN9rocsparseL35gebsr2csr_block_per_row_1_32_kernelILi1024ELi8ELi16E21rocsparse_complex_numIdEEEv20rocsparse_direction_ii21rocsparse_index_base_PKT2_PKiS9_iiS4_PS5_PiSB_, .Lfunc_end164-_ZN9rocsparseL35gebsr2csr_block_per_row_1_32_kernelILi1024ELi8ELi16E21rocsparse_complex_numIdEEEv20rocsparse_direction_ii21rocsparse_index_base_PKT2_PKiS9_iiS4_PS5_PiSB_
                                        ; -- End function
	.section	.AMDGPU.csdata,"",@progbits
; Kernel info:
; codeLenInByte = 564
; NumSgprs: 23
; NumVgprs: 22
; NumAgprs: 0
; TotalNumVgprs: 22
; ScratchSize: 0
; MemoryBound: 0
; FloatMode: 240
; IeeeMode: 1
; LDSByteSize: 0 bytes/workgroup (compile time only)
; SGPRBlocks: 2
; VGPRBlocks: 2
; NumSGPRsForWavesPerEU: 23
; NumVGPRsForWavesPerEU: 22
; AccumOffset: 24
; Occupancy: 8
; WaveLimiterHint : 0
; COMPUTE_PGM_RSRC2:SCRATCH_EN: 0
; COMPUTE_PGM_RSRC2:USER_SGPR: 6
; COMPUTE_PGM_RSRC2:TRAP_HANDLER: 0
; COMPUTE_PGM_RSRC2:TGID_X_EN: 1
; COMPUTE_PGM_RSRC2:TGID_Y_EN: 0
; COMPUTE_PGM_RSRC2:TGID_Z_EN: 0
; COMPUTE_PGM_RSRC2:TIDIG_COMP_CNT: 0
; COMPUTE_PGM_RSRC3_GFX90A:ACCUM_OFFSET: 5
; COMPUTE_PGM_RSRC3_GFX90A:TG_SPLIT: 0
	.section	.text._ZN9rocsparseL35gebsr2csr_block_per_row_1_32_kernelILi1024ELi8ELi32E21rocsparse_complex_numIdEEEv20rocsparse_direction_ii21rocsparse_index_base_PKT2_PKiS9_iiS4_PS5_PiSB_,"axG",@progbits,_ZN9rocsparseL35gebsr2csr_block_per_row_1_32_kernelILi1024ELi8ELi32E21rocsparse_complex_numIdEEEv20rocsparse_direction_ii21rocsparse_index_base_PKT2_PKiS9_iiS4_PS5_PiSB_,comdat
	.globl	_ZN9rocsparseL35gebsr2csr_block_per_row_1_32_kernelILi1024ELi8ELi32E21rocsparse_complex_numIdEEEv20rocsparse_direction_ii21rocsparse_index_base_PKT2_PKiS9_iiS4_PS5_PiSB_ ; -- Begin function _ZN9rocsparseL35gebsr2csr_block_per_row_1_32_kernelILi1024ELi8ELi32E21rocsparse_complex_numIdEEEv20rocsparse_direction_ii21rocsparse_index_base_PKT2_PKiS9_iiS4_PS5_PiSB_
	.p2align	8
	.type	_ZN9rocsparseL35gebsr2csr_block_per_row_1_32_kernelILi1024ELi8ELi32E21rocsparse_complex_numIdEEEv20rocsparse_direction_ii21rocsparse_index_base_PKT2_PKiS9_iiS4_PS5_PiSB_,@function
_ZN9rocsparseL35gebsr2csr_block_per_row_1_32_kernelILi1024ELi8ELi32E21rocsparse_complex_numIdEEEv20rocsparse_direction_ii21rocsparse_index_base_PKT2_PKiS9_iiS4_PS5_PiSB_: ; @_ZN9rocsparseL35gebsr2csr_block_per_row_1_32_kernelILi1024ELi8ELi32E21rocsparse_complex_numIdEEEv20rocsparse_direction_ii21rocsparse_index_base_PKT2_PKiS9_iiS4_PS5_PiSB_
; %bb.0:
	s_load_dwordx2 s[0:1], s[4:5], 0x18
	s_load_dwordx4 s[8:11], s[4:5], 0x28
	s_load_dwordx2 s[2:3], s[4:5], 0x40
	s_ashr_i32 s7, s6, 31
	s_lshl_b64 s[12:13], s[6:7], 2
	s_waitcnt lgkmcnt(0)
	s_add_u32 s12, s0, s12
	v_or_b32_e32 v1, s6, v0
	s_addc_u32 s13, s1, s13
	v_cmp_eq_u32_e32 vcc, 0, v1
	s_and_saveexec_b64 s[0:1], vcc
	s_cbranch_execz .LBB165_2
; %bb.1:
	v_mov_b32_e32 v1, 0
	v_mov_b32_e32 v2, s10
	global_store_dword v1, v2, s[2:3]
.LBB165_2:
	s_or_b64 exec, exec, s[0:1]
	v_and_b32_e32 v6, 31, v0
	v_bfe_u32 v8, v0, 5, 3
	v_cmp_gt_i32_e32 vcc, s8, v8
	v_cmp_gt_i32_e64 s[0:1], s9, v6
	s_and_b64 s[0:1], vcc, s[0:1]
	s_and_saveexec_b64 s[14:15], s[0:1]
	s_cbranch_execz .LBB165_6
; %bb.3:
	s_load_dwordx2 s[14:15], s[12:13], 0x0
	s_load_dword s11, s[4:5], 0xc
	s_mul_i32 s6, s6, s8
	v_add_u32_e32 v2, s6, v8
	s_mul_i32 s1, s9, s8
	v_ashrrev_i32_e32 v3, 31, v2
	s_waitcnt lgkmcnt(0)
	s_sub_i32 s0, s14, s11
	s_sub_i32 s14, s15, s11
	;; [unrolled: 1-line block ×3, first 2 shown]
	s_mul_i32 s12, s15, s9
	v_lshrrev_b32_e32 v1, 8, v0
	s_mul_i32 s7, s0, s1
	v_mul_lo_u32 v0, s12, v8
	s_add_i32 s12, s12, s10
	v_lshlrev_b64 v[2:3], 2, v[2:3]
	s_add_i32 s12, s12, s7
	v_mov_b32_e32 v4, s3
	v_add_co_u32_e32 v2, vcc, s2, v2
	v_add_u32_e32 v0, s12, v0
	v_addc_co_u32_e32 v3, vcc, v4, v3, vcc
	global_store_dword v[2:3], v0, off offset:4
	v_add_u32_e32 v0, s0, v1
	v_cmp_gt_i32_e32 vcc, s14, v0
	s_and_b64 exec, exec, vcc
	s_cbranch_execz .LBB165_6
; %bb.4:
	s_load_dwordx2 s[16:17], s[4:5], 0x20
	s_load_dwordx2 s[2:3], s[4:5], 0x38
	s_load_dword s18, s[4:5], 0x0
	s_load_dwordx2 s[6:7], s[4:5], 0x10
	s_load_dwordx2 s[12:13], s[4:5], 0x48
	v_mad_u64_u32 v[4:5], s[4:5], v6, s8, v[8:9]
	s_waitcnt lgkmcnt(0)
	s_cmp_eq_u32 s18, 0
	v_mad_u64_u32 v[10:11], s[4:5], v8, s9, v[6:7]
	s_cselect_b64 vcc, -1, 0
	s_mul_i32 s0, s8, s0
	v_mul_lo_u32 v3, s15, v8
	v_cndmask_b32_e32 v4, v4, v10, vcc
	v_add3_u32 v1, v1, s0, v3
	v_add_u32_e32 v2, s10, v6
	v_mad_u64_u32 v[4:5], s[4:5], s1, v0, v[4:5]
	s_lshl_b32 s10, s1, 2
	v_mad_u64_u32 v[6:7], s[0:1], s9, v1, v[6:7]
	v_ashrrev_i32_e32 v1, 31, v0
	v_lshlrev_b64 v[8:9], 2, v[0:1]
	v_mov_b32_e32 v1, s17
	v_add_co_u32_e32 v8, vcc, s16, v8
	s_lshl_b32 s8, s9, 2
	v_addc_co_u32_e32 v9, vcc, v1, v9, vcc
	s_mov_b64 s[4:5], 0
	v_mov_b32_e32 v1, s13
	v_mov_b32_e32 v3, s3
	;; [unrolled: 1-line block ×3, first 2 shown]
.LBB165_5:                              ; =>This Inner Loop Header: Depth=1
	v_ashrrev_i32_e32 v5, 31, v4
	global_load_dword v11, v[8:9], off
	v_lshlrev_b64 v[12:13], 4, v[4:5]
	v_add_co_u32_e32 v12, vcc, s6, v12
	v_addc_co_u32_e32 v13, vcc, v10, v13, vcc
	global_load_dwordx4 v[12:15], v[12:13], off
	v_ashrrev_i32_e32 v7, 31, v6
	v_lshlrev_b64 v[16:17], 2, v[6:7]
	v_add_co_u32_e32 v8, vcc, 16, v8
	v_add_co_u32_e64 v16, s[0:1], s12, v16
	v_add_u32_e32 v0, 4, v0
	v_addc_co_u32_e32 v9, vcc, 0, v9, vcc
	v_lshlrev_b64 v[18:19], 4, v[6:7]
	v_addc_co_u32_e64 v17, s[0:1], v1, v17, s[0:1]
	v_cmp_le_i32_e32 vcc, s14, v0
	v_add_co_u32_e64 v18, s[0:1], s2, v18
	v_add_u32_e32 v4, s10, v4
	v_add_u32_e32 v6, s8, v6
	v_addc_co_u32_e64 v19, s[0:1], v3, v19, s[0:1]
	s_or_b64 s[4:5], vcc, s[4:5]
	s_waitcnt vmcnt(1)
	v_subrev_u32_e32 v5, s11, v11
	v_mad_u64_u32 v[20:21], s[0:1], v5, s9, v[2:3]
	global_store_dword v[16:17], v20, off
	s_waitcnt vmcnt(1)
	global_store_dwordx4 v[18:19], v[12:15], off
	s_andn2_b64 exec, exec, s[4:5]
	s_cbranch_execnz .LBB165_5
.LBB165_6:
	s_endpgm
	.section	.rodata,"a",@progbits
	.p2align	6, 0x0
	.amdhsa_kernel _ZN9rocsparseL35gebsr2csr_block_per_row_1_32_kernelILi1024ELi8ELi32E21rocsparse_complex_numIdEEEv20rocsparse_direction_ii21rocsparse_index_base_PKT2_PKiS9_iiS4_PS5_PiSB_
		.amdhsa_group_segment_fixed_size 0
		.amdhsa_private_segment_fixed_size 0
		.amdhsa_kernarg_size 80
		.amdhsa_user_sgpr_count 6
		.amdhsa_user_sgpr_private_segment_buffer 1
		.amdhsa_user_sgpr_dispatch_ptr 0
		.amdhsa_user_sgpr_queue_ptr 0
		.amdhsa_user_sgpr_kernarg_segment_ptr 1
		.amdhsa_user_sgpr_dispatch_id 0
		.amdhsa_user_sgpr_flat_scratch_init 0
		.amdhsa_user_sgpr_kernarg_preload_length 0
		.amdhsa_user_sgpr_kernarg_preload_offset 0
		.amdhsa_user_sgpr_private_segment_size 0
		.amdhsa_uses_dynamic_stack 0
		.amdhsa_system_sgpr_private_segment_wavefront_offset 0
		.amdhsa_system_sgpr_workgroup_id_x 1
		.amdhsa_system_sgpr_workgroup_id_y 0
		.amdhsa_system_sgpr_workgroup_id_z 0
		.amdhsa_system_sgpr_workgroup_info 0
		.amdhsa_system_vgpr_workitem_id 0
		.amdhsa_next_free_vgpr 22
		.amdhsa_next_free_sgpr 19
		.amdhsa_accum_offset 24
		.amdhsa_reserve_vcc 1
		.amdhsa_reserve_flat_scratch 0
		.amdhsa_float_round_mode_32 0
		.amdhsa_float_round_mode_16_64 0
		.amdhsa_float_denorm_mode_32 3
		.amdhsa_float_denorm_mode_16_64 3
		.amdhsa_dx10_clamp 1
		.amdhsa_ieee_mode 1
		.amdhsa_fp16_overflow 0
		.amdhsa_tg_split 0
		.amdhsa_exception_fp_ieee_invalid_op 0
		.amdhsa_exception_fp_denorm_src 0
		.amdhsa_exception_fp_ieee_div_zero 0
		.amdhsa_exception_fp_ieee_overflow 0
		.amdhsa_exception_fp_ieee_underflow 0
		.amdhsa_exception_fp_ieee_inexact 0
		.amdhsa_exception_int_div_zero 0
	.end_amdhsa_kernel
	.section	.text._ZN9rocsparseL35gebsr2csr_block_per_row_1_32_kernelILi1024ELi8ELi32E21rocsparse_complex_numIdEEEv20rocsparse_direction_ii21rocsparse_index_base_PKT2_PKiS9_iiS4_PS5_PiSB_,"axG",@progbits,_ZN9rocsparseL35gebsr2csr_block_per_row_1_32_kernelILi1024ELi8ELi32E21rocsparse_complex_numIdEEEv20rocsparse_direction_ii21rocsparse_index_base_PKT2_PKiS9_iiS4_PS5_PiSB_,comdat
.Lfunc_end165:
	.size	_ZN9rocsparseL35gebsr2csr_block_per_row_1_32_kernelILi1024ELi8ELi32E21rocsparse_complex_numIdEEEv20rocsparse_direction_ii21rocsparse_index_base_PKT2_PKiS9_iiS4_PS5_PiSB_, .Lfunc_end165-_ZN9rocsparseL35gebsr2csr_block_per_row_1_32_kernelILi1024ELi8ELi32E21rocsparse_complex_numIdEEEv20rocsparse_direction_ii21rocsparse_index_base_PKT2_PKiS9_iiS4_PS5_PiSB_
                                        ; -- End function
	.section	.AMDGPU.csdata,"",@progbits
; Kernel info:
; codeLenInByte = 564
; NumSgprs: 23
; NumVgprs: 22
; NumAgprs: 0
; TotalNumVgprs: 22
; ScratchSize: 0
; MemoryBound: 0
; FloatMode: 240
; IeeeMode: 1
; LDSByteSize: 0 bytes/workgroup (compile time only)
; SGPRBlocks: 2
; VGPRBlocks: 2
; NumSGPRsForWavesPerEU: 23
; NumVGPRsForWavesPerEU: 22
; AccumOffset: 24
; Occupancy: 8
; WaveLimiterHint : 0
; COMPUTE_PGM_RSRC2:SCRATCH_EN: 0
; COMPUTE_PGM_RSRC2:USER_SGPR: 6
; COMPUTE_PGM_RSRC2:TRAP_HANDLER: 0
; COMPUTE_PGM_RSRC2:TGID_X_EN: 1
; COMPUTE_PGM_RSRC2:TGID_Y_EN: 0
; COMPUTE_PGM_RSRC2:TGID_Z_EN: 0
; COMPUTE_PGM_RSRC2:TIDIG_COMP_CNT: 0
; COMPUTE_PGM_RSRC3_GFX90A:ACCUM_OFFSET: 5
; COMPUTE_PGM_RSRC3_GFX90A:TG_SPLIT: 0
	.section	.text._ZN9rocsparseL37gebsr2csr_block_per_row_33_128_kernelILi1024ELi8ELi64ELi8ELi32E21rocsparse_complex_numIdEEEv20rocsparse_direction_ii21rocsparse_index_base_PKT4_PKiS9_iiS4_PS5_PiSB_,"axG",@progbits,_ZN9rocsparseL37gebsr2csr_block_per_row_33_128_kernelILi1024ELi8ELi64ELi8ELi32E21rocsparse_complex_numIdEEEv20rocsparse_direction_ii21rocsparse_index_base_PKT4_PKiS9_iiS4_PS5_PiSB_,comdat
	.globl	_ZN9rocsparseL37gebsr2csr_block_per_row_33_128_kernelILi1024ELi8ELi64ELi8ELi32E21rocsparse_complex_numIdEEEv20rocsparse_direction_ii21rocsparse_index_base_PKT4_PKiS9_iiS4_PS5_PiSB_ ; -- Begin function _ZN9rocsparseL37gebsr2csr_block_per_row_33_128_kernelILi1024ELi8ELi64ELi8ELi32E21rocsparse_complex_numIdEEEv20rocsparse_direction_ii21rocsparse_index_base_PKT4_PKiS9_iiS4_PS5_PiSB_
	.p2align	8
	.type	_ZN9rocsparseL37gebsr2csr_block_per_row_33_128_kernelILi1024ELi8ELi64ELi8ELi32E21rocsparse_complex_numIdEEEv20rocsparse_direction_ii21rocsparse_index_base_PKT4_PKiS9_iiS4_PS5_PiSB_,@function
_ZN9rocsparseL37gebsr2csr_block_per_row_33_128_kernelILi1024ELi8ELi64ELi8ELi32E21rocsparse_complex_numIdEEEv20rocsparse_direction_ii21rocsparse_index_base_PKT4_PKiS9_iiS4_PS5_PiSB_: ; @_ZN9rocsparseL37gebsr2csr_block_per_row_33_128_kernelILi1024ELi8ELi64ELi8ELi32E21rocsparse_complex_numIdEEEv20rocsparse_direction_ii21rocsparse_index_base_PKT4_PKiS9_iiS4_PS5_PiSB_
; %bb.0:
	s_load_dwordx2 s[0:1], s[4:5], 0x18
	s_load_dwordx4 s[8:11], s[4:5], 0x28
	s_load_dwordx2 s[2:3], s[4:5], 0x40
	s_ashr_i32 s7, s6, 31
	s_lshl_b64 s[12:13], s[6:7], 2
	s_waitcnt lgkmcnt(0)
	s_add_u32 s0, s0, s12
	s_addc_u32 s1, s1, s13
	s_load_dwordx2 s[14:15], s[0:1], 0x0
	v_or_b32_e32 v1, s6, v0
	v_cmp_eq_u32_e32 vcc, 0, v1
	s_and_saveexec_b64 s[0:1], vcc
	s_cbranch_execz .LBB166_2
; %bb.1:
	v_mov_b32_e32 v1, 0
	v_mov_b32_e32 v2, s10
	global_store_dword v1, v2, s[2:3]
.LBB166_2:
	s_or_b64 exec, exec, s[0:1]
	s_load_dword s11, s[4:5], 0xc
	v_lshrrev_b32_e32 v4, 5, v0
	v_cmp_gt_i32_e64 s[0:1], s8, v4
	s_mul_i32 s23, s9, s8
	s_waitcnt lgkmcnt(0)
	s_sub_i32 s12, s14, s11
	s_sub_i32 s22, s15, s11
	s_and_saveexec_b64 s[16:17], s[0:1]
	s_cbranch_execz .LBB166_4
; %bb.3:
	s_mul_i32 s6, s6, s8
	v_add_u32_e32 v2, s6, v4
	s_mul_i32 s7, s23, s12
	s_sub_i32 s13, s22, s12
	v_ashrrev_i32_e32 v3, 31, v2
	s_mul_i32 s13, s13, s9
	s_add_i32 s7, s7, s10
	v_lshlrev_b64 v[2:3], 2, v[2:3]
	v_mul_lo_u32 v1, s13, v4
	s_add_i32 s7, s7, s13
	v_mov_b32_e32 v5, s3
	v_add_co_u32_e32 v2, vcc, s2, v2
	v_add_u32_e32 v1, s7, v1
	v_addc_co_u32_e32 v3, vcc, v5, v3, vcc
	global_store_dword v[2:3], v1, off offset:4
.LBB166_4:
	s_or_b64 exec, exec, s[16:17]
	s_cmp_ge_i32 s14, s15
	s_cbranch_scc1 .LBB166_11
; %bb.5:
	s_load_dwordx2 s[18:19], s[4:5], 0x20
	s_load_dwordx2 s[6:7], s[4:5], 0x38
	;; [unrolled: 1-line block ×4, first 2 shown]
	s_load_dword s2, s[4:5], 0x0
	s_mul_i32 s13, s8, s12
	v_and_b32_e32 v0, 31, v0
	v_add_u32_e32 v1, s13, v4
	v_mad_u64_u32 v[2:3], s[4:5], s9, v1, v[0:1]
	s_mul_i32 s4, s9, s12
	s_sub_i32 s3, s22, s12
	v_add_u32_e32 v3, s4, v0
	v_mul_lo_u32 v6, s3, v4
	s_waitcnt lgkmcnt(0)
	s_cmp_eq_u32 s2, 0
	v_cmp_gt_i32_e64 s[2:3], s9, v0
	v_mad_u64_u32 v[8:9], s[4:5], s8, v3, v[4:5]
	v_or_b32_e32 v1, 32, v0
	s_cselect_b64 vcc, -1, 0
	s_and_b64 s[4:5], s[0:1], s[2:3]
	v_cmp_gt_i32_e64 s[2:3], s9, v1
	v_add_u32_e32 v3, 32, v3
	s_and_b64 s[2:3], s[0:1], s[2:3]
	v_mad_u64_u32 v[4:5], s[0:1], s8, v3, v[4:5]
	v_add_u32_e32 v3, s13, v6
	v_mad_u64_u32 v[6:7], s[0:1], s9, v3, v[0:1]
	s_ashr_i32 s13, s12, 31
	s_lshl_b64 s[0:1], s[12:13], 2
	s_add_u32 s18, s18, s0
	s_mov_b32 s24, 0
	s_addc_u32 s19, s19, s1
	v_cndmask_b32_e32 v3, v8, v2, vcc
	s_branch .LBB166_7
.LBB166_6:                              ;   in Loop: Header=BB166_7 Depth=1
	s_or_b64 exec, exec, s[20:21]
	s_add_i32 s12, s12, 1
	s_add_i32 s24, s24, s23
	s_add_u32 s18, s18, 4
	s_addc_u32 s19, s19, 0
	s_cmp_ge_i32 s12, s22
	v_add_u32_e32 v6, s9, v6
	s_cbranch_scc1 .LBB166_11
.LBB166_7:                              ; =>This Inner Loop Header: Depth=1
	s_load_dword s0, s[18:19], 0x0
	s_waitcnt lgkmcnt(0)
	s_sub_i32 s0, s0, s11
	s_mul_i32 s8, s0, s9
	s_add_i32 s8, s8, s10
	s_and_saveexec_b64 s[20:21], s[4:5]
	s_cbranch_execz .LBB166_9
; %bb.8:                                ;   in Loop: Header=BB166_7 Depth=1
	v_add_u32_e32 v8, s24, v3
	v_ashrrev_i32_e32 v9, 31, v8
	v_lshlrev_b64 v[8:9], 4, v[8:9]
	v_mov_b32_e32 v5, s17
	v_add_co_u32_e64 v8, s[0:1], s16, v8
	v_addc_co_u32_e64 v9, s[0:1], v5, v9, s[0:1]
	global_load_dwordx4 v[8:11], v[8:9], off
	v_ashrrev_i32_e32 v7, 31, v6
	v_lshlrev_b64 v[12:13], 2, v[6:7]
	v_mov_b32_e32 v14, s15
	v_add_co_u32_e64 v12, s[0:1], s14, v12
	v_add_u32_e32 v5, s8, v0
	v_addc_co_u32_e64 v13, s[0:1], v14, v13, s[0:1]
	global_store_dword v[12:13], v5, off
	v_lshlrev_b64 v[12:13], 4, v[6:7]
	v_mov_b32_e32 v5, s7
	v_add_co_u32_e64 v12, s[0:1], s6, v12
	v_addc_co_u32_e64 v13, s[0:1], v5, v13, s[0:1]
	s_waitcnt vmcnt(1)
	global_store_dwordx4 v[12:13], v[8:11], off
.LBB166_9:                              ;   in Loop: Header=BB166_7 Depth=1
	s_or_b64 exec, exec, s[20:21]
	s_and_saveexec_b64 s[20:21], s[2:3]
	s_cbranch_execz .LBB166_6
; %bb.10:                               ;   in Loop: Header=BB166_7 Depth=1
	v_add3_u32 v5, v2, s24, 32
	v_add_u32_e32 v7, s24, v4
	v_cndmask_b32_e32 v8, v7, v5, vcc
	v_ashrrev_i32_e32 v9, 31, v8
	v_lshlrev_b64 v[8:9], 4, v[8:9]
	v_mov_b32_e32 v5, s17
	v_add_co_u32_e64 v8, s[0:1], s16, v8
	v_addc_co_u32_e64 v9, s[0:1], v5, v9, s[0:1]
	global_load_dwordx4 v[8:11], v[8:9], off
	v_add_u32_e32 v12, 32, v6
	v_ashrrev_i32_e32 v13, 31, v12
	v_lshlrev_b64 v[14:15], 2, v[12:13]
	v_mov_b32_e32 v7, s15
	v_add_co_u32_e64 v14, s[0:1], s14, v14
	v_add_u32_e32 v5, s8, v1
	v_addc_co_u32_e64 v15, s[0:1], v7, v15, s[0:1]
	v_lshlrev_b64 v[12:13], 4, v[12:13]
	global_store_dword v[14:15], v5, off
	v_mov_b32_e32 v5, s7
	v_add_co_u32_e64 v12, s[0:1], s6, v12
	v_addc_co_u32_e64 v13, s[0:1], v5, v13, s[0:1]
	s_waitcnt vmcnt(1)
	global_store_dwordx4 v[12:13], v[8:11], off
	s_branch .LBB166_6
.LBB166_11:
	s_endpgm
	.section	.rodata,"a",@progbits
	.p2align	6, 0x0
	.amdhsa_kernel _ZN9rocsparseL37gebsr2csr_block_per_row_33_128_kernelILi1024ELi8ELi64ELi8ELi32E21rocsparse_complex_numIdEEEv20rocsparse_direction_ii21rocsparse_index_base_PKT4_PKiS9_iiS4_PS5_PiSB_
		.amdhsa_group_segment_fixed_size 0
		.amdhsa_private_segment_fixed_size 0
		.amdhsa_kernarg_size 80
		.amdhsa_user_sgpr_count 6
		.amdhsa_user_sgpr_private_segment_buffer 1
		.amdhsa_user_sgpr_dispatch_ptr 0
		.amdhsa_user_sgpr_queue_ptr 0
		.amdhsa_user_sgpr_kernarg_segment_ptr 1
		.amdhsa_user_sgpr_dispatch_id 0
		.amdhsa_user_sgpr_flat_scratch_init 0
		.amdhsa_user_sgpr_kernarg_preload_length 0
		.amdhsa_user_sgpr_kernarg_preload_offset 0
		.amdhsa_user_sgpr_private_segment_size 0
		.amdhsa_uses_dynamic_stack 0
		.amdhsa_system_sgpr_private_segment_wavefront_offset 0
		.amdhsa_system_sgpr_workgroup_id_x 1
		.amdhsa_system_sgpr_workgroup_id_y 0
		.amdhsa_system_sgpr_workgroup_id_z 0
		.amdhsa_system_sgpr_workgroup_info 0
		.amdhsa_system_vgpr_workitem_id 0
		.amdhsa_next_free_vgpr 16
		.amdhsa_next_free_sgpr 25
		.amdhsa_accum_offset 16
		.amdhsa_reserve_vcc 1
		.amdhsa_reserve_flat_scratch 0
		.amdhsa_float_round_mode_32 0
		.amdhsa_float_round_mode_16_64 0
		.amdhsa_float_denorm_mode_32 3
		.amdhsa_float_denorm_mode_16_64 3
		.amdhsa_dx10_clamp 1
		.amdhsa_ieee_mode 1
		.amdhsa_fp16_overflow 0
		.amdhsa_tg_split 0
		.amdhsa_exception_fp_ieee_invalid_op 0
		.amdhsa_exception_fp_denorm_src 0
		.amdhsa_exception_fp_ieee_div_zero 0
		.amdhsa_exception_fp_ieee_overflow 0
		.amdhsa_exception_fp_ieee_underflow 0
		.amdhsa_exception_fp_ieee_inexact 0
		.amdhsa_exception_int_div_zero 0
	.end_amdhsa_kernel
	.section	.text._ZN9rocsparseL37gebsr2csr_block_per_row_33_128_kernelILi1024ELi8ELi64ELi8ELi32E21rocsparse_complex_numIdEEEv20rocsparse_direction_ii21rocsparse_index_base_PKT4_PKiS9_iiS4_PS5_PiSB_,"axG",@progbits,_ZN9rocsparseL37gebsr2csr_block_per_row_33_128_kernelILi1024ELi8ELi64ELi8ELi32E21rocsparse_complex_numIdEEEv20rocsparse_direction_ii21rocsparse_index_base_PKT4_PKiS9_iiS4_PS5_PiSB_,comdat
.Lfunc_end166:
	.size	_ZN9rocsparseL37gebsr2csr_block_per_row_33_128_kernelILi1024ELi8ELi64ELi8ELi32E21rocsparse_complex_numIdEEEv20rocsparse_direction_ii21rocsparse_index_base_PKT4_PKiS9_iiS4_PS5_PiSB_, .Lfunc_end166-_ZN9rocsparseL37gebsr2csr_block_per_row_33_128_kernelILi1024ELi8ELi64ELi8ELi32E21rocsparse_complex_numIdEEEv20rocsparse_direction_ii21rocsparse_index_base_PKT4_PKiS9_iiS4_PS5_PiSB_
                                        ; -- End function
	.section	.AMDGPU.csdata,"",@progbits
; Kernel info:
; codeLenInByte = 752
; NumSgprs: 29
; NumVgprs: 16
; NumAgprs: 0
; TotalNumVgprs: 16
; ScratchSize: 0
; MemoryBound: 0
; FloatMode: 240
; IeeeMode: 1
; LDSByteSize: 0 bytes/workgroup (compile time only)
; SGPRBlocks: 3
; VGPRBlocks: 1
; NumSGPRsForWavesPerEU: 29
; NumVGPRsForWavesPerEU: 16
; AccumOffset: 16
; Occupancy: 8
; WaveLimiterHint : 0
; COMPUTE_PGM_RSRC2:SCRATCH_EN: 0
; COMPUTE_PGM_RSRC2:USER_SGPR: 6
; COMPUTE_PGM_RSRC2:TRAP_HANDLER: 0
; COMPUTE_PGM_RSRC2:TGID_X_EN: 1
; COMPUTE_PGM_RSRC2:TGID_Y_EN: 0
; COMPUTE_PGM_RSRC2:TGID_Z_EN: 0
; COMPUTE_PGM_RSRC2:TIDIG_COMP_CNT: 0
; COMPUTE_PGM_RSRC3_GFX90A:ACCUM_OFFSET: 3
; COMPUTE_PGM_RSRC3_GFX90A:TG_SPLIT: 0
	.section	.text._ZN9rocsparseL37gebsr2csr_block_per_row_33_128_kernelILi1024ELi8ELi128ELi8ELi32E21rocsparse_complex_numIdEEEv20rocsparse_direction_ii21rocsparse_index_base_PKT4_PKiS9_iiS4_PS5_PiSB_,"axG",@progbits,_ZN9rocsparseL37gebsr2csr_block_per_row_33_128_kernelILi1024ELi8ELi128ELi8ELi32E21rocsparse_complex_numIdEEEv20rocsparse_direction_ii21rocsparse_index_base_PKT4_PKiS9_iiS4_PS5_PiSB_,comdat
	.globl	_ZN9rocsparseL37gebsr2csr_block_per_row_33_128_kernelILi1024ELi8ELi128ELi8ELi32E21rocsparse_complex_numIdEEEv20rocsparse_direction_ii21rocsparse_index_base_PKT4_PKiS9_iiS4_PS5_PiSB_ ; -- Begin function _ZN9rocsparseL37gebsr2csr_block_per_row_33_128_kernelILi1024ELi8ELi128ELi8ELi32E21rocsparse_complex_numIdEEEv20rocsparse_direction_ii21rocsparse_index_base_PKT4_PKiS9_iiS4_PS5_PiSB_
	.p2align	8
	.type	_ZN9rocsparseL37gebsr2csr_block_per_row_33_128_kernelILi1024ELi8ELi128ELi8ELi32E21rocsparse_complex_numIdEEEv20rocsparse_direction_ii21rocsparse_index_base_PKT4_PKiS9_iiS4_PS5_PiSB_,@function
_ZN9rocsparseL37gebsr2csr_block_per_row_33_128_kernelILi1024ELi8ELi128ELi8ELi32E21rocsparse_complex_numIdEEEv20rocsparse_direction_ii21rocsparse_index_base_PKT4_PKiS9_iiS4_PS5_PiSB_: ; @_ZN9rocsparseL37gebsr2csr_block_per_row_33_128_kernelILi1024ELi8ELi128ELi8ELi32E21rocsparse_complex_numIdEEEv20rocsparse_direction_ii21rocsparse_index_base_PKT4_PKiS9_iiS4_PS5_PiSB_
; %bb.0:
	s_load_dwordx2 s[0:1], s[4:5], 0x18
	s_load_dwordx4 s[8:11], s[4:5], 0x28
	s_load_dwordx2 s[2:3], s[4:5], 0x40
	s_ashr_i32 s7, s6, 31
	s_lshl_b64 s[12:13], s[6:7], 2
	s_waitcnt lgkmcnt(0)
	s_add_u32 s0, s0, s12
	s_addc_u32 s1, s1, s13
	s_load_dwordx2 s[14:15], s[0:1], 0x0
	v_or_b32_e32 v1, s6, v0
	v_cmp_eq_u32_e32 vcc, 0, v1
	s_and_saveexec_b64 s[0:1], vcc
	s_cbranch_execz .LBB167_2
; %bb.1:
	v_mov_b32_e32 v1, 0
	v_mov_b32_e32 v2, s10
	global_store_dword v1, v2, s[2:3]
.LBB167_2:
	s_or_b64 exec, exec, s[0:1]
	s_load_dword s11, s[4:5], 0xc
	v_lshrrev_b32_e32 v1, 5, v0
	v_cmp_gt_i32_e64 s[0:1], s8, v1
	s_mul_i32 s27, s9, s8
	s_waitcnt lgkmcnt(0)
	s_sub_i32 s12, s14, s11
	s_sub_i32 s26, s15, s11
	s_and_saveexec_b64 s[16:17], s[0:1]
	s_cbranch_execz .LBB167_4
; %bb.3:
	s_mul_i32 s7, s27, s12
	s_sub_i32 s13, s26, s12
	s_mul_i32 s13, s13, s9
	s_add_i32 s7, s7, s10
	v_mul_lo_u32 v2, s13, v1
	s_add_i32 s7, s7, s13
	s_mul_i32 s6, s6, s8
	v_add_u32_e32 v4, s7, v2
	v_add_u32_e32 v2, s6, v1
	v_ashrrev_i32_e32 v3, 31, v2
	v_lshlrev_b64 v[2:3], 2, v[2:3]
	v_mov_b32_e32 v5, s3
	v_add_co_u32_e32 v2, vcc, s2, v2
	v_addc_co_u32_e32 v3, vcc, v5, v3, vcc
	global_store_dword v[2:3], v4, off offset:4
.LBB167_4:
	s_or_b64 exec, exec, s[16:17]
	s_cmp_ge_i32 s14, s15
	s_cbranch_scc1 .LBB167_15
; %bb.5:
	s_load_dwordx2 s[22:23], s[4:5], 0x20
	s_load_dwordx2 s[6:7], s[4:5], 0x38
	;; [unrolled: 1-line block ×3, first 2 shown]
	s_load_dword s2, s[4:5], 0x0
	s_load_dwordx2 s[16:17], s[4:5], 0x48
	v_and_b32_e32 v0, 31, v0
	s_sub_i32 s3, s26, s12
	v_mul_lo_u32 v10, s3, v1
	s_waitcnt lgkmcnt(0)
	s_cmp_eq_u32 s2, 0
	v_cmp_gt_i32_e64 s[2:3], s9, v0
	v_or_b32_e32 v2, 32, v0
	s_cselect_b64 vcc, -1, 0
	s_and_b64 s[4:5], s[0:1], s[2:3]
	v_cmp_gt_i32_e64 s[2:3], s9, v2
	v_or_b32_e32 v3, 64, v0
	s_and_b64 s[18:19], s[0:1], s[2:3]
	v_cmp_gt_i32_e64 s[2:3], s9, v3
	v_or_b32_e32 v4, 0x60, v0
	s_and_b64 s[20:21], s[0:1], s[2:3]
	v_cmp_gt_i32_e64 s[2:3], s9, v4
	s_and_b64 s[2:3], s[0:1], s[2:3]
	s_mul_i32 s0, s8, s12
	s_mul_i32 s1, s9, s12
	s_ashr_i32 s13, s12, 31
	v_add_u32_e32 v5, s0, v1
	v_add_u32_e32 v9, s1, v0
	v_add_u32_e32 v10, s0, v10
	s_lshl_b64 s[0:1], s[12:13], 2
	v_add_u32_e32 v6, 0x60, v9
	v_add_u32_e32 v7, 64, v9
	;; [unrolled: 1-line block ×3, first 2 shown]
	s_add_u32 s22, s22, s0
	s_movk_i32 s28, 0x60
	v_mul_lo_u32 v5, s9, v5
	v_mul_lo_u32 v6, s8, v6
	;; [unrolled: 1-line block ×6, first 2 shown]
	s_addc_u32 s23, s23, s1
	s_branch .LBB167_7
.LBB167_6:                              ;   in Loop: Header=BB167_7 Depth=1
	s_or_b64 exec, exec, s[24:25]
	s_add_i32 s12, s12, 1
	s_add_u32 s22, s22, 4
	s_addc_u32 s23, s23, 0
	v_add_u32_e32 v5, s27, v5
	v_add_u32_e32 v1, s27, v1
	s_cmp_ge_i32 s12, s26
	v_add_u32_e32 v10, s9, v10
	s_cbranch_scc1 .LBB167_15
.LBB167_7:                              ; =>This Inner Loop Header: Depth=1
	s_load_dword s0, s[22:23], 0x0
	s_waitcnt lgkmcnt(0)
	s_sub_i32 s0, s0, s11
	s_mul_i32 s8, s0, s9
	s_add_i32 s8, s8, s10
	s_and_saveexec_b64 s[24:25], s[4:5]
	s_cbranch_execnz .LBB167_11
; %bb.8:                                ;   in Loop: Header=BB167_7 Depth=1
	s_or_b64 exec, exec, s[24:25]
	s_and_saveexec_b64 s[24:25], s[18:19]
	s_cbranch_execnz .LBB167_12
.LBB167_9:                              ;   in Loop: Header=BB167_7 Depth=1
	s_or_b64 exec, exec, s[24:25]
	s_and_saveexec_b64 s[24:25], s[20:21]
	s_cbranch_execnz .LBB167_13
.LBB167_10:                             ;   in Loop: Header=BB167_7 Depth=1
	s_or_b64 exec, exec, s[24:25]
	s_and_saveexec_b64 s[24:25], s[2:3]
	s_cbranch_execz .LBB167_6
	s_branch .LBB167_14
.LBB167_11:                             ;   in Loop: Header=BB167_7 Depth=1
	v_add_u32_e32 v11, v0, v5
	v_add_u32_e32 v12, v9, v1
	v_cndmask_b32_e32 v12, v12, v11, vcc
	v_ashrrev_i32_e32 v13, 31, v12
	v_lshlrev_b64 v[12:13], 4, v[12:13]
	v_mov_b32_e32 v11, s15
	v_add_co_u32_e64 v12, s[0:1], s14, v12
	v_addc_co_u32_e64 v13, s[0:1], v11, v13, s[0:1]
	global_load_dwordx4 v[12:15], v[12:13], off
	v_add_u32_e32 v16, v0, v10
	v_ashrrev_i32_e32 v17, 31, v16
	v_lshlrev_b64 v[18:19], 2, v[16:17]
	v_mov_b32_e32 v20, s17
	v_add_co_u32_e64 v18, s[0:1], s16, v18
	v_add_u32_e32 v11, s8, v0
	v_addc_co_u32_e64 v19, s[0:1], v20, v19, s[0:1]
	v_lshlrev_b64 v[16:17], 4, v[16:17]
	global_store_dword v[18:19], v11, off
	v_mov_b32_e32 v11, s7
	v_add_co_u32_e64 v16, s[0:1], s6, v16
	v_addc_co_u32_e64 v17, s[0:1], v11, v17, s[0:1]
	s_waitcnt vmcnt(1)
	global_store_dwordx4 v[16:17], v[12:15], off
	s_or_b64 exec, exec, s[24:25]
	s_and_saveexec_b64 s[24:25], s[18:19]
	s_cbranch_execz .LBB167_9
.LBB167_12:                             ;   in Loop: Header=BB167_7 Depth=1
	v_add3_u32 v11, v0, v5, 32
	v_add_u32_e32 v12, v8, v1
	v_cndmask_b32_e32 v12, v12, v11, vcc
	v_ashrrev_i32_e32 v13, 31, v12
	v_lshlrev_b64 v[12:13], 4, v[12:13]
	v_mov_b32_e32 v11, s15
	v_add_co_u32_e64 v12, s[0:1], s14, v12
	v_addc_co_u32_e64 v13, s[0:1], v11, v13, s[0:1]
	global_load_dwordx4 v[12:15], v[12:13], off
	v_add3_u32 v16, v0, v10, 32
	v_ashrrev_i32_e32 v17, 31, v16
	v_lshlrev_b64 v[18:19], 2, v[16:17]
	v_mov_b32_e32 v20, s17
	v_add_co_u32_e64 v18, s[0:1], s16, v18
	v_add_u32_e32 v11, s8, v2
	v_addc_co_u32_e64 v19, s[0:1], v20, v19, s[0:1]
	v_lshlrev_b64 v[16:17], 4, v[16:17]
	global_store_dword v[18:19], v11, off
	v_mov_b32_e32 v11, s7
	v_add_co_u32_e64 v16, s[0:1], s6, v16
	v_addc_co_u32_e64 v17, s[0:1], v11, v17, s[0:1]
	s_waitcnt vmcnt(1)
	global_store_dwordx4 v[16:17], v[12:15], off
	s_or_b64 exec, exec, s[24:25]
	s_and_saveexec_b64 s[24:25], s[20:21]
	s_cbranch_execz .LBB167_10
.LBB167_13:                             ;   in Loop: Header=BB167_7 Depth=1
	v_add3_u32 v11, v0, v5, 64
	v_add_u32_e32 v12, v7, v1
	v_cndmask_b32_e32 v12, v12, v11, vcc
	v_ashrrev_i32_e32 v13, 31, v12
	v_lshlrev_b64 v[12:13], 4, v[12:13]
	v_mov_b32_e32 v11, s15
	v_add_co_u32_e64 v12, s[0:1], s14, v12
	v_addc_co_u32_e64 v13, s[0:1], v11, v13, s[0:1]
	global_load_dwordx4 v[12:15], v[12:13], off
	v_add3_u32 v16, v0, v10, 64
	v_ashrrev_i32_e32 v17, 31, v16
	v_lshlrev_b64 v[18:19], 2, v[16:17]
	v_mov_b32_e32 v20, s17
	v_add_co_u32_e64 v18, s[0:1], s16, v18
	v_add_u32_e32 v11, s8, v3
	v_addc_co_u32_e64 v19, s[0:1], v20, v19, s[0:1]
	v_lshlrev_b64 v[16:17], 4, v[16:17]
	global_store_dword v[18:19], v11, off
	v_mov_b32_e32 v11, s7
	v_add_co_u32_e64 v16, s[0:1], s6, v16
	v_addc_co_u32_e64 v17, s[0:1], v11, v17, s[0:1]
	s_waitcnt vmcnt(1)
	global_store_dwordx4 v[16:17], v[12:15], off
	s_or_b64 exec, exec, s[24:25]
	s_and_saveexec_b64 s[24:25], s[2:3]
	s_cbranch_execz .LBB167_6
.LBB167_14:                             ;   in Loop: Header=BB167_7 Depth=1
	v_add3_u32 v11, v0, v5, s28
	v_add_u32_e32 v12, v6, v1
	v_cndmask_b32_e32 v12, v12, v11, vcc
	v_ashrrev_i32_e32 v13, 31, v12
	v_lshlrev_b64 v[12:13], 4, v[12:13]
	v_mov_b32_e32 v11, s15
	v_add_co_u32_e64 v12, s[0:1], s14, v12
	v_addc_co_u32_e64 v13, s[0:1], v11, v13, s[0:1]
	global_load_dwordx4 v[12:15], v[12:13], off
	v_add3_u32 v16, v0, v10, s28
	v_ashrrev_i32_e32 v17, 31, v16
	v_lshlrev_b64 v[18:19], 2, v[16:17]
	v_mov_b32_e32 v20, s17
	v_add_co_u32_e64 v18, s[0:1], s16, v18
	v_add_u32_e32 v11, s8, v4
	v_addc_co_u32_e64 v19, s[0:1], v20, v19, s[0:1]
	v_lshlrev_b64 v[16:17], 4, v[16:17]
	global_store_dword v[18:19], v11, off
	v_mov_b32_e32 v11, s7
	v_add_co_u32_e64 v16, s[0:1], s6, v16
	v_addc_co_u32_e64 v17, s[0:1], v11, v17, s[0:1]
	s_waitcnt vmcnt(1)
	global_store_dwordx4 v[16:17], v[12:15], off
	s_branch .LBB167_6
.LBB167_15:
	s_endpgm
	.section	.rodata,"a",@progbits
	.p2align	6, 0x0
	.amdhsa_kernel _ZN9rocsparseL37gebsr2csr_block_per_row_33_128_kernelILi1024ELi8ELi128ELi8ELi32E21rocsparse_complex_numIdEEEv20rocsparse_direction_ii21rocsparse_index_base_PKT4_PKiS9_iiS4_PS5_PiSB_
		.amdhsa_group_segment_fixed_size 0
		.amdhsa_private_segment_fixed_size 0
		.amdhsa_kernarg_size 80
		.amdhsa_user_sgpr_count 6
		.amdhsa_user_sgpr_private_segment_buffer 1
		.amdhsa_user_sgpr_dispatch_ptr 0
		.amdhsa_user_sgpr_queue_ptr 0
		.amdhsa_user_sgpr_kernarg_segment_ptr 1
		.amdhsa_user_sgpr_dispatch_id 0
		.amdhsa_user_sgpr_flat_scratch_init 0
		.amdhsa_user_sgpr_kernarg_preload_length 0
		.amdhsa_user_sgpr_kernarg_preload_offset 0
		.amdhsa_user_sgpr_private_segment_size 0
		.amdhsa_uses_dynamic_stack 0
		.amdhsa_system_sgpr_private_segment_wavefront_offset 0
		.amdhsa_system_sgpr_workgroup_id_x 1
		.amdhsa_system_sgpr_workgroup_id_y 0
		.amdhsa_system_sgpr_workgroup_id_z 0
		.amdhsa_system_sgpr_workgroup_info 0
		.amdhsa_system_vgpr_workitem_id 0
		.amdhsa_next_free_vgpr 21
		.amdhsa_next_free_sgpr 29
		.amdhsa_accum_offset 24
		.amdhsa_reserve_vcc 1
		.amdhsa_reserve_flat_scratch 0
		.amdhsa_float_round_mode_32 0
		.amdhsa_float_round_mode_16_64 0
		.amdhsa_float_denorm_mode_32 3
		.amdhsa_float_denorm_mode_16_64 3
		.amdhsa_dx10_clamp 1
		.amdhsa_ieee_mode 1
		.amdhsa_fp16_overflow 0
		.amdhsa_tg_split 0
		.amdhsa_exception_fp_ieee_invalid_op 0
		.amdhsa_exception_fp_denorm_src 0
		.amdhsa_exception_fp_ieee_div_zero 0
		.amdhsa_exception_fp_ieee_overflow 0
		.amdhsa_exception_fp_ieee_underflow 0
		.amdhsa_exception_fp_ieee_inexact 0
		.amdhsa_exception_int_div_zero 0
	.end_amdhsa_kernel
	.section	.text._ZN9rocsparseL37gebsr2csr_block_per_row_33_128_kernelILi1024ELi8ELi128ELi8ELi32E21rocsparse_complex_numIdEEEv20rocsparse_direction_ii21rocsparse_index_base_PKT4_PKiS9_iiS4_PS5_PiSB_,"axG",@progbits,_ZN9rocsparseL37gebsr2csr_block_per_row_33_128_kernelILi1024ELi8ELi128ELi8ELi32E21rocsparse_complex_numIdEEEv20rocsparse_direction_ii21rocsparse_index_base_PKT4_PKiS9_iiS4_PS5_PiSB_,comdat
.Lfunc_end167:
	.size	_ZN9rocsparseL37gebsr2csr_block_per_row_33_128_kernelILi1024ELi8ELi128ELi8ELi32E21rocsparse_complex_numIdEEEv20rocsparse_direction_ii21rocsparse_index_base_PKT4_PKiS9_iiS4_PS5_PiSB_, .Lfunc_end167-_ZN9rocsparseL37gebsr2csr_block_per_row_33_128_kernelILi1024ELi8ELi128ELi8ELi32E21rocsparse_complex_numIdEEEv20rocsparse_direction_ii21rocsparse_index_base_PKT4_PKiS9_iiS4_PS5_PiSB_
                                        ; -- End function
	.section	.AMDGPU.csdata,"",@progbits
; Kernel info:
; codeLenInByte = 1192
; NumSgprs: 33
; NumVgprs: 21
; NumAgprs: 0
; TotalNumVgprs: 21
; ScratchSize: 0
; MemoryBound: 0
; FloatMode: 240
; IeeeMode: 1
; LDSByteSize: 0 bytes/workgroup (compile time only)
; SGPRBlocks: 4
; VGPRBlocks: 2
; NumSGPRsForWavesPerEU: 33
; NumVGPRsForWavesPerEU: 21
; AccumOffset: 24
; Occupancy: 8
; WaveLimiterHint : 0
; COMPUTE_PGM_RSRC2:SCRATCH_EN: 0
; COMPUTE_PGM_RSRC2:USER_SGPR: 6
; COMPUTE_PGM_RSRC2:TRAP_HANDLER: 0
; COMPUTE_PGM_RSRC2:TGID_X_EN: 1
; COMPUTE_PGM_RSRC2:TGID_Y_EN: 0
; COMPUTE_PGM_RSRC2:TGID_Z_EN: 0
; COMPUTE_PGM_RSRC2:TIDIG_COMP_CNT: 0
; COMPUTE_PGM_RSRC3_GFX90A:ACCUM_OFFSET: 5
; COMPUTE_PGM_RSRC3_GFX90A:TG_SPLIT: 0
	.section	.text._ZN9rocsparseL35gebsr2csr_block_per_row_1_32_kernelILi1024ELi16ELi2E21rocsparse_complex_numIdEEEv20rocsparse_direction_ii21rocsparse_index_base_PKT2_PKiS9_iiS4_PS5_PiSB_,"axG",@progbits,_ZN9rocsparseL35gebsr2csr_block_per_row_1_32_kernelILi1024ELi16ELi2E21rocsparse_complex_numIdEEEv20rocsparse_direction_ii21rocsparse_index_base_PKT2_PKiS9_iiS4_PS5_PiSB_,comdat
	.globl	_ZN9rocsparseL35gebsr2csr_block_per_row_1_32_kernelILi1024ELi16ELi2E21rocsparse_complex_numIdEEEv20rocsparse_direction_ii21rocsparse_index_base_PKT2_PKiS9_iiS4_PS5_PiSB_ ; -- Begin function _ZN9rocsparseL35gebsr2csr_block_per_row_1_32_kernelILi1024ELi16ELi2E21rocsparse_complex_numIdEEEv20rocsparse_direction_ii21rocsparse_index_base_PKT2_PKiS9_iiS4_PS5_PiSB_
	.p2align	8
	.type	_ZN9rocsparseL35gebsr2csr_block_per_row_1_32_kernelILi1024ELi16ELi2E21rocsparse_complex_numIdEEEv20rocsparse_direction_ii21rocsparse_index_base_PKT2_PKiS9_iiS4_PS5_PiSB_,@function
_ZN9rocsparseL35gebsr2csr_block_per_row_1_32_kernelILi1024ELi16ELi2E21rocsparse_complex_numIdEEEv20rocsparse_direction_ii21rocsparse_index_base_PKT2_PKiS9_iiS4_PS5_PiSB_: ; @_ZN9rocsparseL35gebsr2csr_block_per_row_1_32_kernelILi1024ELi16ELi2E21rocsparse_complex_numIdEEEv20rocsparse_direction_ii21rocsparse_index_base_PKT2_PKiS9_iiS4_PS5_PiSB_
; %bb.0:
	s_load_dwordx2 s[0:1], s[4:5], 0x18
	s_load_dwordx4 s[8:11], s[4:5], 0x28
	s_load_dwordx2 s[2:3], s[4:5], 0x40
	s_ashr_i32 s7, s6, 31
	s_lshl_b64 s[12:13], s[6:7], 2
	s_waitcnt lgkmcnt(0)
	s_add_u32 s12, s0, s12
	v_or_b32_e32 v1, s6, v0
	s_addc_u32 s13, s1, s13
	v_cmp_eq_u32_e32 vcc, 0, v1
	s_and_saveexec_b64 s[0:1], vcc
	s_cbranch_execz .LBB168_2
; %bb.1:
	v_mov_b32_e32 v1, 0
	v_mov_b32_e32 v2, s10
	global_store_dword v1, v2, s[2:3]
.LBB168_2:
	s_or_b64 exec, exec, s[0:1]
	v_and_b32_e32 v6, 1, v0
	v_bfe_u32 v8, v0, 1, 4
	v_cmp_gt_i32_e32 vcc, s8, v8
	v_cmp_gt_i32_e64 s[0:1], s9, v6
	s_and_b64 s[0:1], vcc, s[0:1]
	s_and_saveexec_b64 s[14:15], s[0:1]
	s_cbranch_execz .LBB168_6
; %bb.3:
	s_load_dwordx2 s[14:15], s[12:13], 0x0
	s_load_dword s11, s[4:5], 0xc
	s_mul_i32 s6, s6, s8
	v_add_u32_e32 v2, s6, v8
	s_mul_i32 s1, s9, s8
	v_ashrrev_i32_e32 v3, 31, v2
	s_waitcnt lgkmcnt(0)
	s_sub_i32 s0, s14, s11
	s_sub_i32 s14, s15, s11
	;; [unrolled: 1-line block ×3, first 2 shown]
	s_mul_i32 s12, s15, s9
	v_lshrrev_b32_e32 v1, 5, v0
	s_mul_i32 s7, s0, s1
	v_mul_lo_u32 v0, s12, v8
	s_add_i32 s12, s12, s10
	v_lshlrev_b64 v[2:3], 2, v[2:3]
	s_add_i32 s12, s12, s7
	v_mov_b32_e32 v4, s3
	v_add_co_u32_e32 v2, vcc, s2, v2
	v_add_u32_e32 v0, s12, v0
	v_addc_co_u32_e32 v3, vcc, v4, v3, vcc
	global_store_dword v[2:3], v0, off offset:4
	v_add_u32_e32 v0, s0, v1
	v_cmp_gt_i32_e32 vcc, s14, v0
	s_and_b64 exec, exec, vcc
	s_cbranch_execz .LBB168_6
; %bb.4:
	s_load_dwordx2 s[16:17], s[4:5], 0x20
	s_load_dwordx2 s[2:3], s[4:5], 0x38
	s_load_dword s18, s[4:5], 0x0
	s_load_dwordx2 s[6:7], s[4:5], 0x10
	s_load_dwordx2 s[12:13], s[4:5], 0x48
	v_mad_u64_u32 v[4:5], s[4:5], v6, s8, v[8:9]
	s_waitcnt lgkmcnt(0)
	s_cmp_eq_u32 s18, 0
	v_mad_u64_u32 v[10:11], s[4:5], v8, s9, v[6:7]
	s_cselect_b64 vcc, -1, 0
	s_mul_i32 s0, s8, s0
	v_mul_lo_u32 v3, s15, v8
	v_cndmask_b32_e32 v4, v4, v10, vcc
	v_add3_u32 v1, v1, s0, v3
	v_add_u32_e32 v2, s10, v6
	v_mad_u64_u32 v[4:5], s[4:5], s1, v0, v[4:5]
	s_lshl_b32 s10, s1, 5
	v_mad_u64_u32 v[6:7], s[0:1], s9, v1, v[6:7]
	v_ashrrev_i32_e32 v1, 31, v0
	v_lshlrev_b64 v[8:9], 2, v[0:1]
	v_mov_b32_e32 v1, s17
	v_add_co_u32_e32 v8, vcc, s16, v8
	s_lshl_b32 s8, s9, 5
	v_addc_co_u32_e32 v9, vcc, v1, v9, vcc
	s_mov_b64 s[4:5], 0
	v_mov_b32_e32 v1, s13
	v_mov_b32_e32 v3, s3
	;; [unrolled: 1-line block ×3, first 2 shown]
.LBB168_5:                              ; =>This Inner Loop Header: Depth=1
	v_ashrrev_i32_e32 v5, 31, v4
	global_load_dword v11, v[8:9], off
	v_lshlrev_b64 v[12:13], 4, v[4:5]
	v_add_co_u32_e32 v12, vcc, s6, v12
	v_addc_co_u32_e32 v13, vcc, v10, v13, vcc
	global_load_dwordx4 v[12:15], v[12:13], off
	v_ashrrev_i32_e32 v7, 31, v6
	v_lshlrev_b64 v[16:17], 2, v[6:7]
	v_add_co_u32_e32 v8, vcc, 0x80, v8
	v_add_co_u32_e64 v16, s[0:1], s12, v16
	v_add_u32_e32 v0, 32, v0
	v_lshlrev_b64 v[18:19], 4, v[6:7]
	v_addc_co_u32_e32 v9, vcc, 0, v9, vcc
	v_addc_co_u32_e64 v17, s[0:1], v1, v17, s[0:1]
	v_cmp_le_i32_e32 vcc, s14, v0
	v_add_co_u32_e64 v18, s[0:1], s2, v18
	v_add_u32_e32 v4, s10, v4
	v_add_u32_e32 v6, s8, v6
	v_addc_co_u32_e64 v19, s[0:1], v3, v19, s[0:1]
	s_or_b64 s[4:5], vcc, s[4:5]
	s_waitcnt vmcnt(1)
	v_subrev_u32_e32 v5, s11, v11
	v_mad_u64_u32 v[20:21], s[0:1], v5, s9, v[2:3]
	global_store_dword v[16:17], v20, off
	s_waitcnt vmcnt(1)
	global_store_dwordx4 v[18:19], v[12:15], off
	s_andn2_b64 exec, exec, s[4:5]
	s_cbranch_execnz .LBB168_5
.LBB168_6:
	s_endpgm
	.section	.rodata,"a",@progbits
	.p2align	6, 0x0
	.amdhsa_kernel _ZN9rocsparseL35gebsr2csr_block_per_row_1_32_kernelILi1024ELi16ELi2E21rocsparse_complex_numIdEEEv20rocsparse_direction_ii21rocsparse_index_base_PKT2_PKiS9_iiS4_PS5_PiSB_
		.amdhsa_group_segment_fixed_size 0
		.amdhsa_private_segment_fixed_size 0
		.amdhsa_kernarg_size 80
		.amdhsa_user_sgpr_count 6
		.amdhsa_user_sgpr_private_segment_buffer 1
		.amdhsa_user_sgpr_dispatch_ptr 0
		.amdhsa_user_sgpr_queue_ptr 0
		.amdhsa_user_sgpr_kernarg_segment_ptr 1
		.amdhsa_user_sgpr_dispatch_id 0
		.amdhsa_user_sgpr_flat_scratch_init 0
		.amdhsa_user_sgpr_kernarg_preload_length 0
		.amdhsa_user_sgpr_kernarg_preload_offset 0
		.amdhsa_user_sgpr_private_segment_size 0
		.amdhsa_uses_dynamic_stack 0
		.amdhsa_system_sgpr_private_segment_wavefront_offset 0
		.amdhsa_system_sgpr_workgroup_id_x 1
		.amdhsa_system_sgpr_workgroup_id_y 0
		.amdhsa_system_sgpr_workgroup_id_z 0
		.amdhsa_system_sgpr_workgroup_info 0
		.amdhsa_system_vgpr_workitem_id 0
		.amdhsa_next_free_vgpr 22
		.amdhsa_next_free_sgpr 19
		.amdhsa_accum_offset 24
		.amdhsa_reserve_vcc 1
		.amdhsa_reserve_flat_scratch 0
		.amdhsa_float_round_mode_32 0
		.amdhsa_float_round_mode_16_64 0
		.amdhsa_float_denorm_mode_32 3
		.amdhsa_float_denorm_mode_16_64 3
		.amdhsa_dx10_clamp 1
		.amdhsa_ieee_mode 1
		.amdhsa_fp16_overflow 0
		.amdhsa_tg_split 0
		.amdhsa_exception_fp_ieee_invalid_op 0
		.amdhsa_exception_fp_denorm_src 0
		.amdhsa_exception_fp_ieee_div_zero 0
		.amdhsa_exception_fp_ieee_overflow 0
		.amdhsa_exception_fp_ieee_underflow 0
		.amdhsa_exception_fp_ieee_inexact 0
		.amdhsa_exception_int_div_zero 0
	.end_amdhsa_kernel
	.section	.text._ZN9rocsparseL35gebsr2csr_block_per_row_1_32_kernelILi1024ELi16ELi2E21rocsparse_complex_numIdEEEv20rocsparse_direction_ii21rocsparse_index_base_PKT2_PKiS9_iiS4_PS5_PiSB_,"axG",@progbits,_ZN9rocsparseL35gebsr2csr_block_per_row_1_32_kernelILi1024ELi16ELi2E21rocsparse_complex_numIdEEEv20rocsparse_direction_ii21rocsparse_index_base_PKT2_PKiS9_iiS4_PS5_PiSB_,comdat
.Lfunc_end168:
	.size	_ZN9rocsparseL35gebsr2csr_block_per_row_1_32_kernelILi1024ELi16ELi2E21rocsparse_complex_numIdEEEv20rocsparse_direction_ii21rocsparse_index_base_PKT2_PKiS9_iiS4_PS5_PiSB_, .Lfunc_end168-_ZN9rocsparseL35gebsr2csr_block_per_row_1_32_kernelILi1024ELi16ELi2E21rocsparse_complex_numIdEEEv20rocsparse_direction_ii21rocsparse_index_base_PKT2_PKiS9_iiS4_PS5_PiSB_
                                        ; -- End function
	.section	.AMDGPU.csdata,"",@progbits
; Kernel info:
; codeLenInByte = 568
; NumSgprs: 23
; NumVgprs: 22
; NumAgprs: 0
; TotalNumVgprs: 22
; ScratchSize: 0
; MemoryBound: 0
; FloatMode: 240
; IeeeMode: 1
; LDSByteSize: 0 bytes/workgroup (compile time only)
; SGPRBlocks: 2
; VGPRBlocks: 2
; NumSGPRsForWavesPerEU: 23
; NumVGPRsForWavesPerEU: 22
; AccumOffset: 24
; Occupancy: 8
; WaveLimiterHint : 0
; COMPUTE_PGM_RSRC2:SCRATCH_EN: 0
; COMPUTE_PGM_RSRC2:USER_SGPR: 6
; COMPUTE_PGM_RSRC2:TRAP_HANDLER: 0
; COMPUTE_PGM_RSRC2:TGID_X_EN: 1
; COMPUTE_PGM_RSRC2:TGID_Y_EN: 0
; COMPUTE_PGM_RSRC2:TGID_Z_EN: 0
; COMPUTE_PGM_RSRC2:TIDIG_COMP_CNT: 0
; COMPUTE_PGM_RSRC3_GFX90A:ACCUM_OFFSET: 5
; COMPUTE_PGM_RSRC3_GFX90A:TG_SPLIT: 0
	.section	.text._ZN9rocsparseL35gebsr2csr_block_per_row_1_32_kernelILi1024ELi16ELi4E21rocsparse_complex_numIdEEEv20rocsparse_direction_ii21rocsparse_index_base_PKT2_PKiS9_iiS4_PS5_PiSB_,"axG",@progbits,_ZN9rocsparseL35gebsr2csr_block_per_row_1_32_kernelILi1024ELi16ELi4E21rocsparse_complex_numIdEEEv20rocsparse_direction_ii21rocsparse_index_base_PKT2_PKiS9_iiS4_PS5_PiSB_,comdat
	.globl	_ZN9rocsparseL35gebsr2csr_block_per_row_1_32_kernelILi1024ELi16ELi4E21rocsparse_complex_numIdEEEv20rocsparse_direction_ii21rocsparse_index_base_PKT2_PKiS9_iiS4_PS5_PiSB_ ; -- Begin function _ZN9rocsparseL35gebsr2csr_block_per_row_1_32_kernelILi1024ELi16ELi4E21rocsparse_complex_numIdEEEv20rocsparse_direction_ii21rocsparse_index_base_PKT2_PKiS9_iiS4_PS5_PiSB_
	.p2align	8
	.type	_ZN9rocsparseL35gebsr2csr_block_per_row_1_32_kernelILi1024ELi16ELi4E21rocsparse_complex_numIdEEEv20rocsparse_direction_ii21rocsparse_index_base_PKT2_PKiS9_iiS4_PS5_PiSB_,@function
_ZN9rocsparseL35gebsr2csr_block_per_row_1_32_kernelILi1024ELi16ELi4E21rocsparse_complex_numIdEEEv20rocsparse_direction_ii21rocsparse_index_base_PKT2_PKiS9_iiS4_PS5_PiSB_: ; @_ZN9rocsparseL35gebsr2csr_block_per_row_1_32_kernelILi1024ELi16ELi4E21rocsparse_complex_numIdEEEv20rocsparse_direction_ii21rocsparse_index_base_PKT2_PKiS9_iiS4_PS5_PiSB_
; %bb.0:
	s_load_dwordx2 s[0:1], s[4:5], 0x18
	s_load_dwordx4 s[8:11], s[4:5], 0x28
	s_load_dwordx2 s[2:3], s[4:5], 0x40
	s_ashr_i32 s7, s6, 31
	s_lshl_b64 s[12:13], s[6:7], 2
	s_waitcnt lgkmcnt(0)
	s_add_u32 s12, s0, s12
	v_or_b32_e32 v1, s6, v0
	s_addc_u32 s13, s1, s13
	v_cmp_eq_u32_e32 vcc, 0, v1
	s_and_saveexec_b64 s[0:1], vcc
	s_cbranch_execz .LBB169_2
; %bb.1:
	v_mov_b32_e32 v1, 0
	v_mov_b32_e32 v2, s10
	global_store_dword v1, v2, s[2:3]
.LBB169_2:
	s_or_b64 exec, exec, s[0:1]
	v_and_b32_e32 v6, 3, v0
	v_bfe_u32 v8, v0, 2, 4
	v_cmp_gt_i32_e32 vcc, s8, v8
	v_cmp_gt_i32_e64 s[0:1], s9, v6
	s_and_b64 s[0:1], vcc, s[0:1]
	s_and_saveexec_b64 s[14:15], s[0:1]
	s_cbranch_execz .LBB169_6
; %bb.3:
	s_load_dwordx2 s[14:15], s[12:13], 0x0
	s_load_dword s11, s[4:5], 0xc
	s_mul_i32 s6, s6, s8
	v_add_u32_e32 v2, s6, v8
	s_mul_i32 s1, s9, s8
	v_ashrrev_i32_e32 v3, 31, v2
	s_waitcnt lgkmcnt(0)
	s_sub_i32 s0, s14, s11
	s_sub_i32 s14, s15, s11
	;; [unrolled: 1-line block ×3, first 2 shown]
	s_mul_i32 s12, s15, s9
	v_lshrrev_b32_e32 v1, 6, v0
	s_mul_i32 s7, s0, s1
	v_mul_lo_u32 v0, s12, v8
	s_add_i32 s12, s12, s10
	v_lshlrev_b64 v[2:3], 2, v[2:3]
	s_add_i32 s12, s12, s7
	v_mov_b32_e32 v4, s3
	v_add_co_u32_e32 v2, vcc, s2, v2
	v_add_u32_e32 v0, s12, v0
	v_addc_co_u32_e32 v3, vcc, v4, v3, vcc
	global_store_dword v[2:3], v0, off offset:4
	v_add_u32_e32 v0, s0, v1
	v_cmp_gt_i32_e32 vcc, s14, v0
	s_and_b64 exec, exec, vcc
	s_cbranch_execz .LBB169_6
; %bb.4:
	s_load_dwordx2 s[16:17], s[4:5], 0x20
	s_load_dwordx2 s[2:3], s[4:5], 0x38
	s_load_dword s18, s[4:5], 0x0
	s_load_dwordx2 s[6:7], s[4:5], 0x10
	s_load_dwordx2 s[12:13], s[4:5], 0x48
	v_mad_u64_u32 v[4:5], s[4:5], v6, s8, v[8:9]
	s_waitcnt lgkmcnt(0)
	s_cmp_eq_u32 s18, 0
	v_mad_u64_u32 v[10:11], s[4:5], v8, s9, v[6:7]
	s_cselect_b64 vcc, -1, 0
	s_mul_i32 s0, s8, s0
	v_mul_lo_u32 v3, s15, v8
	v_cndmask_b32_e32 v4, v4, v10, vcc
	v_add3_u32 v1, v1, s0, v3
	v_add_u32_e32 v2, s10, v6
	v_mad_u64_u32 v[4:5], s[4:5], s1, v0, v[4:5]
	s_lshl_b32 s10, s1, 4
	v_mad_u64_u32 v[6:7], s[0:1], s9, v1, v[6:7]
	v_ashrrev_i32_e32 v1, 31, v0
	v_lshlrev_b64 v[8:9], 2, v[0:1]
	v_mov_b32_e32 v1, s17
	v_add_co_u32_e32 v8, vcc, s16, v8
	s_lshl_b32 s8, s9, 4
	v_addc_co_u32_e32 v9, vcc, v1, v9, vcc
	s_mov_b64 s[4:5], 0
	v_mov_b32_e32 v1, s13
	v_mov_b32_e32 v3, s3
	;; [unrolled: 1-line block ×3, first 2 shown]
.LBB169_5:                              ; =>This Inner Loop Header: Depth=1
	v_ashrrev_i32_e32 v5, 31, v4
	global_load_dword v11, v[8:9], off
	v_lshlrev_b64 v[12:13], 4, v[4:5]
	v_add_co_u32_e32 v12, vcc, s6, v12
	v_addc_co_u32_e32 v13, vcc, v10, v13, vcc
	global_load_dwordx4 v[12:15], v[12:13], off
	v_ashrrev_i32_e32 v7, 31, v6
	v_lshlrev_b64 v[16:17], 2, v[6:7]
	v_add_co_u32_e32 v8, vcc, 64, v8
	v_add_co_u32_e64 v16, s[0:1], s12, v16
	v_add_u32_e32 v0, 16, v0
	v_addc_co_u32_e32 v9, vcc, 0, v9, vcc
	v_lshlrev_b64 v[18:19], 4, v[6:7]
	v_addc_co_u32_e64 v17, s[0:1], v1, v17, s[0:1]
	v_cmp_le_i32_e32 vcc, s14, v0
	v_add_co_u32_e64 v18, s[0:1], s2, v18
	v_add_u32_e32 v4, s10, v4
	v_add_u32_e32 v6, s8, v6
	v_addc_co_u32_e64 v19, s[0:1], v3, v19, s[0:1]
	s_or_b64 s[4:5], vcc, s[4:5]
	s_waitcnt vmcnt(1)
	v_subrev_u32_e32 v5, s11, v11
	v_mad_u64_u32 v[20:21], s[0:1], v5, s9, v[2:3]
	global_store_dword v[16:17], v20, off
	s_waitcnt vmcnt(1)
	global_store_dwordx4 v[18:19], v[12:15], off
	s_andn2_b64 exec, exec, s[4:5]
	s_cbranch_execnz .LBB169_5
.LBB169_6:
	s_endpgm
	.section	.rodata,"a",@progbits
	.p2align	6, 0x0
	.amdhsa_kernel _ZN9rocsparseL35gebsr2csr_block_per_row_1_32_kernelILi1024ELi16ELi4E21rocsparse_complex_numIdEEEv20rocsparse_direction_ii21rocsparse_index_base_PKT2_PKiS9_iiS4_PS5_PiSB_
		.amdhsa_group_segment_fixed_size 0
		.amdhsa_private_segment_fixed_size 0
		.amdhsa_kernarg_size 80
		.amdhsa_user_sgpr_count 6
		.amdhsa_user_sgpr_private_segment_buffer 1
		.amdhsa_user_sgpr_dispatch_ptr 0
		.amdhsa_user_sgpr_queue_ptr 0
		.amdhsa_user_sgpr_kernarg_segment_ptr 1
		.amdhsa_user_sgpr_dispatch_id 0
		.amdhsa_user_sgpr_flat_scratch_init 0
		.amdhsa_user_sgpr_kernarg_preload_length 0
		.amdhsa_user_sgpr_kernarg_preload_offset 0
		.amdhsa_user_sgpr_private_segment_size 0
		.amdhsa_uses_dynamic_stack 0
		.amdhsa_system_sgpr_private_segment_wavefront_offset 0
		.amdhsa_system_sgpr_workgroup_id_x 1
		.amdhsa_system_sgpr_workgroup_id_y 0
		.amdhsa_system_sgpr_workgroup_id_z 0
		.amdhsa_system_sgpr_workgroup_info 0
		.amdhsa_system_vgpr_workitem_id 0
		.amdhsa_next_free_vgpr 22
		.amdhsa_next_free_sgpr 19
		.amdhsa_accum_offset 24
		.amdhsa_reserve_vcc 1
		.amdhsa_reserve_flat_scratch 0
		.amdhsa_float_round_mode_32 0
		.amdhsa_float_round_mode_16_64 0
		.amdhsa_float_denorm_mode_32 3
		.amdhsa_float_denorm_mode_16_64 3
		.amdhsa_dx10_clamp 1
		.amdhsa_ieee_mode 1
		.amdhsa_fp16_overflow 0
		.amdhsa_tg_split 0
		.amdhsa_exception_fp_ieee_invalid_op 0
		.amdhsa_exception_fp_denorm_src 0
		.amdhsa_exception_fp_ieee_div_zero 0
		.amdhsa_exception_fp_ieee_overflow 0
		.amdhsa_exception_fp_ieee_underflow 0
		.amdhsa_exception_fp_ieee_inexact 0
		.amdhsa_exception_int_div_zero 0
	.end_amdhsa_kernel
	.section	.text._ZN9rocsparseL35gebsr2csr_block_per_row_1_32_kernelILi1024ELi16ELi4E21rocsparse_complex_numIdEEEv20rocsparse_direction_ii21rocsparse_index_base_PKT2_PKiS9_iiS4_PS5_PiSB_,"axG",@progbits,_ZN9rocsparseL35gebsr2csr_block_per_row_1_32_kernelILi1024ELi16ELi4E21rocsparse_complex_numIdEEEv20rocsparse_direction_ii21rocsparse_index_base_PKT2_PKiS9_iiS4_PS5_PiSB_,comdat
.Lfunc_end169:
	.size	_ZN9rocsparseL35gebsr2csr_block_per_row_1_32_kernelILi1024ELi16ELi4E21rocsparse_complex_numIdEEEv20rocsparse_direction_ii21rocsparse_index_base_PKT2_PKiS9_iiS4_PS5_PiSB_, .Lfunc_end169-_ZN9rocsparseL35gebsr2csr_block_per_row_1_32_kernelILi1024ELi16ELi4E21rocsparse_complex_numIdEEEv20rocsparse_direction_ii21rocsparse_index_base_PKT2_PKiS9_iiS4_PS5_PiSB_
                                        ; -- End function
	.section	.AMDGPU.csdata,"",@progbits
; Kernel info:
; codeLenInByte = 564
; NumSgprs: 23
; NumVgprs: 22
; NumAgprs: 0
; TotalNumVgprs: 22
; ScratchSize: 0
; MemoryBound: 0
; FloatMode: 240
; IeeeMode: 1
; LDSByteSize: 0 bytes/workgroup (compile time only)
; SGPRBlocks: 2
; VGPRBlocks: 2
; NumSGPRsForWavesPerEU: 23
; NumVGPRsForWavesPerEU: 22
; AccumOffset: 24
; Occupancy: 8
; WaveLimiterHint : 0
; COMPUTE_PGM_RSRC2:SCRATCH_EN: 0
; COMPUTE_PGM_RSRC2:USER_SGPR: 6
; COMPUTE_PGM_RSRC2:TRAP_HANDLER: 0
; COMPUTE_PGM_RSRC2:TGID_X_EN: 1
; COMPUTE_PGM_RSRC2:TGID_Y_EN: 0
; COMPUTE_PGM_RSRC2:TGID_Z_EN: 0
; COMPUTE_PGM_RSRC2:TIDIG_COMP_CNT: 0
; COMPUTE_PGM_RSRC3_GFX90A:ACCUM_OFFSET: 5
; COMPUTE_PGM_RSRC3_GFX90A:TG_SPLIT: 0
	.section	.text._ZN9rocsparseL35gebsr2csr_block_per_row_1_32_kernelILi1024ELi16ELi8E21rocsparse_complex_numIdEEEv20rocsparse_direction_ii21rocsparse_index_base_PKT2_PKiS9_iiS4_PS5_PiSB_,"axG",@progbits,_ZN9rocsparseL35gebsr2csr_block_per_row_1_32_kernelILi1024ELi16ELi8E21rocsparse_complex_numIdEEEv20rocsparse_direction_ii21rocsparse_index_base_PKT2_PKiS9_iiS4_PS5_PiSB_,comdat
	.globl	_ZN9rocsparseL35gebsr2csr_block_per_row_1_32_kernelILi1024ELi16ELi8E21rocsparse_complex_numIdEEEv20rocsparse_direction_ii21rocsparse_index_base_PKT2_PKiS9_iiS4_PS5_PiSB_ ; -- Begin function _ZN9rocsparseL35gebsr2csr_block_per_row_1_32_kernelILi1024ELi16ELi8E21rocsparse_complex_numIdEEEv20rocsparse_direction_ii21rocsparse_index_base_PKT2_PKiS9_iiS4_PS5_PiSB_
	.p2align	8
	.type	_ZN9rocsparseL35gebsr2csr_block_per_row_1_32_kernelILi1024ELi16ELi8E21rocsparse_complex_numIdEEEv20rocsparse_direction_ii21rocsparse_index_base_PKT2_PKiS9_iiS4_PS5_PiSB_,@function
_ZN9rocsparseL35gebsr2csr_block_per_row_1_32_kernelILi1024ELi16ELi8E21rocsparse_complex_numIdEEEv20rocsparse_direction_ii21rocsparse_index_base_PKT2_PKiS9_iiS4_PS5_PiSB_: ; @_ZN9rocsparseL35gebsr2csr_block_per_row_1_32_kernelILi1024ELi16ELi8E21rocsparse_complex_numIdEEEv20rocsparse_direction_ii21rocsparse_index_base_PKT2_PKiS9_iiS4_PS5_PiSB_
; %bb.0:
	s_load_dwordx2 s[0:1], s[4:5], 0x18
	s_load_dwordx4 s[8:11], s[4:5], 0x28
	s_load_dwordx2 s[2:3], s[4:5], 0x40
	s_ashr_i32 s7, s6, 31
	s_lshl_b64 s[12:13], s[6:7], 2
	s_waitcnt lgkmcnt(0)
	s_add_u32 s12, s0, s12
	v_or_b32_e32 v1, s6, v0
	s_addc_u32 s13, s1, s13
	v_cmp_eq_u32_e32 vcc, 0, v1
	s_and_saveexec_b64 s[0:1], vcc
	s_cbranch_execz .LBB170_2
; %bb.1:
	v_mov_b32_e32 v1, 0
	v_mov_b32_e32 v2, s10
	global_store_dword v1, v2, s[2:3]
.LBB170_2:
	s_or_b64 exec, exec, s[0:1]
	v_and_b32_e32 v6, 7, v0
	v_bfe_u32 v8, v0, 3, 4
	v_cmp_gt_i32_e32 vcc, s8, v8
	v_cmp_gt_i32_e64 s[0:1], s9, v6
	s_and_b64 s[0:1], vcc, s[0:1]
	s_and_saveexec_b64 s[14:15], s[0:1]
	s_cbranch_execz .LBB170_6
; %bb.3:
	s_load_dwordx2 s[14:15], s[12:13], 0x0
	s_load_dword s11, s[4:5], 0xc
	s_mul_i32 s6, s6, s8
	v_add_u32_e32 v2, s6, v8
	s_mul_i32 s1, s9, s8
	v_ashrrev_i32_e32 v3, 31, v2
	s_waitcnt lgkmcnt(0)
	s_sub_i32 s0, s14, s11
	s_sub_i32 s14, s15, s11
	s_sub_i32 s15, s14, s0
	s_mul_i32 s12, s15, s9
	v_lshrrev_b32_e32 v1, 7, v0
	s_mul_i32 s7, s0, s1
	v_mul_lo_u32 v0, s12, v8
	s_add_i32 s12, s12, s10
	v_lshlrev_b64 v[2:3], 2, v[2:3]
	s_add_i32 s12, s12, s7
	v_mov_b32_e32 v4, s3
	v_add_co_u32_e32 v2, vcc, s2, v2
	v_add_u32_e32 v0, s12, v0
	v_addc_co_u32_e32 v3, vcc, v4, v3, vcc
	global_store_dword v[2:3], v0, off offset:4
	v_add_u32_e32 v0, s0, v1
	v_cmp_gt_i32_e32 vcc, s14, v0
	s_and_b64 exec, exec, vcc
	s_cbranch_execz .LBB170_6
; %bb.4:
	s_load_dwordx2 s[16:17], s[4:5], 0x20
	s_load_dwordx2 s[2:3], s[4:5], 0x38
	s_load_dword s18, s[4:5], 0x0
	s_load_dwordx2 s[6:7], s[4:5], 0x10
	s_load_dwordx2 s[12:13], s[4:5], 0x48
	v_mad_u64_u32 v[4:5], s[4:5], v6, s8, v[8:9]
	s_waitcnt lgkmcnt(0)
	s_cmp_eq_u32 s18, 0
	v_mad_u64_u32 v[10:11], s[4:5], v8, s9, v[6:7]
	s_cselect_b64 vcc, -1, 0
	s_mul_i32 s0, s8, s0
	v_mul_lo_u32 v3, s15, v8
	v_cndmask_b32_e32 v4, v4, v10, vcc
	v_add3_u32 v1, v1, s0, v3
	v_add_u32_e32 v2, s10, v6
	v_mad_u64_u32 v[4:5], s[4:5], s1, v0, v[4:5]
	s_lshl_b32 s10, s1, 3
	v_mad_u64_u32 v[6:7], s[0:1], s9, v1, v[6:7]
	v_ashrrev_i32_e32 v1, 31, v0
	v_lshlrev_b64 v[8:9], 2, v[0:1]
	v_mov_b32_e32 v1, s17
	v_add_co_u32_e32 v8, vcc, s16, v8
	s_lshl_b32 s8, s9, 3
	v_addc_co_u32_e32 v9, vcc, v1, v9, vcc
	s_mov_b64 s[4:5], 0
	v_mov_b32_e32 v1, s13
	v_mov_b32_e32 v3, s3
	;; [unrolled: 1-line block ×3, first 2 shown]
.LBB170_5:                              ; =>This Inner Loop Header: Depth=1
	v_ashrrev_i32_e32 v5, 31, v4
	global_load_dword v11, v[8:9], off
	v_lshlrev_b64 v[12:13], 4, v[4:5]
	v_add_co_u32_e32 v12, vcc, s6, v12
	v_addc_co_u32_e32 v13, vcc, v10, v13, vcc
	global_load_dwordx4 v[12:15], v[12:13], off
	v_ashrrev_i32_e32 v7, 31, v6
	v_lshlrev_b64 v[16:17], 2, v[6:7]
	v_add_co_u32_e32 v8, vcc, 32, v8
	v_add_co_u32_e64 v16, s[0:1], s12, v16
	v_add_u32_e32 v0, 8, v0
	v_addc_co_u32_e32 v9, vcc, 0, v9, vcc
	v_lshlrev_b64 v[18:19], 4, v[6:7]
	v_addc_co_u32_e64 v17, s[0:1], v1, v17, s[0:1]
	v_cmp_le_i32_e32 vcc, s14, v0
	v_add_co_u32_e64 v18, s[0:1], s2, v18
	v_add_u32_e32 v4, s10, v4
	v_add_u32_e32 v6, s8, v6
	v_addc_co_u32_e64 v19, s[0:1], v3, v19, s[0:1]
	s_or_b64 s[4:5], vcc, s[4:5]
	s_waitcnt vmcnt(1)
	v_subrev_u32_e32 v5, s11, v11
	v_mad_u64_u32 v[20:21], s[0:1], v5, s9, v[2:3]
	global_store_dword v[16:17], v20, off
	s_waitcnt vmcnt(1)
	global_store_dwordx4 v[18:19], v[12:15], off
	s_andn2_b64 exec, exec, s[4:5]
	s_cbranch_execnz .LBB170_5
.LBB170_6:
	s_endpgm
	.section	.rodata,"a",@progbits
	.p2align	6, 0x0
	.amdhsa_kernel _ZN9rocsparseL35gebsr2csr_block_per_row_1_32_kernelILi1024ELi16ELi8E21rocsparse_complex_numIdEEEv20rocsparse_direction_ii21rocsparse_index_base_PKT2_PKiS9_iiS4_PS5_PiSB_
		.amdhsa_group_segment_fixed_size 0
		.amdhsa_private_segment_fixed_size 0
		.amdhsa_kernarg_size 80
		.amdhsa_user_sgpr_count 6
		.amdhsa_user_sgpr_private_segment_buffer 1
		.amdhsa_user_sgpr_dispatch_ptr 0
		.amdhsa_user_sgpr_queue_ptr 0
		.amdhsa_user_sgpr_kernarg_segment_ptr 1
		.amdhsa_user_sgpr_dispatch_id 0
		.amdhsa_user_sgpr_flat_scratch_init 0
		.amdhsa_user_sgpr_kernarg_preload_length 0
		.amdhsa_user_sgpr_kernarg_preload_offset 0
		.amdhsa_user_sgpr_private_segment_size 0
		.amdhsa_uses_dynamic_stack 0
		.amdhsa_system_sgpr_private_segment_wavefront_offset 0
		.amdhsa_system_sgpr_workgroup_id_x 1
		.amdhsa_system_sgpr_workgroup_id_y 0
		.amdhsa_system_sgpr_workgroup_id_z 0
		.amdhsa_system_sgpr_workgroup_info 0
		.amdhsa_system_vgpr_workitem_id 0
		.amdhsa_next_free_vgpr 22
		.amdhsa_next_free_sgpr 19
		.amdhsa_accum_offset 24
		.amdhsa_reserve_vcc 1
		.amdhsa_reserve_flat_scratch 0
		.amdhsa_float_round_mode_32 0
		.amdhsa_float_round_mode_16_64 0
		.amdhsa_float_denorm_mode_32 3
		.amdhsa_float_denorm_mode_16_64 3
		.amdhsa_dx10_clamp 1
		.amdhsa_ieee_mode 1
		.amdhsa_fp16_overflow 0
		.amdhsa_tg_split 0
		.amdhsa_exception_fp_ieee_invalid_op 0
		.amdhsa_exception_fp_denorm_src 0
		.amdhsa_exception_fp_ieee_div_zero 0
		.amdhsa_exception_fp_ieee_overflow 0
		.amdhsa_exception_fp_ieee_underflow 0
		.amdhsa_exception_fp_ieee_inexact 0
		.amdhsa_exception_int_div_zero 0
	.end_amdhsa_kernel
	.section	.text._ZN9rocsparseL35gebsr2csr_block_per_row_1_32_kernelILi1024ELi16ELi8E21rocsparse_complex_numIdEEEv20rocsparse_direction_ii21rocsparse_index_base_PKT2_PKiS9_iiS4_PS5_PiSB_,"axG",@progbits,_ZN9rocsparseL35gebsr2csr_block_per_row_1_32_kernelILi1024ELi16ELi8E21rocsparse_complex_numIdEEEv20rocsparse_direction_ii21rocsparse_index_base_PKT2_PKiS9_iiS4_PS5_PiSB_,comdat
.Lfunc_end170:
	.size	_ZN9rocsparseL35gebsr2csr_block_per_row_1_32_kernelILi1024ELi16ELi8E21rocsparse_complex_numIdEEEv20rocsparse_direction_ii21rocsparse_index_base_PKT2_PKiS9_iiS4_PS5_PiSB_, .Lfunc_end170-_ZN9rocsparseL35gebsr2csr_block_per_row_1_32_kernelILi1024ELi16ELi8E21rocsparse_complex_numIdEEEv20rocsparse_direction_ii21rocsparse_index_base_PKT2_PKiS9_iiS4_PS5_PiSB_
                                        ; -- End function
	.section	.AMDGPU.csdata,"",@progbits
; Kernel info:
; codeLenInByte = 564
; NumSgprs: 23
; NumVgprs: 22
; NumAgprs: 0
; TotalNumVgprs: 22
; ScratchSize: 0
; MemoryBound: 0
; FloatMode: 240
; IeeeMode: 1
; LDSByteSize: 0 bytes/workgroup (compile time only)
; SGPRBlocks: 2
; VGPRBlocks: 2
; NumSGPRsForWavesPerEU: 23
; NumVGPRsForWavesPerEU: 22
; AccumOffset: 24
; Occupancy: 8
; WaveLimiterHint : 0
; COMPUTE_PGM_RSRC2:SCRATCH_EN: 0
; COMPUTE_PGM_RSRC2:USER_SGPR: 6
; COMPUTE_PGM_RSRC2:TRAP_HANDLER: 0
; COMPUTE_PGM_RSRC2:TGID_X_EN: 1
; COMPUTE_PGM_RSRC2:TGID_Y_EN: 0
; COMPUTE_PGM_RSRC2:TGID_Z_EN: 0
; COMPUTE_PGM_RSRC2:TIDIG_COMP_CNT: 0
; COMPUTE_PGM_RSRC3_GFX90A:ACCUM_OFFSET: 5
; COMPUTE_PGM_RSRC3_GFX90A:TG_SPLIT: 0
	.section	.text._ZN9rocsparseL35gebsr2csr_block_per_row_1_32_kernelILi1024ELi16ELi16E21rocsparse_complex_numIdEEEv20rocsparse_direction_ii21rocsparse_index_base_PKT2_PKiS9_iiS4_PS5_PiSB_,"axG",@progbits,_ZN9rocsparseL35gebsr2csr_block_per_row_1_32_kernelILi1024ELi16ELi16E21rocsparse_complex_numIdEEEv20rocsparse_direction_ii21rocsparse_index_base_PKT2_PKiS9_iiS4_PS5_PiSB_,comdat
	.globl	_ZN9rocsparseL35gebsr2csr_block_per_row_1_32_kernelILi1024ELi16ELi16E21rocsparse_complex_numIdEEEv20rocsparse_direction_ii21rocsparse_index_base_PKT2_PKiS9_iiS4_PS5_PiSB_ ; -- Begin function _ZN9rocsparseL35gebsr2csr_block_per_row_1_32_kernelILi1024ELi16ELi16E21rocsparse_complex_numIdEEEv20rocsparse_direction_ii21rocsparse_index_base_PKT2_PKiS9_iiS4_PS5_PiSB_
	.p2align	8
	.type	_ZN9rocsparseL35gebsr2csr_block_per_row_1_32_kernelILi1024ELi16ELi16E21rocsparse_complex_numIdEEEv20rocsparse_direction_ii21rocsparse_index_base_PKT2_PKiS9_iiS4_PS5_PiSB_,@function
_ZN9rocsparseL35gebsr2csr_block_per_row_1_32_kernelILi1024ELi16ELi16E21rocsparse_complex_numIdEEEv20rocsparse_direction_ii21rocsparse_index_base_PKT2_PKiS9_iiS4_PS5_PiSB_: ; @_ZN9rocsparseL35gebsr2csr_block_per_row_1_32_kernelILi1024ELi16ELi16E21rocsparse_complex_numIdEEEv20rocsparse_direction_ii21rocsparse_index_base_PKT2_PKiS9_iiS4_PS5_PiSB_
; %bb.0:
	s_load_dwordx2 s[0:1], s[4:5], 0x18
	s_load_dwordx4 s[8:11], s[4:5], 0x28
	s_load_dwordx2 s[2:3], s[4:5], 0x40
	s_ashr_i32 s7, s6, 31
	s_lshl_b64 s[12:13], s[6:7], 2
	s_waitcnt lgkmcnt(0)
	s_add_u32 s12, s0, s12
	v_or_b32_e32 v1, s6, v0
	s_addc_u32 s13, s1, s13
	v_cmp_eq_u32_e32 vcc, 0, v1
	s_and_saveexec_b64 s[0:1], vcc
	s_cbranch_execz .LBB171_2
; %bb.1:
	v_mov_b32_e32 v1, 0
	v_mov_b32_e32 v2, s10
	global_store_dword v1, v2, s[2:3]
.LBB171_2:
	s_or_b64 exec, exec, s[0:1]
	v_and_b32_e32 v6, 15, v0
	v_bfe_u32 v8, v0, 4, 4
	v_cmp_gt_i32_e32 vcc, s8, v8
	v_cmp_gt_i32_e64 s[0:1], s9, v6
	s_and_b64 s[0:1], vcc, s[0:1]
	s_and_saveexec_b64 s[14:15], s[0:1]
	s_cbranch_execz .LBB171_6
; %bb.3:
	s_load_dwordx2 s[14:15], s[12:13], 0x0
	s_load_dword s11, s[4:5], 0xc
	s_mul_i32 s6, s6, s8
	v_add_u32_e32 v2, s6, v8
	s_mul_i32 s1, s9, s8
	v_ashrrev_i32_e32 v3, 31, v2
	s_waitcnt lgkmcnt(0)
	s_sub_i32 s0, s14, s11
	s_sub_i32 s14, s15, s11
	;; [unrolled: 1-line block ×3, first 2 shown]
	s_mul_i32 s12, s15, s9
	v_lshrrev_b32_e32 v1, 8, v0
	s_mul_i32 s7, s0, s1
	v_mul_lo_u32 v0, s12, v8
	s_add_i32 s12, s12, s10
	v_lshlrev_b64 v[2:3], 2, v[2:3]
	s_add_i32 s12, s12, s7
	v_mov_b32_e32 v4, s3
	v_add_co_u32_e32 v2, vcc, s2, v2
	v_add_u32_e32 v0, s12, v0
	v_addc_co_u32_e32 v3, vcc, v4, v3, vcc
	global_store_dword v[2:3], v0, off offset:4
	v_add_u32_e32 v0, s0, v1
	v_cmp_gt_i32_e32 vcc, s14, v0
	s_and_b64 exec, exec, vcc
	s_cbranch_execz .LBB171_6
; %bb.4:
	s_load_dwordx2 s[16:17], s[4:5], 0x20
	s_load_dwordx2 s[2:3], s[4:5], 0x38
	s_load_dword s18, s[4:5], 0x0
	s_load_dwordx2 s[6:7], s[4:5], 0x10
	s_load_dwordx2 s[12:13], s[4:5], 0x48
	v_mad_u64_u32 v[4:5], s[4:5], v6, s8, v[8:9]
	s_waitcnt lgkmcnt(0)
	s_cmp_eq_u32 s18, 0
	v_mad_u64_u32 v[10:11], s[4:5], v8, s9, v[6:7]
	s_cselect_b64 vcc, -1, 0
	s_mul_i32 s0, s8, s0
	v_mul_lo_u32 v3, s15, v8
	v_cndmask_b32_e32 v4, v4, v10, vcc
	v_add3_u32 v1, v1, s0, v3
	v_add_u32_e32 v2, s10, v6
	v_mad_u64_u32 v[4:5], s[4:5], s1, v0, v[4:5]
	s_lshl_b32 s10, s1, 2
	v_mad_u64_u32 v[6:7], s[0:1], s9, v1, v[6:7]
	v_ashrrev_i32_e32 v1, 31, v0
	v_lshlrev_b64 v[8:9], 2, v[0:1]
	v_mov_b32_e32 v1, s17
	v_add_co_u32_e32 v8, vcc, s16, v8
	s_lshl_b32 s8, s9, 2
	v_addc_co_u32_e32 v9, vcc, v1, v9, vcc
	s_mov_b64 s[4:5], 0
	v_mov_b32_e32 v1, s13
	v_mov_b32_e32 v3, s3
	;; [unrolled: 1-line block ×3, first 2 shown]
.LBB171_5:                              ; =>This Inner Loop Header: Depth=1
	v_ashrrev_i32_e32 v5, 31, v4
	global_load_dword v11, v[8:9], off
	v_lshlrev_b64 v[12:13], 4, v[4:5]
	v_add_co_u32_e32 v12, vcc, s6, v12
	v_addc_co_u32_e32 v13, vcc, v10, v13, vcc
	global_load_dwordx4 v[12:15], v[12:13], off
	v_ashrrev_i32_e32 v7, 31, v6
	v_lshlrev_b64 v[16:17], 2, v[6:7]
	v_add_co_u32_e32 v8, vcc, 16, v8
	v_add_co_u32_e64 v16, s[0:1], s12, v16
	v_add_u32_e32 v0, 4, v0
	v_addc_co_u32_e32 v9, vcc, 0, v9, vcc
	v_lshlrev_b64 v[18:19], 4, v[6:7]
	v_addc_co_u32_e64 v17, s[0:1], v1, v17, s[0:1]
	v_cmp_le_i32_e32 vcc, s14, v0
	v_add_co_u32_e64 v18, s[0:1], s2, v18
	v_add_u32_e32 v4, s10, v4
	v_add_u32_e32 v6, s8, v6
	v_addc_co_u32_e64 v19, s[0:1], v3, v19, s[0:1]
	s_or_b64 s[4:5], vcc, s[4:5]
	s_waitcnt vmcnt(1)
	v_subrev_u32_e32 v5, s11, v11
	v_mad_u64_u32 v[20:21], s[0:1], v5, s9, v[2:3]
	global_store_dword v[16:17], v20, off
	s_waitcnt vmcnt(1)
	global_store_dwordx4 v[18:19], v[12:15], off
	s_andn2_b64 exec, exec, s[4:5]
	s_cbranch_execnz .LBB171_5
.LBB171_6:
	s_endpgm
	.section	.rodata,"a",@progbits
	.p2align	6, 0x0
	.amdhsa_kernel _ZN9rocsparseL35gebsr2csr_block_per_row_1_32_kernelILi1024ELi16ELi16E21rocsparse_complex_numIdEEEv20rocsparse_direction_ii21rocsparse_index_base_PKT2_PKiS9_iiS4_PS5_PiSB_
		.amdhsa_group_segment_fixed_size 0
		.amdhsa_private_segment_fixed_size 0
		.amdhsa_kernarg_size 80
		.amdhsa_user_sgpr_count 6
		.amdhsa_user_sgpr_private_segment_buffer 1
		.amdhsa_user_sgpr_dispatch_ptr 0
		.amdhsa_user_sgpr_queue_ptr 0
		.amdhsa_user_sgpr_kernarg_segment_ptr 1
		.amdhsa_user_sgpr_dispatch_id 0
		.amdhsa_user_sgpr_flat_scratch_init 0
		.amdhsa_user_sgpr_kernarg_preload_length 0
		.amdhsa_user_sgpr_kernarg_preload_offset 0
		.amdhsa_user_sgpr_private_segment_size 0
		.amdhsa_uses_dynamic_stack 0
		.amdhsa_system_sgpr_private_segment_wavefront_offset 0
		.amdhsa_system_sgpr_workgroup_id_x 1
		.amdhsa_system_sgpr_workgroup_id_y 0
		.amdhsa_system_sgpr_workgroup_id_z 0
		.amdhsa_system_sgpr_workgroup_info 0
		.amdhsa_system_vgpr_workitem_id 0
		.amdhsa_next_free_vgpr 22
		.amdhsa_next_free_sgpr 19
		.amdhsa_accum_offset 24
		.amdhsa_reserve_vcc 1
		.amdhsa_reserve_flat_scratch 0
		.amdhsa_float_round_mode_32 0
		.amdhsa_float_round_mode_16_64 0
		.amdhsa_float_denorm_mode_32 3
		.amdhsa_float_denorm_mode_16_64 3
		.amdhsa_dx10_clamp 1
		.amdhsa_ieee_mode 1
		.amdhsa_fp16_overflow 0
		.amdhsa_tg_split 0
		.amdhsa_exception_fp_ieee_invalid_op 0
		.amdhsa_exception_fp_denorm_src 0
		.amdhsa_exception_fp_ieee_div_zero 0
		.amdhsa_exception_fp_ieee_overflow 0
		.amdhsa_exception_fp_ieee_underflow 0
		.amdhsa_exception_fp_ieee_inexact 0
		.amdhsa_exception_int_div_zero 0
	.end_amdhsa_kernel
	.section	.text._ZN9rocsparseL35gebsr2csr_block_per_row_1_32_kernelILi1024ELi16ELi16E21rocsparse_complex_numIdEEEv20rocsparse_direction_ii21rocsparse_index_base_PKT2_PKiS9_iiS4_PS5_PiSB_,"axG",@progbits,_ZN9rocsparseL35gebsr2csr_block_per_row_1_32_kernelILi1024ELi16ELi16E21rocsparse_complex_numIdEEEv20rocsparse_direction_ii21rocsparse_index_base_PKT2_PKiS9_iiS4_PS5_PiSB_,comdat
.Lfunc_end171:
	.size	_ZN9rocsparseL35gebsr2csr_block_per_row_1_32_kernelILi1024ELi16ELi16E21rocsparse_complex_numIdEEEv20rocsparse_direction_ii21rocsparse_index_base_PKT2_PKiS9_iiS4_PS5_PiSB_, .Lfunc_end171-_ZN9rocsparseL35gebsr2csr_block_per_row_1_32_kernelILi1024ELi16ELi16E21rocsparse_complex_numIdEEEv20rocsparse_direction_ii21rocsparse_index_base_PKT2_PKiS9_iiS4_PS5_PiSB_
                                        ; -- End function
	.section	.AMDGPU.csdata,"",@progbits
; Kernel info:
; codeLenInByte = 564
; NumSgprs: 23
; NumVgprs: 22
; NumAgprs: 0
; TotalNumVgprs: 22
; ScratchSize: 0
; MemoryBound: 0
; FloatMode: 240
; IeeeMode: 1
; LDSByteSize: 0 bytes/workgroup (compile time only)
; SGPRBlocks: 2
; VGPRBlocks: 2
; NumSGPRsForWavesPerEU: 23
; NumVGPRsForWavesPerEU: 22
; AccumOffset: 24
; Occupancy: 8
; WaveLimiterHint : 0
; COMPUTE_PGM_RSRC2:SCRATCH_EN: 0
; COMPUTE_PGM_RSRC2:USER_SGPR: 6
; COMPUTE_PGM_RSRC2:TRAP_HANDLER: 0
; COMPUTE_PGM_RSRC2:TGID_X_EN: 1
; COMPUTE_PGM_RSRC2:TGID_Y_EN: 0
; COMPUTE_PGM_RSRC2:TGID_Z_EN: 0
; COMPUTE_PGM_RSRC2:TIDIG_COMP_CNT: 0
; COMPUTE_PGM_RSRC3_GFX90A:ACCUM_OFFSET: 5
; COMPUTE_PGM_RSRC3_GFX90A:TG_SPLIT: 0
	.section	.text._ZN9rocsparseL35gebsr2csr_block_per_row_1_32_kernelILi1024ELi16ELi32E21rocsparse_complex_numIdEEEv20rocsparse_direction_ii21rocsparse_index_base_PKT2_PKiS9_iiS4_PS5_PiSB_,"axG",@progbits,_ZN9rocsparseL35gebsr2csr_block_per_row_1_32_kernelILi1024ELi16ELi32E21rocsparse_complex_numIdEEEv20rocsparse_direction_ii21rocsparse_index_base_PKT2_PKiS9_iiS4_PS5_PiSB_,comdat
	.globl	_ZN9rocsparseL35gebsr2csr_block_per_row_1_32_kernelILi1024ELi16ELi32E21rocsparse_complex_numIdEEEv20rocsparse_direction_ii21rocsparse_index_base_PKT2_PKiS9_iiS4_PS5_PiSB_ ; -- Begin function _ZN9rocsparseL35gebsr2csr_block_per_row_1_32_kernelILi1024ELi16ELi32E21rocsparse_complex_numIdEEEv20rocsparse_direction_ii21rocsparse_index_base_PKT2_PKiS9_iiS4_PS5_PiSB_
	.p2align	8
	.type	_ZN9rocsparseL35gebsr2csr_block_per_row_1_32_kernelILi1024ELi16ELi32E21rocsparse_complex_numIdEEEv20rocsparse_direction_ii21rocsparse_index_base_PKT2_PKiS9_iiS4_PS5_PiSB_,@function
_ZN9rocsparseL35gebsr2csr_block_per_row_1_32_kernelILi1024ELi16ELi32E21rocsparse_complex_numIdEEEv20rocsparse_direction_ii21rocsparse_index_base_PKT2_PKiS9_iiS4_PS5_PiSB_: ; @_ZN9rocsparseL35gebsr2csr_block_per_row_1_32_kernelILi1024ELi16ELi32E21rocsparse_complex_numIdEEEv20rocsparse_direction_ii21rocsparse_index_base_PKT2_PKiS9_iiS4_PS5_PiSB_
; %bb.0:
	s_load_dwordx2 s[0:1], s[4:5], 0x18
	s_load_dwordx4 s[8:11], s[4:5], 0x28
	s_load_dwordx2 s[2:3], s[4:5], 0x40
	s_ashr_i32 s7, s6, 31
	s_lshl_b64 s[12:13], s[6:7], 2
	s_waitcnt lgkmcnt(0)
	s_add_u32 s12, s0, s12
	v_or_b32_e32 v1, s6, v0
	s_addc_u32 s13, s1, s13
	v_cmp_eq_u32_e32 vcc, 0, v1
	s_and_saveexec_b64 s[0:1], vcc
	s_cbranch_execz .LBB172_2
; %bb.1:
	v_mov_b32_e32 v1, 0
	v_mov_b32_e32 v2, s10
	global_store_dword v1, v2, s[2:3]
.LBB172_2:
	s_or_b64 exec, exec, s[0:1]
	v_and_b32_e32 v6, 31, v0
	v_bfe_u32 v8, v0, 5, 4
	v_cmp_gt_i32_e32 vcc, s8, v8
	v_cmp_gt_i32_e64 s[0:1], s9, v6
	s_and_b64 s[0:1], vcc, s[0:1]
	s_and_saveexec_b64 s[14:15], s[0:1]
	s_cbranch_execz .LBB172_6
; %bb.3:
	s_load_dwordx2 s[14:15], s[12:13], 0x0
	s_load_dword s11, s[4:5], 0xc
	s_mul_i32 s6, s6, s8
	v_add_u32_e32 v2, s6, v8
	s_mul_i32 s1, s9, s8
	v_ashrrev_i32_e32 v3, 31, v2
	s_waitcnt lgkmcnt(0)
	s_sub_i32 s0, s14, s11
	s_sub_i32 s14, s15, s11
	;; [unrolled: 1-line block ×3, first 2 shown]
	s_mul_i32 s12, s15, s9
	v_lshrrev_b32_e32 v1, 9, v0
	s_mul_i32 s7, s0, s1
	v_mul_lo_u32 v0, s12, v8
	s_add_i32 s12, s12, s10
	v_lshlrev_b64 v[2:3], 2, v[2:3]
	s_add_i32 s12, s12, s7
	v_mov_b32_e32 v4, s3
	v_add_co_u32_e32 v2, vcc, s2, v2
	v_add_u32_e32 v0, s12, v0
	v_addc_co_u32_e32 v3, vcc, v4, v3, vcc
	global_store_dword v[2:3], v0, off offset:4
	v_add_u32_e32 v0, s0, v1
	v_cmp_gt_i32_e32 vcc, s14, v0
	s_and_b64 exec, exec, vcc
	s_cbranch_execz .LBB172_6
; %bb.4:
	s_load_dwordx2 s[16:17], s[4:5], 0x20
	s_load_dwordx2 s[2:3], s[4:5], 0x38
	s_load_dword s18, s[4:5], 0x0
	s_load_dwordx2 s[6:7], s[4:5], 0x10
	s_load_dwordx2 s[12:13], s[4:5], 0x48
	v_mad_u64_u32 v[4:5], s[4:5], v6, s8, v[8:9]
	s_waitcnt lgkmcnt(0)
	s_cmp_eq_u32 s18, 0
	v_mad_u64_u32 v[10:11], s[4:5], v8, s9, v[6:7]
	s_cselect_b64 vcc, -1, 0
	s_mul_i32 s0, s8, s0
	v_mul_lo_u32 v3, s15, v8
	v_cndmask_b32_e32 v4, v4, v10, vcc
	v_add3_u32 v1, v1, s0, v3
	v_add_u32_e32 v2, s10, v6
	v_mad_u64_u32 v[4:5], s[4:5], s1, v0, v[4:5]
	s_lshl_b32 s10, s1, 1
	v_mad_u64_u32 v[6:7], s[0:1], s9, v1, v[6:7]
	v_ashrrev_i32_e32 v1, 31, v0
	v_lshlrev_b64 v[8:9], 2, v[0:1]
	v_mov_b32_e32 v1, s17
	v_add_co_u32_e32 v8, vcc, s16, v8
	s_lshl_b32 s8, s9, 1
	v_addc_co_u32_e32 v9, vcc, v1, v9, vcc
	s_mov_b64 s[4:5], 0
	v_mov_b32_e32 v1, s13
	v_mov_b32_e32 v3, s3
	;; [unrolled: 1-line block ×3, first 2 shown]
.LBB172_5:                              ; =>This Inner Loop Header: Depth=1
	v_ashrrev_i32_e32 v5, 31, v4
	global_load_dword v11, v[8:9], off
	v_lshlrev_b64 v[12:13], 4, v[4:5]
	v_add_co_u32_e32 v12, vcc, s6, v12
	v_addc_co_u32_e32 v13, vcc, v10, v13, vcc
	global_load_dwordx4 v[12:15], v[12:13], off
	v_ashrrev_i32_e32 v7, 31, v6
	v_lshlrev_b64 v[16:17], 2, v[6:7]
	v_add_co_u32_e32 v8, vcc, 8, v8
	v_add_co_u32_e64 v16, s[0:1], s12, v16
	v_add_u32_e32 v0, 2, v0
	v_addc_co_u32_e32 v9, vcc, 0, v9, vcc
	v_lshlrev_b64 v[18:19], 4, v[6:7]
	v_addc_co_u32_e64 v17, s[0:1], v1, v17, s[0:1]
	v_cmp_le_i32_e32 vcc, s14, v0
	v_add_co_u32_e64 v18, s[0:1], s2, v18
	v_add_u32_e32 v4, s10, v4
	v_add_u32_e32 v6, s8, v6
	v_addc_co_u32_e64 v19, s[0:1], v3, v19, s[0:1]
	s_or_b64 s[4:5], vcc, s[4:5]
	s_waitcnt vmcnt(1)
	v_subrev_u32_e32 v5, s11, v11
	v_mad_u64_u32 v[20:21], s[0:1], v5, s9, v[2:3]
	global_store_dword v[16:17], v20, off
	s_waitcnt vmcnt(1)
	global_store_dwordx4 v[18:19], v[12:15], off
	s_andn2_b64 exec, exec, s[4:5]
	s_cbranch_execnz .LBB172_5
.LBB172_6:
	s_endpgm
	.section	.rodata,"a",@progbits
	.p2align	6, 0x0
	.amdhsa_kernel _ZN9rocsparseL35gebsr2csr_block_per_row_1_32_kernelILi1024ELi16ELi32E21rocsparse_complex_numIdEEEv20rocsparse_direction_ii21rocsparse_index_base_PKT2_PKiS9_iiS4_PS5_PiSB_
		.amdhsa_group_segment_fixed_size 0
		.amdhsa_private_segment_fixed_size 0
		.amdhsa_kernarg_size 80
		.amdhsa_user_sgpr_count 6
		.amdhsa_user_sgpr_private_segment_buffer 1
		.amdhsa_user_sgpr_dispatch_ptr 0
		.amdhsa_user_sgpr_queue_ptr 0
		.amdhsa_user_sgpr_kernarg_segment_ptr 1
		.amdhsa_user_sgpr_dispatch_id 0
		.amdhsa_user_sgpr_flat_scratch_init 0
		.amdhsa_user_sgpr_kernarg_preload_length 0
		.amdhsa_user_sgpr_kernarg_preload_offset 0
		.amdhsa_user_sgpr_private_segment_size 0
		.amdhsa_uses_dynamic_stack 0
		.amdhsa_system_sgpr_private_segment_wavefront_offset 0
		.amdhsa_system_sgpr_workgroup_id_x 1
		.amdhsa_system_sgpr_workgroup_id_y 0
		.amdhsa_system_sgpr_workgroup_id_z 0
		.amdhsa_system_sgpr_workgroup_info 0
		.amdhsa_system_vgpr_workitem_id 0
		.amdhsa_next_free_vgpr 22
		.amdhsa_next_free_sgpr 19
		.amdhsa_accum_offset 24
		.amdhsa_reserve_vcc 1
		.amdhsa_reserve_flat_scratch 0
		.amdhsa_float_round_mode_32 0
		.amdhsa_float_round_mode_16_64 0
		.amdhsa_float_denorm_mode_32 3
		.amdhsa_float_denorm_mode_16_64 3
		.amdhsa_dx10_clamp 1
		.amdhsa_ieee_mode 1
		.amdhsa_fp16_overflow 0
		.amdhsa_tg_split 0
		.amdhsa_exception_fp_ieee_invalid_op 0
		.amdhsa_exception_fp_denorm_src 0
		.amdhsa_exception_fp_ieee_div_zero 0
		.amdhsa_exception_fp_ieee_overflow 0
		.amdhsa_exception_fp_ieee_underflow 0
		.amdhsa_exception_fp_ieee_inexact 0
		.amdhsa_exception_int_div_zero 0
	.end_amdhsa_kernel
	.section	.text._ZN9rocsparseL35gebsr2csr_block_per_row_1_32_kernelILi1024ELi16ELi32E21rocsparse_complex_numIdEEEv20rocsparse_direction_ii21rocsparse_index_base_PKT2_PKiS9_iiS4_PS5_PiSB_,"axG",@progbits,_ZN9rocsparseL35gebsr2csr_block_per_row_1_32_kernelILi1024ELi16ELi32E21rocsparse_complex_numIdEEEv20rocsparse_direction_ii21rocsparse_index_base_PKT2_PKiS9_iiS4_PS5_PiSB_,comdat
.Lfunc_end172:
	.size	_ZN9rocsparseL35gebsr2csr_block_per_row_1_32_kernelILi1024ELi16ELi32E21rocsparse_complex_numIdEEEv20rocsparse_direction_ii21rocsparse_index_base_PKT2_PKiS9_iiS4_PS5_PiSB_, .Lfunc_end172-_ZN9rocsparseL35gebsr2csr_block_per_row_1_32_kernelILi1024ELi16ELi32E21rocsparse_complex_numIdEEEv20rocsparse_direction_ii21rocsparse_index_base_PKT2_PKiS9_iiS4_PS5_PiSB_
                                        ; -- End function
	.section	.AMDGPU.csdata,"",@progbits
; Kernel info:
; codeLenInByte = 564
; NumSgprs: 23
; NumVgprs: 22
; NumAgprs: 0
; TotalNumVgprs: 22
; ScratchSize: 0
; MemoryBound: 0
; FloatMode: 240
; IeeeMode: 1
; LDSByteSize: 0 bytes/workgroup (compile time only)
; SGPRBlocks: 2
; VGPRBlocks: 2
; NumSGPRsForWavesPerEU: 23
; NumVGPRsForWavesPerEU: 22
; AccumOffset: 24
; Occupancy: 8
; WaveLimiterHint : 0
; COMPUTE_PGM_RSRC2:SCRATCH_EN: 0
; COMPUTE_PGM_RSRC2:USER_SGPR: 6
; COMPUTE_PGM_RSRC2:TRAP_HANDLER: 0
; COMPUTE_PGM_RSRC2:TGID_X_EN: 1
; COMPUTE_PGM_RSRC2:TGID_Y_EN: 0
; COMPUTE_PGM_RSRC2:TGID_Z_EN: 0
; COMPUTE_PGM_RSRC2:TIDIG_COMP_CNT: 0
; COMPUTE_PGM_RSRC3_GFX90A:ACCUM_OFFSET: 5
; COMPUTE_PGM_RSRC3_GFX90A:TG_SPLIT: 0
	.section	.text._ZN9rocsparseL37gebsr2csr_block_per_row_33_128_kernelILi1024ELi16ELi64ELi16ELi32E21rocsparse_complex_numIdEEEv20rocsparse_direction_ii21rocsparse_index_base_PKT4_PKiS9_iiS4_PS5_PiSB_,"axG",@progbits,_ZN9rocsparseL37gebsr2csr_block_per_row_33_128_kernelILi1024ELi16ELi64ELi16ELi32E21rocsparse_complex_numIdEEEv20rocsparse_direction_ii21rocsparse_index_base_PKT4_PKiS9_iiS4_PS5_PiSB_,comdat
	.globl	_ZN9rocsparseL37gebsr2csr_block_per_row_33_128_kernelILi1024ELi16ELi64ELi16ELi32E21rocsparse_complex_numIdEEEv20rocsparse_direction_ii21rocsparse_index_base_PKT4_PKiS9_iiS4_PS5_PiSB_ ; -- Begin function _ZN9rocsparseL37gebsr2csr_block_per_row_33_128_kernelILi1024ELi16ELi64ELi16ELi32E21rocsparse_complex_numIdEEEv20rocsparse_direction_ii21rocsparse_index_base_PKT4_PKiS9_iiS4_PS5_PiSB_
	.p2align	8
	.type	_ZN9rocsparseL37gebsr2csr_block_per_row_33_128_kernelILi1024ELi16ELi64ELi16ELi32E21rocsparse_complex_numIdEEEv20rocsparse_direction_ii21rocsparse_index_base_PKT4_PKiS9_iiS4_PS5_PiSB_,@function
_ZN9rocsparseL37gebsr2csr_block_per_row_33_128_kernelILi1024ELi16ELi64ELi16ELi32E21rocsparse_complex_numIdEEEv20rocsparse_direction_ii21rocsparse_index_base_PKT4_PKiS9_iiS4_PS5_PiSB_: ; @_ZN9rocsparseL37gebsr2csr_block_per_row_33_128_kernelILi1024ELi16ELi64ELi16ELi32E21rocsparse_complex_numIdEEEv20rocsparse_direction_ii21rocsparse_index_base_PKT4_PKiS9_iiS4_PS5_PiSB_
; %bb.0:
	s_load_dwordx2 s[0:1], s[4:5], 0x18
	s_load_dwordx4 s[8:11], s[4:5], 0x28
	s_load_dwordx2 s[2:3], s[4:5], 0x40
	s_ashr_i32 s7, s6, 31
	s_lshl_b64 s[12:13], s[6:7], 2
	s_waitcnt lgkmcnt(0)
	s_add_u32 s0, s0, s12
	s_addc_u32 s1, s1, s13
	s_load_dwordx2 s[14:15], s[0:1], 0x0
	v_or_b32_e32 v1, s6, v0
	v_cmp_eq_u32_e32 vcc, 0, v1
	s_and_saveexec_b64 s[0:1], vcc
	s_cbranch_execz .LBB173_2
; %bb.1:
	v_mov_b32_e32 v1, 0
	v_mov_b32_e32 v2, s10
	global_store_dword v1, v2, s[2:3]
.LBB173_2:
	s_or_b64 exec, exec, s[0:1]
	s_load_dword s11, s[4:5], 0xc
	v_lshrrev_b32_e32 v4, 5, v0
	v_cmp_gt_i32_e64 s[0:1], s8, v4
	s_mul_i32 s23, s9, s8
	s_waitcnt lgkmcnt(0)
	s_sub_i32 s12, s14, s11
	s_sub_i32 s22, s15, s11
	s_and_saveexec_b64 s[16:17], s[0:1]
	s_cbranch_execz .LBB173_4
; %bb.3:
	s_mul_i32 s6, s6, s8
	v_add_u32_e32 v2, s6, v4
	s_mul_i32 s7, s23, s12
	s_sub_i32 s13, s22, s12
	v_ashrrev_i32_e32 v3, 31, v2
	s_mul_i32 s13, s13, s9
	s_add_i32 s7, s7, s10
	v_lshlrev_b64 v[2:3], 2, v[2:3]
	v_mul_lo_u32 v1, s13, v4
	s_add_i32 s7, s7, s13
	v_mov_b32_e32 v5, s3
	v_add_co_u32_e32 v2, vcc, s2, v2
	v_add_u32_e32 v1, s7, v1
	v_addc_co_u32_e32 v3, vcc, v5, v3, vcc
	global_store_dword v[2:3], v1, off offset:4
.LBB173_4:
	s_or_b64 exec, exec, s[16:17]
	s_cmp_ge_i32 s14, s15
	s_cbranch_scc1 .LBB173_11
; %bb.5:
	s_load_dwordx2 s[18:19], s[4:5], 0x20
	s_load_dwordx2 s[6:7], s[4:5], 0x38
	;; [unrolled: 1-line block ×4, first 2 shown]
	s_load_dword s2, s[4:5], 0x0
	s_mul_i32 s13, s8, s12
	v_and_b32_e32 v0, 31, v0
	v_add_u32_e32 v1, s13, v4
	v_mad_u64_u32 v[2:3], s[4:5], s9, v1, v[0:1]
	s_mul_i32 s4, s9, s12
	s_sub_i32 s3, s22, s12
	v_add_u32_e32 v3, s4, v0
	v_mul_lo_u32 v6, s3, v4
	s_waitcnt lgkmcnt(0)
	s_cmp_eq_u32 s2, 0
	v_cmp_gt_i32_e64 s[2:3], s9, v0
	v_mad_u64_u32 v[8:9], s[4:5], s8, v3, v[4:5]
	v_or_b32_e32 v1, 32, v0
	s_cselect_b64 vcc, -1, 0
	s_and_b64 s[4:5], s[0:1], s[2:3]
	v_cmp_gt_i32_e64 s[2:3], s9, v1
	v_add_u32_e32 v3, 32, v3
	s_and_b64 s[2:3], s[0:1], s[2:3]
	v_mad_u64_u32 v[4:5], s[0:1], s8, v3, v[4:5]
	v_add_u32_e32 v3, s13, v6
	v_mad_u64_u32 v[6:7], s[0:1], s9, v3, v[0:1]
	s_ashr_i32 s13, s12, 31
	s_lshl_b64 s[0:1], s[12:13], 2
	s_add_u32 s18, s18, s0
	s_mov_b32 s24, 0
	s_addc_u32 s19, s19, s1
	v_cndmask_b32_e32 v3, v8, v2, vcc
	s_branch .LBB173_7
.LBB173_6:                              ;   in Loop: Header=BB173_7 Depth=1
	s_or_b64 exec, exec, s[20:21]
	s_add_i32 s12, s12, 1
	s_add_i32 s24, s24, s23
	s_add_u32 s18, s18, 4
	s_addc_u32 s19, s19, 0
	s_cmp_ge_i32 s12, s22
	v_add_u32_e32 v6, s9, v6
	s_cbranch_scc1 .LBB173_11
.LBB173_7:                              ; =>This Inner Loop Header: Depth=1
	s_load_dword s0, s[18:19], 0x0
	s_waitcnt lgkmcnt(0)
	s_sub_i32 s0, s0, s11
	s_mul_i32 s8, s0, s9
	s_add_i32 s8, s8, s10
	s_and_saveexec_b64 s[20:21], s[4:5]
	s_cbranch_execz .LBB173_9
; %bb.8:                                ;   in Loop: Header=BB173_7 Depth=1
	v_add_u32_e32 v8, s24, v3
	v_ashrrev_i32_e32 v9, 31, v8
	v_lshlrev_b64 v[8:9], 4, v[8:9]
	v_mov_b32_e32 v5, s17
	v_add_co_u32_e64 v8, s[0:1], s16, v8
	v_addc_co_u32_e64 v9, s[0:1], v5, v9, s[0:1]
	global_load_dwordx4 v[8:11], v[8:9], off
	v_ashrrev_i32_e32 v7, 31, v6
	v_lshlrev_b64 v[12:13], 2, v[6:7]
	v_mov_b32_e32 v14, s15
	v_add_co_u32_e64 v12, s[0:1], s14, v12
	v_add_u32_e32 v5, s8, v0
	v_addc_co_u32_e64 v13, s[0:1], v14, v13, s[0:1]
	global_store_dword v[12:13], v5, off
	v_lshlrev_b64 v[12:13], 4, v[6:7]
	v_mov_b32_e32 v5, s7
	v_add_co_u32_e64 v12, s[0:1], s6, v12
	v_addc_co_u32_e64 v13, s[0:1], v5, v13, s[0:1]
	s_waitcnt vmcnt(1)
	global_store_dwordx4 v[12:13], v[8:11], off
.LBB173_9:                              ;   in Loop: Header=BB173_7 Depth=1
	s_or_b64 exec, exec, s[20:21]
	s_and_saveexec_b64 s[20:21], s[2:3]
	s_cbranch_execz .LBB173_6
; %bb.10:                               ;   in Loop: Header=BB173_7 Depth=1
	v_add3_u32 v5, v2, s24, 32
	v_add_u32_e32 v7, s24, v4
	v_cndmask_b32_e32 v8, v7, v5, vcc
	v_ashrrev_i32_e32 v9, 31, v8
	v_lshlrev_b64 v[8:9], 4, v[8:9]
	v_mov_b32_e32 v5, s17
	v_add_co_u32_e64 v8, s[0:1], s16, v8
	v_addc_co_u32_e64 v9, s[0:1], v5, v9, s[0:1]
	global_load_dwordx4 v[8:11], v[8:9], off
	v_add_u32_e32 v12, 32, v6
	v_ashrrev_i32_e32 v13, 31, v12
	v_lshlrev_b64 v[14:15], 2, v[12:13]
	v_mov_b32_e32 v7, s15
	v_add_co_u32_e64 v14, s[0:1], s14, v14
	v_add_u32_e32 v5, s8, v1
	v_addc_co_u32_e64 v15, s[0:1], v7, v15, s[0:1]
	v_lshlrev_b64 v[12:13], 4, v[12:13]
	global_store_dword v[14:15], v5, off
	v_mov_b32_e32 v5, s7
	v_add_co_u32_e64 v12, s[0:1], s6, v12
	v_addc_co_u32_e64 v13, s[0:1], v5, v13, s[0:1]
	s_waitcnt vmcnt(1)
	global_store_dwordx4 v[12:13], v[8:11], off
	s_branch .LBB173_6
.LBB173_11:
	s_endpgm
	.section	.rodata,"a",@progbits
	.p2align	6, 0x0
	.amdhsa_kernel _ZN9rocsparseL37gebsr2csr_block_per_row_33_128_kernelILi1024ELi16ELi64ELi16ELi32E21rocsparse_complex_numIdEEEv20rocsparse_direction_ii21rocsparse_index_base_PKT4_PKiS9_iiS4_PS5_PiSB_
		.amdhsa_group_segment_fixed_size 0
		.amdhsa_private_segment_fixed_size 0
		.amdhsa_kernarg_size 80
		.amdhsa_user_sgpr_count 6
		.amdhsa_user_sgpr_private_segment_buffer 1
		.amdhsa_user_sgpr_dispatch_ptr 0
		.amdhsa_user_sgpr_queue_ptr 0
		.amdhsa_user_sgpr_kernarg_segment_ptr 1
		.amdhsa_user_sgpr_dispatch_id 0
		.amdhsa_user_sgpr_flat_scratch_init 0
		.amdhsa_user_sgpr_kernarg_preload_length 0
		.amdhsa_user_sgpr_kernarg_preload_offset 0
		.amdhsa_user_sgpr_private_segment_size 0
		.amdhsa_uses_dynamic_stack 0
		.amdhsa_system_sgpr_private_segment_wavefront_offset 0
		.amdhsa_system_sgpr_workgroup_id_x 1
		.amdhsa_system_sgpr_workgroup_id_y 0
		.amdhsa_system_sgpr_workgroup_id_z 0
		.amdhsa_system_sgpr_workgroup_info 0
		.amdhsa_system_vgpr_workitem_id 0
		.amdhsa_next_free_vgpr 16
		.amdhsa_next_free_sgpr 25
		.amdhsa_accum_offset 16
		.amdhsa_reserve_vcc 1
		.amdhsa_reserve_flat_scratch 0
		.amdhsa_float_round_mode_32 0
		.amdhsa_float_round_mode_16_64 0
		.amdhsa_float_denorm_mode_32 3
		.amdhsa_float_denorm_mode_16_64 3
		.amdhsa_dx10_clamp 1
		.amdhsa_ieee_mode 1
		.amdhsa_fp16_overflow 0
		.amdhsa_tg_split 0
		.amdhsa_exception_fp_ieee_invalid_op 0
		.amdhsa_exception_fp_denorm_src 0
		.amdhsa_exception_fp_ieee_div_zero 0
		.amdhsa_exception_fp_ieee_overflow 0
		.amdhsa_exception_fp_ieee_underflow 0
		.amdhsa_exception_fp_ieee_inexact 0
		.amdhsa_exception_int_div_zero 0
	.end_amdhsa_kernel
	.section	.text._ZN9rocsparseL37gebsr2csr_block_per_row_33_128_kernelILi1024ELi16ELi64ELi16ELi32E21rocsparse_complex_numIdEEEv20rocsparse_direction_ii21rocsparse_index_base_PKT4_PKiS9_iiS4_PS5_PiSB_,"axG",@progbits,_ZN9rocsparseL37gebsr2csr_block_per_row_33_128_kernelILi1024ELi16ELi64ELi16ELi32E21rocsparse_complex_numIdEEEv20rocsparse_direction_ii21rocsparse_index_base_PKT4_PKiS9_iiS4_PS5_PiSB_,comdat
.Lfunc_end173:
	.size	_ZN9rocsparseL37gebsr2csr_block_per_row_33_128_kernelILi1024ELi16ELi64ELi16ELi32E21rocsparse_complex_numIdEEEv20rocsparse_direction_ii21rocsparse_index_base_PKT4_PKiS9_iiS4_PS5_PiSB_, .Lfunc_end173-_ZN9rocsparseL37gebsr2csr_block_per_row_33_128_kernelILi1024ELi16ELi64ELi16ELi32E21rocsparse_complex_numIdEEEv20rocsparse_direction_ii21rocsparse_index_base_PKT4_PKiS9_iiS4_PS5_PiSB_
                                        ; -- End function
	.section	.AMDGPU.csdata,"",@progbits
; Kernel info:
; codeLenInByte = 752
; NumSgprs: 29
; NumVgprs: 16
; NumAgprs: 0
; TotalNumVgprs: 16
; ScratchSize: 0
; MemoryBound: 0
; FloatMode: 240
; IeeeMode: 1
; LDSByteSize: 0 bytes/workgroup (compile time only)
; SGPRBlocks: 3
; VGPRBlocks: 1
; NumSGPRsForWavesPerEU: 29
; NumVGPRsForWavesPerEU: 16
; AccumOffset: 16
; Occupancy: 8
; WaveLimiterHint : 0
; COMPUTE_PGM_RSRC2:SCRATCH_EN: 0
; COMPUTE_PGM_RSRC2:USER_SGPR: 6
; COMPUTE_PGM_RSRC2:TRAP_HANDLER: 0
; COMPUTE_PGM_RSRC2:TGID_X_EN: 1
; COMPUTE_PGM_RSRC2:TGID_Y_EN: 0
; COMPUTE_PGM_RSRC2:TGID_Z_EN: 0
; COMPUTE_PGM_RSRC2:TIDIG_COMP_CNT: 0
; COMPUTE_PGM_RSRC3_GFX90A:ACCUM_OFFSET: 3
; COMPUTE_PGM_RSRC3_GFX90A:TG_SPLIT: 0
	.section	.text._ZN9rocsparseL37gebsr2csr_block_per_row_33_128_kernelILi1024ELi16ELi128ELi16ELi32E21rocsparse_complex_numIdEEEv20rocsparse_direction_ii21rocsparse_index_base_PKT4_PKiS9_iiS4_PS5_PiSB_,"axG",@progbits,_ZN9rocsparseL37gebsr2csr_block_per_row_33_128_kernelILi1024ELi16ELi128ELi16ELi32E21rocsparse_complex_numIdEEEv20rocsparse_direction_ii21rocsparse_index_base_PKT4_PKiS9_iiS4_PS5_PiSB_,comdat
	.globl	_ZN9rocsparseL37gebsr2csr_block_per_row_33_128_kernelILi1024ELi16ELi128ELi16ELi32E21rocsparse_complex_numIdEEEv20rocsparse_direction_ii21rocsparse_index_base_PKT4_PKiS9_iiS4_PS5_PiSB_ ; -- Begin function _ZN9rocsparseL37gebsr2csr_block_per_row_33_128_kernelILi1024ELi16ELi128ELi16ELi32E21rocsparse_complex_numIdEEEv20rocsparse_direction_ii21rocsparse_index_base_PKT4_PKiS9_iiS4_PS5_PiSB_
	.p2align	8
	.type	_ZN9rocsparseL37gebsr2csr_block_per_row_33_128_kernelILi1024ELi16ELi128ELi16ELi32E21rocsparse_complex_numIdEEEv20rocsparse_direction_ii21rocsparse_index_base_PKT4_PKiS9_iiS4_PS5_PiSB_,@function
_ZN9rocsparseL37gebsr2csr_block_per_row_33_128_kernelILi1024ELi16ELi128ELi16ELi32E21rocsparse_complex_numIdEEEv20rocsparse_direction_ii21rocsparse_index_base_PKT4_PKiS9_iiS4_PS5_PiSB_: ; @_ZN9rocsparseL37gebsr2csr_block_per_row_33_128_kernelILi1024ELi16ELi128ELi16ELi32E21rocsparse_complex_numIdEEEv20rocsparse_direction_ii21rocsparse_index_base_PKT4_PKiS9_iiS4_PS5_PiSB_
; %bb.0:
	s_load_dwordx2 s[0:1], s[4:5], 0x18
	s_load_dwordx4 s[8:11], s[4:5], 0x28
	s_load_dwordx2 s[2:3], s[4:5], 0x40
	s_ashr_i32 s7, s6, 31
	s_lshl_b64 s[12:13], s[6:7], 2
	s_waitcnt lgkmcnt(0)
	s_add_u32 s0, s0, s12
	s_addc_u32 s1, s1, s13
	s_load_dwordx2 s[14:15], s[0:1], 0x0
	v_or_b32_e32 v1, s6, v0
	v_cmp_eq_u32_e32 vcc, 0, v1
	s_and_saveexec_b64 s[0:1], vcc
	s_cbranch_execz .LBB174_2
; %bb.1:
	v_mov_b32_e32 v1, 0
	v_mov_b32_e32 v2, s10
	global_store_dword v1, v2, s[2:3]
.LBB174_2:
	s_or_b64 exec, exec, s[0:1]
	s_load_dword s11, s[4:5], 0xc
	v_lshrrev_b32_e32 v1, 5, v0
	v_cmp_gt_i32_e64 s[0:1], s8, v1
	s_mul_i32 s27, s9, s8
	s_waitcnt lgkmcnt(0)
	s_sub_i32 s12, s14, s11
	s_sub_i32 s26, s15, s11
	s_and_saveexec_b64 s[16:17], s[0:1]
	s_cbranch_execz .LBB174_4
; %bb.3:
	s_mul_i32 s7, s27, s12
	s_sub_i32 s13, s26, s12
	s_mul_i32 s13, s13, s9
	s_add_i32 s7, s7, s10
	v_mul_lo_u32 v2, s13, v1
	s_add_i32 s7, s7, s13
	s_mul_i32 s6, s6, s8
	v_add_u32_e32 v4, s7, v2
	v_add_u32_e32 v2, s6, v1
	v_ashrrev_i32_e32 v3, 31, v2
	v_lshlrev_b64 v[2:3], 2, v[2:3]
	v_mov_b32_e32 v5, s3
	v_add_co_u32_e32 v2, vcc, s2, v2
	v_addc_co_u32_e32 v3, vcc, v5, v3, vcc
	global_store_dword v[2:3], v4, off offset:4
.LBB174_4:
	s_or_b64 exec, exec, s[16:17]
	s_cmp_ge_i32 s14, s15
	s_cbranch_scc1 .LBB174_15
; %bb.5:
	s_load_dwordx2 s[22:23], s[4:5], 0x20
	s_load_dwordx2 s[6:7], s[4:5], 0x38
	;; [unrolled: 1-line block ×3, first 2 shown]
	s_load_dword s2, s[4:5], 0x0
	s_load_dwordx2 s[16:17], s[4:5], 0x48
	v_and_b32_e32 v0, 31, v0
	s_sub_i32 s3, s26, s12
	v_mul_lo_u32 v10, s3, v1
	s_waitcnt lgkmcnt(0)
	s_cmp_eq_u32 s2, 0
	v_cmp_gt_i32_e64 s[2:3], s9, v0
	v_or_b32_e32 v2, 32, v0
	s_cselect_b64 vcc, -1, 0
	s_and_b64 s[4:5], s[0:1], s[2:3]
	v_cmp_gt_i32_e64 s[2:3], s9, v2
	v_or_b32_e32 v3, 64, v0
	s_and_b64 s[18:19], s[0:1], s[2:3]
	v_cmp_gt_i32_e64 s[2:3], s9, v3
	v_or_b32_e32 v4, 0x60, v0
	s_and_b64 s[20:21], s[0:1], s[2:3]
	v_cmp_gt_i32_e64 s[2:3], s9, v4
	s_and_b64 s[2:3], s[0:1], s[2:3]
	s_mul_i32 s0, s8, s12
	s_mul_i32 s1, s9, s12
	s_ashr_i32 s13, s12, 31
	v_add_u32_e32 v5, s0, v1
	v_add_u32_e32 v9, s1, v0
	;; [unrolled: 1-line block ×3, first 2 shown]
	s_lshl_b64 s[0:1], s[12:13], 2
	v_add_u32_e32 v6, 0x60, v9
	v_add_u32_e32 v7, 64, v9
	;; [unrolled: 1-line block ×3, first 2 shown]
	s_add_u32 s22, s22, s0
	s_movk_i32 s28, 0x60
	v_mul_lo_u32 v5, s9, v5
	v_mul_lo_u32 v6, s8, v6
	;; [unrolled: 1-line block ×6, first 2 shown]
	s_addc_u32 s23, s23, s1
	s_branch .LBB174_7
.LBB174_6:                              ;   in Loop: Header=BB174_7 Depth=1
	s_or_b64 exec, exec, s[24:25]
	s_add_i32 s12, s12, 1
	s_add_u32 s22, s22, 4
	s_addc_u32 s23, s23, 0
	v_add_u32_e32 v5, s27, v5
	v_add_u32_e32 v1, s27, v1
	s_cmp_ge_i32 s12, s26
	v_add_u32_e32 v10, s9, v10
	s_cbranch_scc1 .LBB174_15
.LBB174_7:                              ; =>This Inner Loop Header: Depth=1
	s_load_dword s0, s[22:23], 0x0
	s_waitcnt lgkmcnt(0)
	s_sub_i32 s0, s0, s11
	s_mul_i32 s8, s0, s9
	s_add_i32 s8, s8, s10
	s_and_saveexec_b64 s[24:25], s[4:5]
	s_cbranch_execnz .LBB174_11
; %bb.8:                                ;   in Loop: Header=BB174_7 Depth=1
	s_or_b64 exec, exec, s[24:25]
	s_and_saveexec_b64 s[24:25], s[18:19]
	s_cbranch_execnz .LBB174_12
.LBB174_9:                              ;   in Loop: Header=BB174_7 Depth=1
	s_or_b64 exec, exec, s[24:25]
	s_and_saveexec_b64 s[24:25], s[20:21]
	s_cbranch_execnz .LBB174_13
.LBB174_10:                             ;   in Loop: Header=BB174_7 Depth=1
	s_or_b64 exec, exec, s[24:25]
	s_and_saveexec_b64 s[24:25], s[2:3]
	s_cbranch_execz .LBB174_6
	s_branch .LBB174_14
.LBB174_11:                             ;   in Loop: Header=BB174_7 Depth=1
	v_add_u32_e32 v11, v0, v5
	v_add_u32_e32 v12, v9, v1
	v_cndmask_b32_e32 v12, v12, v11, vcc
	v_ashrrev_i32_e32 v13, 31, v12
	v_lshlrev_b64 v[12:13], 4, v[12:13]
	v_mov_b32_e32 v11, s15
	v_add_co_u32_e64 v12, s[0:1], s14, v12
	v_addc_co_u32_e64 v13, s[0:1], v11, v13, s[0:1]
	global_load_dwordx4 v[12:15], v[12:13], off
	v_add_u32_e32 v16, v0, v10
	v_ashrrev_i32_e32 v17, 31, v16
	v_lshlrev_b64 v[18:19], 2, v[16:17]
	v_mov_b32_e32 v20, s17
	v_add_co_u32_e64 v18, s[0:1], s16, v18
	v_add_u32_e32 v11, s8, v0
	v_addc_co_u32_e64 v19, s[0:1], v20, v19, s[0:1]
	v_lshlrev_b64 v[16:17], 4, v[16:17]
	global_store_dword v[18:19], v11, off
	v_mov_b32_e32 v11, s7
	v_add_co_u32_e64 v16, s[0:1], s6, v16
	v_addc_co_u32_e64 v17, s[0:1], v11, v17, s[0:1]
	s_waitcnt vmcnt(1)
	global_store_dwordx4 v[16:17], v[12:15], off
	s_or_b64 exec, exec, s[24:25]
	s_and_saveexec_b64 s[24:25], s[18:19]
	s_cbranch_execz .LBB174_9
.LBB174_12:                             ;   in Loop: Header=BB174_7 Depth=1
	v_add3_u32 v11, v0, v5, 32
	v_add_u32_e32 v12, v8, v1
	v_cndmask_b32_e32 v12, v12, v11, vcc
	v_ashrrev_i32_e32 v13, 31, v12
	v_lshlrev_b64 v[12:13], 4, v[12:13]
	v_mov_b32_e32 v11, s15
	v_add_co_u32_e64 v12, s[0:1], s14, v12
	v_addc_co_u32_e64 v13, s[0:1], v11, v13, s[0:1]
	global_load_dwordx4 v[12:15], v[12:13], off
	v_add3_u32 v16, v0, v10, 32
	v_ashrrev_i32_e32 v17, 31, v16
	v_lshlrev_b64 v[18:19], 2, v[16:17]
	v_mov_b32_e32 v20, s17
	v_add_co_u32_e64 v18, s[0:1], s16, v18
	v_add_u32_e32 v11, s8, v2
	v_addc_co_u32_e64 v19, s[0:1], v20, v19, s[0:1]
	v_lshlrev_b64 v[16:17], 4, v[16:17]
	global_store_dword v[18:19], v11, off
	v_mov_b32_e32 v11, s7
	v_add_co_u32_e64 v16, s[0:1], s6, v16
	v_addc_co_u32_e64 v17, s[0:1], v11, v17, s[0:1]
	s_waitcnt vmcnt(1)
	global_store_dwordx4 v[16:17], v[12:15], off
	s_or_b64 exec, exec, s[24:25]
	s_and_saveexec_b64 s[24:25], s[20:21]
	s_cbranch_execz .LBB174_10
.LBB174_13:                             ;   in Loop: Header=BB174_7 Depth=1
	v_add3_u32 v11, v0, v5, 64
	v_add_u32_e32 v12, v7, v1
	v_cndmask_b32_e32 v12, v12, v11, vcc
	v_ashrrev_i32_e32 v13, 31, v12
	v_lshlrev_b64 v[12:13], 4, v[12:13]
	v_mov_b32_e32 v11, s15
	v_add_co_u32_e64 v12, s[0:1], s14, v12
	v_addc_co_u32_e64 v13, s[0:1], v11, v13, s[0:1]
	global_load_dwordx4 v[12:15], v[12:13], off
	v_add3_u32 v16, v0, v10, 64
	v_ashrrev_i32_e32 v17, 31, v16
	v_lshlrev_b64 v[18:19], 2, v[16:17]
	v_mov_b32_e32 v20, s17
	v_add_co_u32_e64 v18, s[0:1], s16, v18
	v_add_u32_e32 v11, s8, v3
	v_addc_co_u32_e64 v19, s[0:1], v20, v19, s[0:1]
	v_lshlrev_b64 v[16:17], 4, v[16:17]
	global_store_dword v[18:19], v11, off
	v_mov_b32_e32 v11, s7
	v_add_co_u32_e64 v16, s[0:1], s6, v16
	v_addc_co_u32_e64 v17, s[0:1], v11, v17, s[0:1]
	s_waitcnt vmcnt(1)
	global_store_dwordx4 v[16:17], v[12:15], off
	s_or_b64 exec, exec, s[24:25]
	s_and_saveexec_b64 s[24:25], s[2:3]
	s_cbranch_execz .LBB174_6
.LBB174_14:                             ;   in Loop: Header=BB174_7 Depth=1
	v_add3_u32 v11, v0, v5, s28
	v_add_u32_e32 v12, v6, v1
	v_cndmask_b32_e32 v12, v12, v11, vcc
	v_ashrrev_i32_e32 v13, 31, v12
	v_lshlrev_b64 v[12:13], 4, v[12:13]
	v_mov_b32_e32 v11, s15
	v_add_co_u32_e64 v12, s[0:1], s14, v12
	v_addc_co_u32_e64 v13, s[0:1], v11, v13, s[0:1]
	global_load_dwordx4 v[12:15], v[12:13], off
	v_add3_u32 v16, v0, v10, s28
	v_ashrrev_i32_e32 v17, 31, v16
	v_lshlrev_b64 v[18:19], 2, v[16:17]
	v_mov_b32_e32 v20, s17
	v_add_co_u32_e64 v18, s[0:1], s16, v18
	v_add_u32_e32 v11, s8, v4
	v_addc_co_u32_e64 v19, s[0:1], v20, v19, s[0:1]
	v_lshlrev_b64 v[16:17], 4, v[16:17]
	global_store_dword v[18:19], v11, off
	v_mov_b32_e32 v11, s7
	v_add_co_u32_e64 v16, s[0:1], s6, v16
	v_addc_co_u32_e64 v17, s[0:1], v11, v17, s[0:1]
	s_waitcnt vmcnt(1)
	global_store_dwordx4 v[16:17], v[12:15], off
	s_branch .LBB174_6
.LBB174_15:
	s_endpgm
	.section	.rodata,"a",@progbits
	.p2align	6, 0x0
	.amdhsa_kernel _ZN9rocsparseL37gebsr2csr_block_per_row_33_128_kernelILi1024ELi16ELi128ELi16ELi32E21rocsparse_complex_numIdEEEv20rocsparse_direction_ii21rocsparse_index_base_PKT4_PKiS9_iiS4_PS5_PiSB_
		.amdhsa_group_segment_fixed_size 0
		.amdhsa_private_segment_fixed_size 0
		.amdhsa_kernarg_size 80
		.amdhsa_user_sgpr_count 6
		.amdhsa_user_sgpr_private_segment_buffer 1
		.amdhsa_user_sgpr_dispatch_ptr 0
		.amdhsa_user_sgpr_queue_ptr 0
		.amdhsa_user_sgpr_kernarg_segment_ptr 1
		.amdhsa_user_sgpr_dispatch_id 0
		.amdhsa_user_sgpr_flat_scratch_init 0
		.amdhsa_user_sgpr_kernarg_preload_length 0
		.amdhsa_user_sgpr_kernarg_preload_offset 0
		.amdhsa_user_sgpr_private_segment_size 0
		.amdhsa_uses_dynamic_stack 0
		.amdhsa_system_sgpr_private_segment_wavefront_offset 0
		.amdhsa_system_sgpr_workgroup_id_x 1
		.amdhsa_system_sgpr_workgroup_id_y 0
		.amdhsa_system_sgpr_workgroup_id_z 0
		.amdhsa_system_sgpr_workgroup_info 0
		.amdhsa_system_vgpr_workitem_id 0
		.amdhsa_next_free_vgpr 21
		.amdhsa_next_free_sgpr 29
		.amdhsa_accum_offset 24
		.amdhsa_reserve_vcc 1
		.amdhsa_reserve_flat_scratch 0
		.amdhsa_float_round_mode_32 0
		.amdhsa_float_round_mode_16_64 0
		.amdhsa_float_denorm_mode_32 3
		.amdhsa_float_denorm_mode_16_64 3
		.amdhsa_dx10_clamp 1
		.amdhsa_ieee_mode 1
		.amdhsa_fp16_overflow 0
		.amdhsa_tg_split 0
		.amdhsa_exception_fp_ieee_invalid_op 0
		.amdhsa_exception_fp_denorm_src 0
		.amdhsa_exception_fp_ieee_div_zero 0
		.amdhsa_exception_fp_ieee_overflow 0
		.amdhsa_exception_fp_ieee_underflow 0
		.amdhsa_exception_fp_ieee_inexact 0
		.amdhsa_exception_int_div_zero 0
	.end_amdhsa_kernel
	.section	.text._ZN9rocsparseL37gebsr2csr_block_per_row_33_128_kernelILi1024ELi16ELi128ELi16ELi32E21rocsparse_complex_numIdEEEv20rocsparse_direction_ii21rocsparse_index_base_PKT4_PKiS9_iiS4_PS5_PiSB_,"axG",@progbits,_ZN9rocsparseL37gebsr2csr_block_per_row_33_128_kernelILi1024ELi16ELi128ELi16ELi32E21rocsparse_complex_numIdEEEv20rocsparse_direction_ii21rocsparse_index_base_PKT4_PKiS9_iiS4_PS5_PiSB_,comdat
.Lfunc_end174:
	.size	_ZN9rocsparseL37gebsr2csr_block_per_row_33_128_kernelILi1024ELi16ELi128ELi16ELi32E21rocsparse_complex_numIdEEEv20rocsparse_direction_ii21rocsparse_index_base_PKT4_PKiS9_iiS4_PS5_PiSB_, .Lfunc_end174-_ZN9rocsparseL37gebsr2csr_block_per_row_33_128_kernelILi1024ELi16ELi128ELi16ELi32E21rocsparse_complex_numIdEEEv20rocsparse_direction_ii21rocsparse_index_base_PKT4_PKiS9_iiS4_PS5_PiSB_
                                        ; -- End function
	.section	.AMDGPU.csdata,"",@progbits
; Kernel info:
; codeLenInByte = 1192
; NumSgprs: 33
; NumVgprs: 21
; NumAgprs: 0
; TotalNumVgprs: 21
; ScratchSize: 0
; MemoryBound: 0
; FloatMode: 240
; IeeeMode: 1
; LDSByteSize: 0 bytes/workgroup (compile time only)
; SGPRBlocks: 4
; VGPRBlocks: 2
; NumSGPRsForWavesPerEU: 33
; NumVGPRsForWavesPerEU: 21
; AccumOffset: 24
; Occupancy: 8
; WaveLimiterHint : 0
; COMPUTE_PGM_RSRC2:SCRATCH_EN: 0
; COMPUTE_PGM_RSRC2:USER_SGPR: 6
; COMPUTE_PGM_RSRC2:TRAP_HANDLER: 0
; COMPUTE_PGM_RSRC2:TGID_X_EN: 1
; COMPUTE_PGM_RSRC2:TGID_Y_EN: 0
; COMPUTE_PGM_RSRC2:TGID_Z_EN: 0
; COMPUTE_PGM_RSRC2:TIDIG_COMP_CNT: 0
; COMPUTE_PGM_RSRC3_GFX90A:ACCUM_OFFSET: 5
; COMPUTE_PGM_RSRC3_GFX90A:TG_SPLIT: 0
	.section	.text._ZN9rocsparseL35gebsr2csr_block_per_row_1_32_kernelILi1024ELi32ELi2E21rocsparse_complex_numIdEEEv20rocsparse_direction_ii21rocsparse_index_base_PKT2_PKiS9_iiS4_PS5_PiSB_,"axG",@progbits,_ZN9rocsparseL35gebsr2csr_block_per_row_1_32_kernelILi1024ELi32ELi2E21rocsparse_complex_numIdEEEv20rocsparse_direction_ii21rocsparse_index_base_PKT2_PKiS9_iiS4_PS5_PiSB_,comdat
	.globl	_ZN9rocsparseL35gebsr2csr_block_per_row_1_32_kernelILi1024ELi32ELi2E21rocsparse_complex_numIdEEEv20rocsparse_direction_ii21rocsparse_index_base_PKT2_PKiS9_iiS4_PS5_PiSB_ ; -- Begin function _ZN9rocsparseL35gebsr2csr_block_per_row_1_32_kernelILi1024ELi32ELi2E21rocsparse_complex_numIdEEEv20rocsparse_direction_ii21rocsparse_index_base_PKT2_PKiS9_iiS4_PS5_PiSB_
	.p2align	8
	.type	_ZN9rocsparseL35gebsr2csr_block_per_row_1_32_kernelILi1024ELi32ELi2E21rocsparse_complex_numIdEEEv20rocsparse_direction_ii21rocsparse_index_base_PKT2_PKiS9_iiS4_PS5_PiSB_,@function
_ZN9rocsparseL35gebsr2csr_block_per_row_1_32_kernelILi1024ELi32ELi2E21rocsparse_complex_numIdEEEv20rocsparse_direction_ii21rocsparse_index_base_PKT2_PKiS9_iiS4_PS5_PiSB_: ; @_ZN9rocsparseL35gebsr2csr_block_per_row_1_32_kernelILi1024ELi32ELi2E21rocsparse_complex_numIdEEEv20rocsparse_direction_ii21rocsparse_index_base_PKT2_PKiS9_iiS4_PS5_PiSB_
; %bb.0:
	s_load_dwordx2 s[0:1], s[4:5], 0x18
	s_load_dwordx4 s[8:11], s[4:5], 0x28
	s_load_dwordx2 s[2:3], s[4:5], 0x40
	s_ashr_i32 s7, s6, 31
	s_lshl_b64 s[12:13], s[6:7], 2
	s_waitcnt lgkmcnt(0)
	s_add_u32 s12, s0, s12
	v_or_b32_e32 v1, s6, v0
	s_addc_u32 s13, s1, s13
	v_cmp_eq_u32_e32 vcc, 0, v1
	s_and_saveexec_b64 s[0:1], vcc
	s_cbranch_execz .LBB175_2
; %bb.1:
	v_mov_b32_e32 v1, 0
	v_mov_b32_e32 v2, s10
	global_store_dword v1, v2, s[2:3]
.LBB175_2:
	s_or_b64 exec, exec, s[0:1]
	v_and_b32_e32 v6, 1, v0
	v_bfe_u32 v8, v0, 1, 5
	v_cmp_gt_i32_e32 vcc, s8, v8
	v_cmp_gt_i32_e64 s[0:1], s9, v6
	s_and_b64 s[0:1], vcc, s[0:1]
	s_and_saveexec_b64 s[14:15], s[0:1]
	s_cbranch_execz .LBB175_6
; %bb.3:
	s_load_dwordx2 s[14:15], s[12:13], 0x0
	s_load_dword s11, s[4:5], 0xc
	s_mul_i32 s6, s6, s8
	v_add_u32_e32 v2, s6, v8
	s_mul_i32 s1, s9, s8
	v_ashrrev_i32_e32 v3, 31, v2
	s_waitcnt lgkmcnt(0)
	s_sub_i32 s0, s14, s11
	s_sub_i32 s14, s15, s11
	;; [unrolled: 1-line block ×3, first 2 shown]
	s_mul_i32 s12, s15, s9
	v_lshrrev_b32_e32 v1, 6, v0
	s_mul_i32 s7, s0, s1
	v_mul_lo_u32 v0, s12, v8
	s_add_i32 s12, s12, s10
	v_lshlrev_b64 v[2:3], 2, v[2:3]
	s_add_i32 s12, s12, s7
	v_mov_b32_e32 v4, s3
	v_add_co_u32_e32 v2, vcc, s2, v2
	v_add_u32_e32 v0, s12, v0
	v_addc_co_u32_e32 v3, vcc, v4, v3, vcc
	global_store_dword v[2:3], v0, off offset:4
	v_add_u32_e32 v0, s0, v1
	v_cmp_gt_i32_e32 vcc, s14, v0
	s_and_b64 exec, exec, vcc
	s_cbranch_execz .LBB175_6
; %bb.4:
	s_load_dwordx2 s[16:17], s[4:5], 0x20
	s_load_dwordx2 s[2:3], s[4:5], 0x38
	s_load_dword s18, s[4:5], 0x0
	s_load_dwordx2 s[6:7], s[4:5], 0x10
	s_load_dwordx2 s[12:13], s[4:5], 0x48
	v_mad_u64_u32 v[4:5], s[4:5], v6, s8, v[8:9]
	s_waitcnt lgkmcnt(0)
	s_cmp_eq_u32 s18, 0
	v_mad_u64_u32 v[10:11], s[4:5], v8, s9, v[6:7]
	s_cselect_b64 vcc, -1, 0
	s_mul_i32 s0, s8, s0
	v_mul_lo_u32 v3, s15, v8
	v_cndmask_b32_e32 v4, v4, v10, vcc
	v_add3_u32 v1, v1, s0, v3
	v_add_u32_e32 v2, s10, v6
	v_mad_u64_u32 v[4:5], s[4:5], s1, v0, v[4:5]
	s_lshl_b32 s10, s1, 4
	v_mad_u64_u32 v[6:7], s[0:1], s9, v1, v[6:7]
	v_ashrrev_i32_e32 v1, 31, v0
	v_lshlrev_b64 v[8:9], 2, v[0:1]
	v_mov_b32_e32 v1, s17
	v_add_co_u32_e32 v8, vcc, s16, v8
	s_lshl_b32 s8, s9, 4
	v_addc_co_u32_e32 v9, vcc, v1, v9, vcc
	s_mov_b64 s[4:5], 0
	v_mov_b32_e32 v1, s13
	v_mov_b32_e32 v3, s3
	;; [unrolled: 1-line block ×3, first 2 shown]
.LBB175_5:                              ; =>This Inner Loop Header: Depth=1
	v_ashrrev_i32_e32 v5, 31, v4
	global_load_dword v11, v[8:9], off
	v_lshlrev_b64 v[12:13], 4, v[4:5]
	v_add_co_u32_e32 v12, vcc, s6, v12
	v_addc_co_u32_e32 v13, vcc, v10, v13, vcc
	global_load_dwordx4 v[12:15], v[12:13], off
	v_ashrrev_i32_e32 v7, 31, v6
	v_lshlrev_b64 v[16:17], 2, v[6:7]
	v_add_co_u32_e32 v8, vcc, 64, v8
	v_add_co_u32_e64 v16, s[0:1], s12, v16
	v_add_u32_e32 v0, 16, v0
	v_addc_co_u32_e32 v9, vcc, 0, v9, vcc
	v_lshlrev_b64 v[18:19], 4, v[6:7]
	v_addc_co_u32_e64 v17, s[0:1], v1, v17, s[0:1]
	v_cmp_le_i32_e32 vcc, s14, v0
	v_add_co_u32_e64 v18, s[0:1], s2, v18
	v_add_u32_e32 v4, s10, v4
	v_add_u32_e32 v6, s8, v6
	v_addc_co_u32_e64 v19, s[0:1], v3, v19, s[0:1]
	s_or_b64 s[4:5], vcc, s[4:5]
	s_waitcnt vmcnt(1)
	v_subrev_u32_e32 v5, s11, v11
	v_mad_u64_u32 v[20:21], s[0:1], v5, s9, v[2:3]
	global_store_dword v[16:17], v20, off
	s_waitcnt vmcnt(1)
	global_store_dwordx4 v[18:19], v[12:15], off
	s_andn2_b64 exec, exec, s[4:5]
	s_cbranch_execnz .LBB175_5
.LBB175_6:
	s_endpgm
	.section	.rodata,"a",@progbits
	.p2align	6, 0x0
	.amdhsa_kernel _ZN9rocsparseL35gebsr2csr_block_per_row_1_32_kernelILi1024ELi32ELi2E21rocsparse_complex_numIdEEEv20rocsparse_direction_ii21rocsparse_index_base_PKT2_PKiS9_iiS4_PS5_PiSB_
		.amdhsa_group_segment_fixed_size 0
		.amdhsa_private_segment_fixed_size 0
		.amdhsa_kernarg_size 80
		.amdhsa_user_sgpr_count 6
		.amdhsa_user_sgpr_private_segment_buffer 1
		.amdhsa_user_sgpr_dispatch_ptr 0
		.amdhsa_user_sgpr_queue_ptr 0
		.amdhsa_user_sgpr_kernarg_segment_ptr 1
		.amdhsa_user_sgpr_dispatch_id 0
		.amdhsa_user_sgpr_flat_scratch_init 0
		.amdhsa_user_sgpr_kernarg_preload_length 0
		.amdhsa_user_sgpr_kernarg_preload_offset 0
		.amdhsa_user_sgpr_private_segment_size 0
		.amdhsa_uses_dynamic_stack 0
		.amdhsa_system_sgpr_private_segment_wavefront_offset 0
		.amdhsa_system_sgpr_workgroup_id_x 1
		.amdhsa_system_sgpr_workgroup_id_y 0
		.amdhsa_system_sgpr_workgroup_id_z 0
		.amdhsa_system_sgpr_workgroup_info 0
		.amdhsa_system_vgpr_workitem_id 0
		.amdhsa_next_free_vgpr 22
		.amdhsa_next_free_sgpr 19
		.amdhsa_accum_offset 24
		.amdhsa_reserve_vcc 1
		.amdhsa_reserve_flat_scratch 0
		.amdhsa_float_round_mode_32 0
		.amdhsa_float_round_mode_16_64 0
		.amdhsa_float_denorm_mode_32 3
		.amdhsa_float_denorm_mode_16_64 3
		.amdhsa_dx10_clamp 1
		.amdhsa_ieee_mode 1
		.amdhsa_fp16_overflow 0
		.amdhsa_tg_split 0
		.amdhsa_exception_fp_ieee_invalid_op 0
		.amdhsa_exception_fp_denorm_src 0
		.amdhsa_exception_fp_ieee_div_zero 0
		.amdhsa_exception_fp_ieee_overflow 0
		.amdhsa_exception_fp_ieee_underflow 0
		.amdhsa_exception_fp_ieee_inexact 0
		.amdhsa_exception_int_div_zero 0
	.end_amdhsa_kernel
	.section	.text._ZN9rocsparseL35gebsr2csr_block_per_row_1_32_kernelILi1024ELi32ELi2E21rocsparse_complex_numIdEEEv20rocsparse_direction_ii21rocsparse_index_base_PKT2_PKiS9_iiS4_PS5_PiSB_,"axG",@progbits,_ZN9rocsparseL35gebsr2csr_block_per_row_1_32_kernelILi1024ELi32ELi2E21rocsparse_complex_numIdEEEv20rocsparse_direction_ii21rocsparse_index_base_PKT2_PKiS9_iiS4_PS5_PiSB_,comdat
.Lfunc_end175:
	.size	_ZN9rocsparseL35gebsr2csr_block_per_row_1_32_kernelILi1024ELi32ELi2E21rocsparse_complex_numIdEEEv20rocsparse_direction_ii21rocsparse_index_base_PKT2_PKiS9_iiS4_PS5_PiSB_, .Lfunc_end175-_ZN9rocsparseL35gebsr2csr_block_per_row_1_32_kernelILi1024ELi32ELi2E21rocsparse_complex_numIdEEEv20rocsparse_direction_ii21rocsparse_index_base_PKT2_PKiS9_iiS4_PS5_PiSB_
                                        ; -- End function
	.section	.AMDGPU.csdata,"",@progbits
; Kernel info:
; codeLenInByte = 564
; NumSgprs: 23
; NumVgprs: 22
; NumAgprs: 0
; TotalNumVgprs: 22
; ScratchSize: 0
; MemoryBound: 0
; FloatMode: 240
; IeeeMode: 1
; LDSByteSize: 0 bytes/workgroup (compile time only)
; SGPRBlocks: 2
; VGPRBlocks: 2
; NumSGPRsForWavesPerEU: 23
; NumVGPRsForWavesPerEU: 22
; AccumOffset: 24
; Occupancy: 8
; WaveLimiterHint : 0
; COMPUTE_PGM_RSRC2:SCRATCH_EN: 0
; COMPUTE_PGM_RSRC2:USER_SGPR: 6
; COMPUTE_PGM_RSRC2:TRAP_HANDLER: 0
; COMPUTE_PGM_RSRC2:TGID_X_EN: 1
; COMPUTE_PGM_RSRC2:TGID_Y_EN: 0
; COMPUTE_PGM_RSRC2:TGID_Z_EN: 0
; COMPUTE_PGM_RSRC2:TIDIG_COMP_CNT: 0
; COMPUTE_PGM_RSRC3_GFX90A:ACCUM_OFFSET: 5
; COMPUTE_PGM_RSRC3_GFX90A:TG_SPLIT: 0
	.section	.text._ZN9rocsparseL35gebsr2csr_block_per_row_1_32_kernelILi1024ELi32ELi4E21rocsparse_complex_numIdEEEv20rocsparse_direction_ii21rocsparse_index_base_PKT2_PKiS9_iiS4_PS5_PiSB_,"axG",@progbits,_ZN9rocsparseL35gebsr2csr_block_per_row_1_32_kernelILi1024ELi32ELi4E21rocsparse_complex_numIdEEEv20rocsparse_direction_ii21rocsparse_index_base_PKT2_PKiS9_iiS4_PS5_PiSB_,comdat
	.globl	_ZN9rocsparseL35gebsr2csr_block_per_row_1_32_kernelILi1024ELi32ELi4E21rocsparse_complex_numIdEEEv20rocsparse_direction_ii21rocsparse_index_base_PKT2_PKiS9_iiS4_PS5_PiSB_ ; -- Begin function _ZN9rocsparseL35gebsr2csr_block_per_row_1_32_kernelILi1024ELi32ELi4E21rocsparse_complex_numIdEEEv20rocsparse_direction_ii21rocsparse_index_base_PKT2_PKiS9_iiS4_PS5_PiSB_
	.p2align	8
	.type	_ZN9rocsparseL35gebsr2csr_block_per_row_1_32_kernelILi1024ELi32ELi4E21rocsparse_complex_numIdEEEv20rocsparse_direction_ii21rocsparse_index_base_PKT2_PKiS9_iiS4_PS5_PiSB_,@function
_ZN9rocsparseL35gebsr2csr_block_per_row_1_32_kernelILi1024ELi32ELi4E21rocsparse_complex_numIdEEEv20rocsparse_direction_ii21rocsparse_index_base_PKT2_PKiS9_iiS4_PS5_PiSB_: ; @_ZN9rocsparseL35gebsr2csr_block_per_row_1_32_kernelILi1024ELi32ELi4E21rocsparse_complex_numIdEEEv20rocsparse_direction_ii21rocsparse_index_base_PKT2_PKiS9_iiS4_PS5_PiSB_
; %bb.0:
	s_load_dwordx2 s[0:1], s[4:5], 0x18
	s_load_dwordx4 s[8:11], s[4:5], 0x28
	s_load_dwordx2 s[2:3], s[4:5], 0x40
	s_ashr_i32 s7, s6, 31
	s_lshl_b64 s[12:13], s[6:7], 2
	s_waitcnt lgkmcnt(0)
	s_add_u32 s12, s0, s12
	v_or_b32_e32 v1, s6, v0
	s_addc_u32 s13, s1, s13
	v_cmp_eq_u32_e32 vcc, 0, v1
	s_and_saveexec_b64 s[0:1], vcc
	s_cbranch_execz .LBB176_2
; %bb.1:
	v_mov_b32_e32 v1, 0
	v_mov_b32_e32 v2, s10
	global_store_dword v1, v2, s[2:3]
.LBB176_2:
	s_or_b64 exec, exec, s[0:1]
	v_and_b32_e32 v6, 3, v0
	v_bfe_u32 v8, v0, 2, 5
	v_cmp_gt_i32_e32 vcc, s8, v8
	v_cmp_gt_i32_e64 s[0:1], s9, v6
	s_and_b64 s[0:1], vcc, s[0:1]
	s_and_saveexec_b64 s[14:15], s[0:1]
	s_cbranch_execz .LBB176_6
; %bb.3:
	s_load_dwordx2 s[14:15], s[12:13], 0x0
	s_load_dword s11, s[4:5], 0xc
	s_mul_i32 s6, s6, s8
	v_add_u32_e32 v2, s6, v8
	s_mul_i32 s1, s9, s8
	v_ashrrev_i32_e32 v3, 31, v2
	s_waitcnt lgkmcnt(0)
	s_sub_i32 s0, s14, s11
	s_sub_i32 s14, s15, s11
	;; [unrolled: 1-line block ×3, first 2 shown]
	s_mul_i32 s12, s15, s9
	v_lshrrev_b32_e32 v1, 7, v0
	s_mul_i32 s7, s0, s1
	v_mul_lo_u32 v0, s12, v8
	s_add_i32 s12, s12, s10
	v_lshlrev_b64 v[2:3], 2, v[2:3]
	s_add_i32 s12, s12, s7
	v_mov_b32_e32 v4, s3
	v_add_co_u32_e32 v2, vcc, s2, v2
	v_add_u32_e32 v0, s12, v0
	v_addc_co_u32_e32 v3, vcc, v4, v3, vcc
	global_store_dword v[2:3], v0, off offset:4
	v_add_u32_e32 v0, s0, v1
	v_cmp_gt_i32_e32 vcc, s14, v0
	s_and_b64 exec, exec, vcc
	s_cbranch_execz .LBB176_6
; %bb.4:
	s_load_dwordx2 s[16:17], s[4:5], 0x20
	s_load_dwordx2 s[2:3], s[4:5], 0x38
	s_load_dword s18, s[4:5], 0x0
	s_load_dwordx2 s[6:7], s[4:5], 0x10
	s_load_dwordx2 s[12:13], s[4:5], 0x48
	v_mad_u64_u32 v[4:5], s[4:5], v6, s8, v[8:9]
	s_waitcnt lgkmcnt(0)
	s_cmp_eq_u32 s18, 0
	v_mad_u64_u32 v[10:11], s[4:5], v8, s9, v[6:7]
	s_cselect_b64 vcc, -1, 0
	s_mul_i32 s0, s8, s0
	v_mul_lo_u32 v3, s15, v8
	v_cndmask_b32_e32 v4, v4, v10, vcc
	v_add3_u32 v1, v1, s0, v3
	v_add_u32_e32 v2, s10, v6
	v_mad_u64_u32 v[4:5], s[4:5], s1, v0, v[4:5]
	s_lshl_b32 s10, s1, 3
	v_mad_u64_u32 v[6:7], s[0:1], s9, v1, v[6:7]
	v_ashrrev_i32_e32 v1, 31, v0
	v_lshlrev_b64 v[8:9], 2, v[0:1]
	v_mov_b32_e32 v1, s17
	v_add_co_u32_e32 v8, vcc, s16, v8
	s_lshl_b32 s8, s9, 3
	v_addc_co_u32_e32 v9, vcc, v1, v9, vcc
	s_mov_b64 s[4:5], 0
	v_mov_b32_e32 v1, s13
	v_mov_b32_e32 v3, s3
	;; [unrolled: 1-line block ×3, first 2 shown]
.LBB176_5:                              ; =>This Inner Loop Header: Depth=1
	v_ashrrev_i32_e32 v5, 31, v4
	global_load_dword v11, v[8:9], off
	v_lshlrev_b64 v[12:13], 4, v[4:5]
	v_add_co_u32_e32 v12, vcc, s6, v12
	v_addc_co_u32_e32 v13, vcc, v10, v13, vcc
	global_load_dwordx4 v[12:15], v[12:13], off
	v_ashrrev_i32_e32 v7, 31, v6
	v_lshlrev_b64 v[16:17], 2, v[6:7]
	v_add_co_u32_e32 v8, vcc, 32, v8
	v_add_co_u32_e64 v16, s[0:1], s12, v16
	v_add_u32_e32 v0, 8, v0
	v_addc_co_u32_e32 v9, vcc, 0, v9, vcc
	v_lshlrev_b64 v[18:19], 4, v[6:7]
	v_addc_co_u32_e64 v17, s[0:1], v1, v17, s[0:1]
	v_cmp_le_i32_e32 vcc, s14, v0
	v_add_co_u32_e64 v18, s[0:1], s2, v18
	v_add_u32_e32 v4, s10, v4
	v_add_u32_e32 v6, s8, v6
	v_addc_co_u32_e64 v19, s[0:1], v3, v19, s[0:1]
	s_or_b64 s[4:5], vcc, s[4:5]
	s_waitcnt vmcnt(1)
	v_subrev_u32_e32 v5, s11, v11
	v_mad_u64_u32 v[20:21], s[0:1], v5, s9, v[2:3]
	global_store_dword v[16:17], v20, off
	s_waitcnt vmcnt(1)
	global_store_dwordx4 v[18:19], v[12:15], off
	s_andn2_b64 exec, exec, s[4:5]
	s_cbranch_execnz .LBB176_5
.LBB176_6:
	s_endpgm
	.section	.rodata,"a",@progbits
	.p2align	6, 0x0
	.amdhsa_kernel _ZN9rocsparseL35gebsr2csr_block_per_row_1_32_kernelILi1024ELi32ELi4E21rocsparse_complex_numIdEEEv20rocsparse_direction_ii21rocsparse_index_base_PKT2_PKiS9_iiS4_PS5_PiSB_
		.amdhsa_group_segment_fixed_size 0
		.amdhsa_private_segment_fixed_size 0
		.amdhsa_kernarg_size 80
		.amdhsa_user_sgpr_count 6
		.amdhsa_user_sgpr_private_segment_buffer 1
		.amdhsa_user_sgpr_dispatch_ptr 0
		.amdhsa_user_sgpr_queue_ptr 0
		.amdhsa_user_sgpr_kernarg_segment_ptr 1
		.amdhsa_user_sgpr_dispatch_id 0
		.amdhsa_user_sgpr_flat_scratch_init 0
		.amdhsa_user_sgpr_kernarg_preload_length 0
		.amdhsa_user_sgpr_kernarg_preload_offset 0
		.amdhsa_user_sgpr_private_segment_size 0
		.amdhsa_uses_dynamic_stack 0
		.amdhsa_system_sgpr_private_segment_wavefront_offset 0
		.amdhsa_system_sgpr_workgroup_id_x 1
		.amdhsa_system_sgpr_workgroup_id_y 0
		.amdhsa_system_sgpr_workgroup_id_z 0
		.amdhsa_system_sgpr_workgroup_info 0
		.amdhsa_system_vgpr_workitem_id 0
		.amdhsa_next_free_vgpr 22
		.amdhsa_next_free_sgpr 19
		.amdhsa_accum_offset 24
		.amdhsa_reserve_vcc 1
		.amdhsa_reserve_flat_scratch 0
		.amdhsa_float_round_mode_32 0
		.amdhsa_float_round_mode_16_64 0
		.amdhsa_float_denorm_mode_32 3
		.amdhsa_float_denorm_mode_16_64 3
		.amdhsa_dx10_clamp 1
		.amdhsa_ieee_mode 1
		.amdhsa_fp16_overflow 0
		.amdhsa_tg_split 0
		.amdhsa_exception_fp_ieee_invalid_op 0
		.amdhsa_exception_fp_denorm_src 0
		.amdhsa_exception_fp_ieee_div_zero 0
		.amdhsa_exception_fp_ieee_overflow 0
		.amdhsa_exception_fp_ieee_underflow 0
		.amdhsa_exception_fp_ieee_inexact 0
		.amdhsa_exception_int_div_zero 0
	.end_amdhsa_kernel
	.section	.text._ZN9rocsparseL35gebsr2csr_block_per_row_1_32_kernelILi1024ELi32ELi4E21rocsparse_complex_numIdEEEv20rocsparse_direction_ii21rocsparse_index_base_PKT2_PKiS9_iiS4_PS5_PiSB_,"axG",@progbits,_ZN9rocsparseL35gebsr2csr_block_per_row_1_32_kernelILi1024ELi32ELi4E21rocsparse_complex_numIdEEEv20rocsparse_direction_ii21rocsparse_index_base_PKT2_PKiS9_iiS4_PS5_PiSB_,comdat
.Lfunc_end176:
	.size	_ZN9rocsparseL35gebsr2csr_block_per_row_1_32_kernelILi1024ELi32ELi4E21rocsparse_complex_numIdEEEv20rocsparse_direction_ii21rocsparse_index_base_PKT2_PKiS9_iiS4_PS5_PiSB_, .Lfunc_end176-_ZN9rocsparseL35gebsr2csr_block_per_row_1_32_kernelILi1024ELi32ELi4E21rocsparse_complex_numIdEEEv20rocsparse_direction_ii21rocsparse_index_base_PKT2_PKiS9_iiS4_PS5_PiSB_
                                        ; -- End function
	.section	.AMDGPU.csdata,"",@progbits
; Kernel info:
; codeLenInByte = 564
; NumSgprs: 23
; NumVgprs: 22
; NumAgprs: 0
; TotalNumVgprs: 22
; ScratchSize: 0
; MemoryBound: 0
; FloatMode: 240
; IeeeMode: 1
; LDSByteSize: 0 bytes/workgroup (compile time only)
; SGPRBlocks: 2
; VGPRBlocks: 2
; NumSGPRsForWavesPerEU: 23
; NumVGPRsForWavesPerEU: 22
; AccumOffset: 24
; Occupancy: 8
; WaveLimiterHint : 0
; COMPUTE_PGM_RSRC2:SCRATCH_EN: 0
; COMPUTE_PGM_RSRC2:USER_SGPR: 6
; COMPUTE_PGM_RSRC2:TRAP_HANDLER: 0
; COMPUTE_PGM_RSRC2:TGID_X_EN: 1
; COMPUTE_PGM_RSRC2:TGID_Y_EN: 0
; COMPUTE_PGM_RSRC2:TGID_Z_EN: 0
; COMPUTE_PGM_RSRC2:TIDIG_COMP_CNT: 0
; COMPUTE_PGM_RSRC3_GFX90A:ACCUM_OFFSET: 5
; COMPUTE_PGM_RSRC3_GFX90A:TG_SPLIT: 0
	.section	.text._ZN9rocsparseL35gebsr2csr_block_per_row_1_32_kernelILi1024ELi32ELi8E21rocsparse_complex_numIdEEEv20rocsparse_direction_ii21rocsparse_index_base_PKT2_PKiS9_iiS4_PS5_PiSB_,"axG",@progbits,_ZN9rocsparseL35gebsr2csr_block_per_row_1_32_kernelILi1024ELi32ELi8E21rocsparse_complex_numIdEEEv20rocsparse_direction_ii21rocsparse_index_base_PKT2_PKiS9_iiS4_PS5_PiSB_,comdat
	.globl	_ZN9rocsparseL35gebsr2csr_block_per_row_1_32_kernelILi1024ELi32ELi8E21rocsparse_complex_numIdEEEv20rocsparse_direction_ii21rocsparse_index_base_PKT2_PKiS9_iiS4_PS5_PiSB_ ; -- Begin function _ZN9rocsparseL35gebsr2csr_block_per_row_1_32_kernelILi1024ELi32ELi8E21rocsparse_complex_numIdEEEv20rocsparse_direction_ii21rocsparse_index_base_PKT2_PKiS9_iiS4_PS5_PiSB_
	.p2align	8
	.type	_ZN9rocsparseL35gebsr2csr_block_per_row_1_32_kernelILi1024ELi32ELi8E21rocsparse_complex_numIdEEEv20rocsparse_direction_ii21rocsparse_index_base_PKT2_PKiS9_iiS4_PS5_PiSB_,@function
_ZN9rocsparseL35gebsr2csr_block_per_row_1_32_kernelILi1024ELi32ELi8E21rocsparse_complex_numIdEEEv20rocsparse_direction_ii21rocsparse_index_base_PKT2_PKiS9_iiS4_PS5_PiSB_: ; @_ZN9rocsparseL35gebsr2csr_block_per_row_1_32_kernelILi1024ELi32ELi8E21rocsparse_complex_numIdEEEv20rocsparse_direction_ii21rocsparse_index_base_PKT2_PKiS9_iiS4_PS5_PiSB_
; %bb.0:
	s_load_dwordx2 s[0:1], s[4:5], 0x18
	s_load_dwordx4 s[8:11], s[4:5], 0x28
	s_load_dwordx2 s[2:3], s[4:5], 0x40
	s_ashr_i32 s7, s6, 31
	s_lshl_b64 s[12:13], s[6:7], 2
	s_waitcnt lgkmcnt(0)
	s_add_u32 s12, s0, s12
	v_or_b32_e32 v1, s6, v0
	s_addc_u32 s13, s1, s13
	v_cmp_eq_u32_e32 vcc, 0, v1
	s_and_saveexec_b64 s[0:1], vcc
	s_cbranch_execz .LBB177_2
; %bb.1:
	v_mov_b32_e32 v1, 0
	v_mov_b32_e32 v2, s10
	global_store_dword v1, v2, s[2:3]
.LBB177_2:
	s_or_b64 exec, exec, s[0:1]
	v_and_b32_e32 v6, 7, v0
	v_bfe_u32 v8, v0, 3, 5
	v_cmp_gt_i32_e32 vcc, s8, v8
	v_cmp_gt_i32_e64 s[0:1], s9, v6
	s_and_b64 s[0:1], vcc, s[0:1]
	s_and_saveexec_b64 s[14:15], s[0:1]
	s_cbranch_execz .LBB177_6
; %bb.3:
	s_load_dwordx2 s[14:15], s[12:13], 0x0
	s_load_dword s11, s[4:5], 0xc
	s_mul_i32 s6, s6, s8
	v_add_u32_e32 v2, s6, v8
	s_mul_i32 s1, s9, s8
	v_ashrrev_i32_e32 v3, 31, v2
	s_waitcnt lgkmcnt(0)
	s_sub_i32 s0, s14, s11
	s_sub_i32 s14, s15, s11
	;; [unrolled: 1-line block ×3, first 2 shown]
	s_mul_i32 s12, s15, s9
	v_lshrrev_b32_e32 v1, 8, v0
	s_mul_i32 s7, s0, s1
	v_mul_lo_u32 v0, s12, v8
	s_add_i32 s12, s12, s10
	v_lshlrev_b64 v[2:3], 2, v[2:3]
	s_add_i32 s12, s12, s7
	v_mov_b32_e32 v4, s3
	v_add_co_u32_e32 v2, vcc, s2, v2
	v_add_u32_e32 v0, s12, v0
	v_addc_co_u32_e32 v3, vcc, v4, v3, vcc
	global_store_dword v[2:3], v0, off offset:4
	v_add_u32_e32 v0, s0, v1
	v_cmp_gt_i32_e32 vcc, s14, v0
	s_and_b64 exec, exec, vcc
	s_cbranch_execz .LBB177_6
; %bb.4:
	s_load_dwordx2 s[16:17], s[4:5], 0x20
	s_load_dwordx2 s[2:3], s[4:5], 0x38
	s_load_dword s18, s[4:5], 0x0
	s_load_dwordx2 s[6:7], s[4:5], 0x10
	s_load_dwordx2 s[12:13], s[4:5], 0x48
	v_mad_u64_u32 v[4:5], s[4:5], v6, s8, v[8:9]
	s_waitcnt lgkmcnt(0)
	s_cmp_eq_u32 s18, 0
	v_mad_u64_u32 v[10:11], s[4:5], v8, s9, v[6:7]
	s_cselect_b64 vcc, -1, 0
	s_mul_i32 s0, s8, s0
	v_mul_lo_u32 v3, s15, v8
	v_cndmask_b32_e32 v4, v4, v10, vcc
	v_add3_u32 v1, v1, s0, v3
	v_add_u32_e32 v2, s10, v6
	v_mad_u64_u32 v[4:5], s[4:5], s1, v0, v[4:5]
	s_lshl_b32 s10, s1, 2
	v_mad_u64_u32 v[6:7], s[0:1], s9, v1, v[6:7]
	v_ashrrev_i32_e32 v1, 31, v0
	v_lshlrev_b64 v[8:9], 2, v[0:1]
	v_mov_b32_e32 v1, s17
	v_add_co_u32_e32 v8, vcc, s16, v8
	s_lshl_b32 s8, s9, 2
	v_addc_co_u32_e32 v9, vcc, v1, v9, vcc
	s_mov_b64 s[4:5], 0
	v_mov_b32_e32 v1, s13
	v_mov_b32_e32 v3, s3
	;; [unrolled: 1-line block ×3, first 2 shown]
.LBB177_5:                              ; =>This Inner Loop Header: Depth=1
	v_ashrrev_i32_e32 v5, 31, v4
	global_load_dword v11, v[8:9], off
	v_lshlrev_b64 v[12:13], 4, v[4:5]
	v_add_co_u32_e32 v12, vcc, s6, v12
	v_addc_co_u32_e32 v13, vcc, v10, v13, vcc
	global_load_dwordx4 v[12:15], v[12:13], off
	v_ashrrev_i32_e32 v7, 31, v6
	v_lshlrev_b64 v[16:17], 2, v[6:7]
	v_add_co_u32_e32 v8, vcc, 16, v8
	v_add_co_u32_e64 v16, s[0:1], s12, v16
	v_add_u32_e32 v0, 4, v0
	v_addc_co_u32_e32 v9, vcc, 0, v9, vcc
	v_lshlrev_b64 v[18:19], 4, v[6:7]
	v_addc_co_u32_e64 v17, s[0:1], v1, v17, s[0:1]
	v_cmp_le_i32_e32 vcc, s14, v0
	v_add_co_u32_e64 v18, s[0:1], s2, v18
	v_add_u32_e32 v4, s10, v4
	v_add_u32_e32 v6, s8, v6
	v_addc_co_u32_e64 v19, s[0:1], v3, v19, s[0:1]
	s_or_b64 s[4:5], vcc, s[4:5]
	s_waitcnt vmcnt(1)
	v_subrev_u32_e32 v5, s11, v11
	v_mad_u64_u32 v[20:21], s[0:1], v5, s9, v[2:3]
	global_store_dword v[16:17], v20, off
	s_waitcnt vmcnt(1)
	global_store_dwordx4 v[18:19], v[12:15], off
	s_andn2_b64 exec, exec, s[4:5]
	s_cbranch_execnz .LBB177_5
.LBB177_6:
	s_endpgm
	.section	.rodata,"a",@progbits
	.p2align	6, 0x0
	.amdhsa_kernel _ZN9rocsparseL35gebsr2csr_block_per_row_1_32_kernelILi1024ELi32ELi8E21rocsparse_complex_numIdEEEv20rocsparse_direction_ii21rocsparse_index_base_PKT2_PKiS9_iiS4_PS5_PiSB_
		.amdhsa_group_segment_fixed_size 0
		.amdhsa_private_segment_fixed_size 0
		.amdhsa_kernarg_size 80
		.amdhsa_user_sgpr_count 6
		.amdhsa_user_sgpr_private_segment_buffer 1
		.amdhsa_user_sgpr_dispatch_ptr 0
		.amdhsa_user_sgpr_queue_ptr 0
		.amdhsa_user_sgpr_kernarg_segment_ptr 1
		.amdhsa_user_sgpr_dispatch_id 0
		.amdhsa_user_sgpr_flat_scratch_init 0
		.amdhsa_user_sgpr_kernarg_preload_length 0
		.amdhsa_user_sgpr_kernarg_preload_offset 0
		.amdhsa_user_sgpr_private_segment_size 0
		.amdhsa_uses_dynamic_stack 0
		.amdhsa_system_sgpr_private_segment_wavefront_offset 0
		.amdhsa_system_sgpr_workgroup_id_x 1
		.amdhsa_system_sgpr_workgroup_id_y 0
		.amdhsa_system_sgpr_workgroup_id_z 0
		.amdhsa_system_sgpr_workgroup_info 0
		.amdhsa_system_vgpr_workitem_id 0
		.amdhsa_next_free_vgpr 22
		.amdhsa_next_free_sgpr 19
		.amdhsa_accum_offset 24
		.amdhsa_reserve_vcc 1
		.amdhsa_reserve_flat_scratch 0
		.amdhsa_float_round_mode_32 0
		.amdhsa_float_round_mode_16_64 0
		.amdhsa_float_denorm_mode_32 3
		.amdhsa_float_denorm_mode_16_64 3
		.amdhsa_dx10_clamp 1
		.amdhsa_ieee_mode 1
		.amdhsa_fp16_overflow 0
		.amdhsa_tg_split 0
		.amdhsa_exception_fp_ieee_invalid_op 0
		.amdhsa_exception_fp_denorm_src 0
		.amdhsa_exception_fp_ieee_div_zero 0
		.amdhsa_exception_fp_ieee_overflow 0
		.amdhsa_exception_fp_ieee_underflow 0
		.amdhsa_exception_fp_ieee_inexact 0
		.amdhsa_exception_int_div_zero 0
	.end_amdhsa_kernel
	.section	.text._ZN9rocsparseL35gebsr2csr_block_per_row_1_32_kernelILi1024ELi32ELi8E21rocsparse_complex_numIdEEEv20rocsparse_direction_ii21rocsparse_index_base_PKT2_PKiS9_iiS4_PS5_PiSB_,"axG",@progbits,_ZN9rocsparseL35gebsr2csr_block_per_row_1_32_kernelILi1024ELi32ELi8E21rocsparse_complex_numIdEEEv20rocsparse_direction_ii21rocsparse_index_base_PKT2_PKiS9_iiS4_PS5_PiSB_,comdat
.Lfunc_end177:
	.size	_ZN9rocsparseL35gebsr2csr_block_per_row_1_32_kernelILi1024ELi32ELi8E21rocsparse_complex_numIdEEEv20rocsparse_direction_ii21rocsparse_index_base_PKT2_PKiS9_iiS4_PS5_PiSB_, .Lfunc_end177-_ZN9rocsparseL35gebsr2csr_block_per_row_1_32_kernelILi1024ELi32ELi8E21rocsparse_complex_numIdEEEv20rocsparse_direction_ii21rocsparse_index_base_PKT2_PKiS9_iiS4_PS5_PiSB_
                                        ; -- End function
	.section	.AMDGPU.csdata,"",@progbits
; Kernel info:
; codeLenInByte = 564
; NumSgprs: 23
; NumVgprs: 22
; NumAgprs: 0
; TotalNumVgprs: 22
; ScratchSize: 0
; MemoryBound: 0
; FloatMode: 240
; IeeeMode: 1
; LDSByteSize: 0 bytes/workgroup (compile time only)
; SGPRBlocks: 2
; VGPRBlocks: 2
; NumSGPRsForWavesPerEU: 23
; NumVGPRsForWavesPerEU: 22
; AccumOffset: 24
; Occupancy: 8
; WaveLimiterHint : 0
; COMPUTE_PGM_RSRC2:SCRATCH_EN: 0
; COMPUTE_PGM_RSRC2:USER_SGPR: 6
; COMPUTE_PGM_RSRC2:TRAP_HANDLER: 0
; COMPUTE_PGM_RSRC2:TGID_X_EN: 1
; COMPUTE_PGM_RSRC2:TGID_Y_EN: 0
; COMPUTE_PGM_RSRC2:TGID_Z_EN: 0
; COMPUTE_PGM_RSRC2:TIDIG_COMP_CNT: 0
; COMPUTE_PGM_RSRC3_GFX90A:ACCUM_OFFSET: 5
; COMPUTE_PGM_RSRC3_GFX90A:TG_SPLIT: 0
	.section	.text._ZN9rocsparseL35gebsr2csr_block_per_row_1_32_kernelILi1024ELi32ELi16E21rocsparse_complex_numIdEEEv20rocsparse_direction_ii21rocsparse_index_base_PKT2_PKiS9_iiS4_PS5_PiSB_,"axG",@progbits,_ZN9rocsparseL35gebsr2csr_block_per_row_1_32_kernelILi1024ELi32ELi16E21rocsparse_complex_numIdEEEv20rocsparse_direction_ii21rocsparse_index_base_PKT2_PKiS9_iiS4_PS5_PiSB_,comdat
	.globl	_ZN9rocsparseL35gebsr2csr_block_per_row_1_32_kernelILi1024ELi32ELi16E21rocsparse_complex_numIdEEEv20rocsparse_direction_ii21rocsparse_index_base_PKT2_PKiS9_iiS4_PS5_PiSB_ ; -- Begin function _ZN9rocsparseL35gebsr2csr_block_per_row_1_32_kernelILi1024ELi32ELi16E21rocsparse_complex_numIdEEEv20rocsparse_direction_ii21rocsparse_index_base_PKT2_PKiS9_iiS4_PS5_PiSB_
	.p2align	8
	.type	_ZN9rocsparseL35gebsr2csr_block_per_row_1_32_kernelILi1024ELi32ELi16E21rocsparse_complex_numIdEEEv20rocsparse_direction_ii21rocsparse_index_base_PKT2_PKiS9_iiS4_PS5_PiSB_,@function
_ZN9rocsparseL35gebsr2csr_block_per_row_1_32_kernelILi1024ELi32ELi16E21rocsparse_complex_numIdEEEv20rocsparse_direction_ii21rocsparse_index_base_PKT2_PKiS9_iiS4_PS5_PiSB_: ; @_ZN9rocsparseL35gebsr2csr_block_per_row_1_32_kernelILi1024ELi32ELi16E21rocsparse_complex_numIdEEEv20rocsparse_direction_ii21rocsparse_index_base_PKT2_PKiS9_iiS4_PS5_PiSB_
; %bb.0:
	s_load_dwordx2 s[0:1], s[4:5], 0x18
	s_load_dwordx4 s[8:11], s[4:5], 0x28
	s_load_dwordx2 s[2:3], s[4:5], 0x40
	s_ashr_i32 s7, s6, 31
	s_lshl_b64 s[12:13], s[6:7], 2
	s_waitcnt lgkmcnt(0)
	s_add_u32 s12, s0, s12
	v_or_b32_e32 v1, s6, v0
	s_addc_u32 s13, s1, s13
	v_cmp_eq_u32_e32 vcc, 0, v1
	s_and_saveexec_b64 s[0:1], vcc
	s_cbranch_execz .LBB178_2
; %bb.1:
	v_mov_b32_e32 v1, 0
	v_mov_b32_e32 v2, s10
	global_store_dword v1, v2, s[2:3]
.LBB178_2:
	s_or_b64 exec, exec, s[0:1]
	v_and_b32_e32 v6, 15, v0
	v_bfe_u32 v8, v0, 4, 5
	v_cmp_gt_i32_e32 vcc, s8, v8
	v_cmp_gt_i32_e64 s[0:1], s9, v6
	s_and_b64 s[0:1], vcc, s[0:1]
	s_and_saveexec_b64 s[14:15], s[0:1]
	s_cbranch_execz .LBB178_6
; %bb.3:
	s_load_dwordx2 s[14:15], s[12:13], 0x0
	s_load_dword s11, s[4:5], 0xc
	s_mul_i32 s6, s6, s8
	v_add_u32_e32 v2, s6, v8
	s_mul_i32 s1, s9, s8
	v_ashrrev_i32_e32 v3, 31, v2
	s_waitcnt lgkmcnt(0)
	s_sub_i32 s0, s14, s11
	s_sub_i32 s14, s15, s11
	;; [unrolled: 1-line block ×3, first 2 shown]
	s_mul_i32 s12, s15, s9
	v_lshrrev_b32_e32 v1, 9, v0
	s_mul_i32 s7, s0, s1
	v_mul_lo_u32 v0, s12, v8
	s_add_i32 s12, s12, s10
	v_lshlrev_b64 v[2:3], 2, v[2:3]
	s_add_i32 s12, s12, s7
	v_mov_b32_e32 v4, s3
	v_add_co_u32_e32 v2, vcc, s2, v2
	v_add_u32_e32 v0, s12, v0
	v_addc_co_u32_e32 v3, vcc, v4, v3, vcc
	global_store_dword v[2:3], v0, off offset:4
	v_add_u32_e32 v0, s0, v1
	v_cmp_gt_i32_e32 vcc, s14, v0
	s_and_b64 exec, exec, vcc
	s_cbranch_execz .LBB178_6
; %bb.4:
	s_load_dwordx2 s[16:17], s[4:5], 0x20
	s_load_dwordx2 s[2:3], s[4:5], 0x38
	s_load_dword s18, s[4:5], 0x0
	s_load_dwordx2 s[6:7], s[4:5], 0x10
	s_load_dwordx2 s[12:13], s[4:5], 0x48
	v_mad_u64_u32 v[4:5], s[4:5], v6, s8, v[8:9]
	s_waitcnt lgkmcnt(0)
	s_cmp_eq_u32 s18, 0
	v_mad_u64_u32 v[10:11], s[4:5], v8, s9, v[6:7]
	s_cselect_b64 vcc, -1, 0
	s_mul_i32 s0, s8, s0
	v_mul_lo_u32 v3, s15, v8
	v_cndmask_b32_e32 v4, v4, v10, vcc
	v_add3_u32 v1, v1, s0, v3
	v_add_u32_e32 v2, s10, v6
	v_mad_u64_u32 v[4:5], s[4:5], s1, v0, v[4:5]
	s_lshl_b32 s10, s1, 1
	v_mad_u64_u32 v[6:7], s[0:1], s9, v1, v[6:7]
	v_ashrrev_i32_e32 v1, 31, v0
	v_lshlrev_b64 v[8:9], 2, v[0:1]
	v_mov_b32_e32 v1, s17
	v_add_co_u32_e32 v8, vcc, s16, v8
	s_lshl_b32 s8, s9, 1
	v_addc_co_u32_e32 v9, vcc, v1, v9, vcc
	s_mov_b64 s[4:5], 0
	v_mov_b32_e32 v1, s13
	v_mov_b32_e32 v3, s3
	v_mov_b32_e32 v10, s7
.LBB178_5:                              ; =>This Inner Loop Header: Depth=1
	v_ashrrev_i32_e32 v5, 31, v4
	global_load_dword v11, v[8:9], off
	v_lshlrev_b64 v[12:13], 4, v[4:5]
	v_add_co_u32_e32 v12, vcc, s6, v12
	v_addc_co_u32_e32 v13, vcc, v10, v13, vcc
	global_load_dwordx4 v[12:15], v[12:13], off
	v_ashrrev_i32_e32 v7, 31, v6
	v_lshlrev_b64 v[16:17], 2, v[6:7]
	v_add_co_u32_e32 v8, vcc, 8, v8
	v_add_co_u32_e64 v16, s[0:1], s12, v16
	v_add_u32_e32 v0, 2, v0
	v_addc_co_u32_e32 v9, vcc, 0, v9, vcc
	v_lshlrev_b64 v[18:19], 4, v[6:7]
	v_addc_co_u32_e64 v17, s[0:1], v1, v17, s[0:1]
	v_cmp_le_i32_e32 vcc, s14, v0
	v_add_co_u32_e64 v18, s[0:1], s2, v18
	v_add_u32_e32 v4, s10, v4
	v_add_u32_e32 v6, s8, v6
	v_addc_co_u32_e64 v19, s[0:1], v3, v19, s[0:1]
	s_or_b64 s[4:5], vcc, s[4:5]
	s_waitcnt vmcnt(1)
	v_subrev_u32_e32 v5, s11, v11
	v_mad_u64_u32 v[20:21], s[0:1], v5, s9, v[2:3]
	global_store_dword v[16:17], v20, off
	s_waitcnt vmcnt(1)
	global_store_dwordx4 v[18:19], v[12:15], off
	s_andn2_b64 exec, exec, s[4:5]
	s_cbranch_execnz .LBB178_5
.LBB178_6:
	s_endpgm
	.section	.rodata,"a",@progbits
	.p2align	6, 0x0
	.amdhsa_kernel _ZN9rocsparseL35gebsr2csr_block_per_row_1_32_kernelILi1024ELi32ELi16E21rocsparse_complex_numIdEEEv20rocsparse_direction_ii21rocsparse_index_base_PKT2_PKiS9_iiS4_PS5_PiSB_
		.amdhsa_group_segment_fixed_size 0
		.amdhsa_private_segment_fixed_size 0
		.amdhsa_kernarg_size 80
		.amdhsa_user_sgpr_count 6
		.amdhsa_user_sgpr_private_segment_buffer 1
		.amdhsa_user_sgpr_dispatch_ptr 0
		.amdhsa_user_sgpr_queue_ptr 0
		.amdhsa_user_sgpr_kernarg_segment_ptr 1
		.amdhsa_user_sgpr_dispatch_id 0
		.amdhsa_user_sgpr_flat_scratch_init 0
		.amdhsa_user_sgpr_kernarg_preload_length 0
		.amdhsa_user_sgpr_kernarg_preload_offset 0
		.amdhsa_user_sgpr_private_segment_size 0
		.amdhsa_uses_dynamic_stack 0
		.amdhsa_system_sgpr_private_segment_wavefront_offset 0
		.amdhsa_system_sgpr_workgroup_id_x 1
		.amdhsa_system_sgpr_workgroup_id_y 0
		.amdhsa_system_sgpr_workgroup_id_z 0
		.amdhsa_system_sgpr_workgroup_info 0
		.amdhsa_system_vgpr_workitem_id 0
		.amdhsa_next_free_vgpr 22
		.amdhsa_next_free_sgpr 19
		.amdhsa_accum_offset 24
		.amdhsa_reserve_vcc 1
		.amdhsa_reserve_flat_scratch 0
		.amdhsa_float_round_mode_32 0
		.amdhsa_float_round_mode_16_64 0
		.amdhsa_float_denorm_mode_32 3
		.amdhsa_float_denorm_mode_16_64 3
		.amdhsa_dx10_clamp 1
		.amdhsa_ieee_mode 1
		.amdhsa_fp16_overflow 0
		.amdhsa_tg_split 0
		.amdhsa_exception_fp_ieee_invalid_op 0
		.amdhsa_exception_fp_denorm_src 0
		.amdhsa_exception_fp_ieee_div_zero 0
		.amdhsa_exception_fp_ieee_overflow 0
		.amdhsa_exception_fp_ieee_underflow 0
		.amdhsa_exception_fp_ieee_inexact 0
		.amdhsa_exception_int_div_zero 0
	.end_amdhsa_kernel
	.section	.text._ZN9rocsparseL35gebsr2csr_block_per_row_1_32_kernelILi1024ELi32ELi16E21rocsparse_complex_numIdEEEv20rocsparse_direction_ii21rocsparse_index_base_PKT2_PKiS9_iiS4_PS5_PiSB_,"axG",@progbits,_ZN9rocsparseL35gebsr2csr_block_per_row_1_32_kernelILi1024ELi32ELi16E21rocsparse_complex_numIdEEEv20rocsparse_direction_ii21rocsparse_index_base_PKT2_PKiS9_iiS4_PS5_PiSB_,comdat
.Lfunc_end178:
	.size	_ZN9rocsparseL35gebsr2csr_block_per_row_1_32_kernelILi1024ELi32ELi16E21rocsparse_complex_numIdEEEv20rocsparse_direction_ii21rocsparse_index_base_PKT2_PKiS9_iiS4_PS5_PiSB_, .Lfunc_end178-_ZN9rocsparseL35gebsr2csr_block_per_row_1_32_kernelILi1024ELi32ELi16E21rocsparse_complex_numIdEEEv20rocsparse_direction_ii21rocsparse_index_base_PKT2_PKiS9_iiS4_PS5_PiSB_
                                        ; -- End function
	.section	.AMDGPU.csdata,"",@progbits
; Kernel info:
; codeLenInByte = 564
; NumSgprs: 23
; NumVgprs: 22
; NumAgprs: 0
; TotalNumVgprs: 22
; ScratchSize: 0
; MemoryBound: 0
; FloatMode: 240
; IeeeMode: 1
; LDSByteSize: 0 bytes/workgroup (compile time only)
; SGPRBlocks: 2
; VGPRBlocks: 2
; NumSGPRsForWavesPerEU: 23
; NumVGPRsForWavesPerEU: 22
; AccumOffset: 24
; Occupancy: 8
; WaveLimiterHint : 0
; COMPUTE_PGM_RSRC2:SCRATCH_EN: 0
; COMPUTE_PGM_RSRC2:USER_SGPR: 6
; COMPUTE_PGM_RSRC2:TRAP_HANDLER: 0
; COMPUTE_PGM_RSRC2:TGID_X_EN: 1
; COMPUTE_PGM_RSRC2:TGID_Y_EN: 0
; COMPUTE_PGM_RSRC2:TGID_Z_EN: 0
; COMPUTE_PGM_RSRC2:TIDIG_COMP_CNT: 0
; COMPUTE_PGM_RSRC3_GFX90A:ACCUM_OFFSET: 5
; COMPUTE_PGM_RSRC3_GFX90A:TG_SPLIT: 0
	.section	.text._ZN9rocsparseL35gebsr2csr_block_per_row_1_32_kernelILi1024ELi32ELi32E21rocsparse_complex_numIdEEEv20rocsparse_direction_ii21rocsparse_index_base_PKT2_PKiS9_iiS4_PS5_PiSB_,"axG",@progbits,_ZN9rocsparseL35gebsr2csr_block_per_row_1_32_kernelILi1024ELi32ELi32E21rocsparse_complex_numIdEEEv20rocsparse_direction_ii21rocsparse_index_base_PKT2_PKiS9_iiS4_PS5_PiSB_,comdat
	.globl	_ZN9rocsparseL35gebsr2csr_block_per_row_1_32_kernelILi1024ELi32ELi32E21rocsparse_complex_numIdEEEv20rocsparse_direction_ii21rocsparse_index_base_PKT2_PKiS9_iiS4_PS5_PiSB_ ; -- Begin function _ZN9rocsparseL35gebsr2csr_block_per_row_1_32_kernelILi1024ELi32ELi32E21rocsparse_complex_numIdEEEv20rocsparse_direction_ii21rocsparse_index_base_PKT2_PKiS9_iiS4_PS5_PiSB_
	.p2align	8
	.type	_ZN9rocsparseL35gebsr2csr_block_per_row_1_32_kernelILi1024ELi32ELi32E21rocsparse_complex_numIdEEEv20rocsparse_direction_ii21rocsparse_index_base_PKT2_PKiS9_iiS4_PS5_PiSB_,@function
_ZN9rocsparseL35gebsr2csr_block_per_row_1_32_kernelILi1024ELi32ELi32E21rocsparse_complex_numIdEEEv20rocsparse_direction_ii21rocsparse_index_base_PKT2_PKiS9_iiS4_PS5_PiSB_: ; @_ZN9rocsparseL35gebsr2csr_block_per_row_1_32_kernelILi1024ELi32ELi32E21rocsparse_complex_numIdEEEv20rocsparse_direction_ii21rocsparse_index_base_PKT2_PKiS9_iiS4_PS5_PiSB_
; %bb.0:
	s_load_dwordx2 s[0:1], s[4:5], 0x18
	s_load_dwordx4 s[8:11], s[4:5], 0x28
	s_load_dwordx2 s[2:3], s[4:5], 0x40
	s_ashr_i32 s7, s6, 31
	s_lshl_b64 s[12:13], s[6:7], 2
	s_waitcnt lgkmcnt(0)
	s_add_u32 s12, s0, s12
	v_or_b32_e32 v1, s6, v0
	s_addc_u32 s13, s1, s13
	v_cmp_eq_u32_e32 vcc, 0, v1
	s_and_saveexec_b64 s[0:1], vcc
	s_cbranch_execz .LBB179_2
; %bb.1:
	v_mov_b32_e32 v1, 0
	v_mov_b32_e32 v2, s10
	global_store_dword v1, v2, s[2:3]
.LBB179_2:
	s_or_b64 exec, exec, s[0:1]
	v_and_b32_e32 v2, 31, v0
	v_lshrrev_b32_e32 v4, 5, v0
	v_cmp_gt_i32_e32 vcc, s8, v4
	v_cmp_gt_i32_e64 s[0:1], s9, v2
	s_and_b64 s[0:1], vcc, s[0:1]
	s_and_saveexec_b64 s[14:15], s[0:1]
	s_cbranch_execz .LBB179_6
; %bb.3:
	s_load_dwordx2 s[18:19], s[12:13], 0x0
	s_load_dword s11, s[4:5], 0xc
	s_mul_i32 s14, s9, s8
	s_mul_i32 s6, s6, s8
	v_mov_b32_e32 v5, s3
	s_waitcnt lgkmcnt(0)
	s_sub_i32 s0, s18, s11
	s_sub_i32 s15, s19, s11
	;; [unrolled: 1-line block ×3, first 2 shown]
	s_mul_i32 s7, s1, s9
	s_mul_i32 s16, s0, s14
	v_mul_lo_u32 v0, s7, v4
	s_add_i32 s7, s7, s10
	s_add_i32 s7, s7, s16
	v_add_u32_e32 v3, s7, v0
	v_add_u32_e32 v0, s6, v4
	v_ashrrev_i32_e32 v1, 31, v0
	v_lshlrev_b64 v[0:1], 2, v[0:1]
	v_add_co_u32_e32 v0, vcc, s2, v0
	v_addc_co_u32_e32 v1, vcc, v5, v1, vcc
	s_cmp_ge_i32 s18, s19
	global_store_dword v[0:1], v3, off offset:4
	s_cbranch_scc1 .LBB179_6
; %bb.4:
	s_load_dwordx2 s[18:19], s[4:5], 0x20
	s_load_dwordx2 s[2:3], s[4:5], 0x38
	s_load_dword s17, s[4:5], 0x0
	s_load_dwordx2 s[6:7], s[4:5], 0x10
	s_load_dwordx2 s[12:13], s[4:5], 0x48
	v_add_u32_e32 v5, s10, v2
	v_mad_u64_u32 v[0:1], s[4:5], v2, s8, v[4:5]
	v_mad_u64_u32 v[6:7], s[4:5], v4, s9, v[2:3]
	s_mul_i32 s4, s8, s0
	v_mul_lo_u32 v1, v4, s1
	s_waitcnt lgkmcnt(0)
	s_cmp_eq_u32 s17, 0
	v_add_u32_e32 v1, s4, v1
	s_cselect_b64 vcc, -1, 0
	v_mad_u64_u32 v[2:3], s[4:5], s9, v1, v[2:3]
	s_ashr_i32 s1, s0, 31
	s_lshl_b64 s[4:5], s[0:1], 2
	v_cndmask_b32_e32 v0, v0, v6, vcc
	s_add_u32 s4, s18, s4
	v_add_u32_e32 v0, s16, v0
	s_addc_u32 s5, s19, s5
	v_mov_b32_e32 v4, s13
	v_mov_b32_e32 v6, s3
	;; [unrolled: 1-line block ×3, first 2 shown]
.LBB179_5:                              ; =>This Inner Loop Header: Depth=1
	v_ashrrev_i32_e32 v1, 31, v0
	v_lshlrev_b64 v[8:9], 4, v[0:1]
	v_add_co_u32_e32 v8, vcc, s6, v8
	v_addc_co_u32_e32 v9, vcc, v7, v9, vcc
	global_load_dwordx4 v[8:11], v[8:9], off
	s_load_dword s1, s[4:5], 0x0
	v_ashrrev_i32_e32 v3, 31, v2
	v_lshlrev_b64 v[12:13], 2, v[2:3]
	s_add_i32 s0, s0, 1
	v_add_co_u32_e32 v12, vcc, s12, v12
	s_waitcnt lgkmcnt(0)
	s_sub_i32 s1, s1, s11
	v_lshlrev_b64 v[14:15], 4, v[2:3]
	v_addc_co_u32_e32 v13, vcc, v4, v13, vcc
	s_add_u32 s4, s4, 4
	v_add_co_u32_e32 v14, vcc, s2, v14
	s_mul_i32 s1, s1, s9
	s_addc_u32 s5, s5, 0
	v_add_u32_e32 v0, s14, v0
	v_add_u32_e32 v2, s9, v2
	v_addc_co_u32_e32 v15, vcc, v6, v15, vcc
	v_add_u32_e32 v1, s1, v5
	s_cmp_lt_i32 s0, s15
	global_store_dword v[12:13], v1, off
	s_waitcnt vmcnt(1)
	global_store_dwordx4 v[14:15], v[8:11], off
	s_cbranch_scc1 .LBB179_5
.LBB179_6:
	s_endpgm
	.section	.rodata,"a",@progbits
	.p2align	6, 0x0
	.amdhsa_kernel _ZN9rocsparseL35gebsr2csr_block_per_row_1_32_kernelILi1024ELi32ELi32E21rocsparse_complex_numIdEEEv20rocsparse_direction_ii21rocsparse_index_base_PKT2_PKiS9_iiS4_PS5_PiSB_
		.amdhsa_group_segment_fixed_size 0
		.amdhsa_private_segment_fixed_size 0
		.amdhsa_kernarg_size 80
		.amdhsa_user_sgpr_count 6
		.amdhsa_user_sgpr_private_segment_buffer 1
		.amdhsa_user_sgpr_dispatch_ptr 0
		.amdhsa_user_sgpr_queue_ptr 0
		.amdhsa_user_sgpr_kernarg_segment_ptr 1
		.amdhsa_user_sgpr_dispatch_id 0
		.amdhsa_user_sgpr_flat_scratch_init 0
		.amdhsa_user_sgpr_kernarg_preload_length 0
		.amdhsa_user_sgpr_kernarg_preload_offset 0
		.amdhsa_user_sgpr_private_segment_size 0
		.amdhsa_uses_dynamic_stack 0
		.amdhsa_system_sgpr_private_segment_wavefront_offset 0
		.amdhsa_system_sgpr_workgroup_id_x 1
		.amdhsa_system_sgpr_workgroup_id_y 0
		.amdhsa_system_sgpr_workgroup_id_z 0
		.amdhsa_system_sgpr_workgroup_info 0
		.amdhsa_system_vgpr_workitem_id 0
		.amdhsa_next_free_vgpr 16
		.amdhsa_next_free_sgpr 20
		.amdhsa_accum_offset 16
		.amdhsa_reserve_vcc 1
		.amdhsa_reserve_flat_scratch 0
		.amdhsa_float_round_mode_32 0
		.amdhsa_float_round_mode_16_64 0
		.amdhsa_float_denorm_mode_32 3
		.amdhsa_float_denorm_mode_16_64 3
		.amdhsa_dx10_clamp 1
		.amdhsa_ieee_mode 1
		.amdhsa_fp16_overflow 0
		.amdhsa_tg_split 0
		.amdhsa_exception_fp_ieee_invalid_op 0
		.amdhsa_exception_fp_denorm_src 0
		.amdhsa_exception_fp_ieee_div_zero 0
		.amdhsa_exception_fp_ieee_overflow 0
		.amdhsa_exception_fp_ieee_underflow 0
		.amdhsa_exception_fp_ieee_inexact 0
		.amdhsa_exception_int_div_zero 0
	.end_amdhsa_kernel
	.section	.text._ZN9rocsparseL35gebsr2csr_block_per_row_1_32_kernelILi1024ELi32ELi32E21rocsparse_complex_numIdEEEv20rocsparse_direction_ii21rocsparse_index_base_PKT2_PKiS9_iiS4_PS5_PiSB_,"axG",@progbits,_ZN9rocsparseL35gebsr2csr_block_per_row_1_32_kernelILi1024ELi32ELi32E21rocsparse_complex_numIdEEEv20rocsparse_direction_ii21rocsparse_index_base_PKT2_PKiS9_iiS4_PS5_PiSB_,comdat
.Lfunc_end179:
	.size	_ZN9rocsparseL35gebsr2csr_block_per_row_1_32_kernelILi1024ELi32ELi32E21rocsparse_complex_numIdEEEv20rocsparse_direction_ii21rocsparse_index_base_PKT2_PKiS9_iiS4_PS5_PiSB_, .Lfunc_end179-_ZN9rocsparseL35gebsr2csr_block_per_row_1_32_kernelILi1024ELi32ELi32E21rocsparse_complex_numIdEEEv20rocsparse_direction_ii21rocsparse_index_base_PKT2_PKiS9_iiS4_PS5_PiSB_
                                        ; -- End function
	.section	.AMDGPU.csdata,"",@progbits
; Kernel info:
; codeLenInByte = 496
; NumSgprs: 24
; NumVgprs: 16
; NumAgprs: 0
; TotalNumVgprs: 16
; ScratchSize: 0
; MemoryBound: 0
; FloatMode: 240
; IeeeMode: 1
; LDSByteSize: 0 bytes/workgroup (compile time only)
; SGPRBlocks: 2
; VGPRBlocks: 1
; NumSGPRsForWavesPerEU: 24
; NumVGPRsForWavesPerEU: 16
; AccumOffset: 16
; Occupancy: 8
; WaveLimiterHint : 0
; COMPUTE_PGM_RSRC2:SCRATCH_EN: 0
; COMPUTE_PGM_RSRC2:USER_SGPR: 6
; COMPUTE_PGM_RSRC2:TRAP_HANDLER: 0
; COMPUTE_PGM_RSRC2:TGID_X_EN: 1
; COMPUTE_PGM_RSRC2:TGID_Y_EN: 0
; COMPUTE_PGM_RSRC2:TGID_Z_EN: 0
; COMPUTE_PGM_RSRC2:TIDIG_COMP_CNT: 0
; COMPUTE_PGM_RSRC3_GFX90A:ACCUM_OFFSET: 3
; COMPUTE_PGM_RSRC3_GFX90A:TG_SPLIT: 0
	.section	.text._ZN9rocsparseL37gebsr2csr_block_per_row_33_128_kernelILi1024ELi32ELi64ELi32ELi32E21rocsparse_complex_numIdEEEv20rocsparse_direction_ii21rocsparse_index_base_PKT4_PKiS9_iiS4_PS5_PiSB_,"axG",@progbits,_ZN9rocsparseL37gebsr2csr_block_per_row_33_128_kernelILi1024ELi32ELi64ELi32ELi32E21rocsparse_complex_numIdEEEv20rocsparse_direction_ii21rocsparse_index_base_PKT4_PKiS9_iiS4_PS5_PiSB_,comdat
	.globl	_ZN9rocsparseL37gebsr2csr_block_per_row_33_128_kernelILi1024ELi32ELi64ELi32ELi32E21rocsparse_complex_numIdEEEv20rocsparse_direction_ii21rocsparse_index_base_PKT4_PKiS9_iiS4_PS5_PiSB_ ; -- Begin function _ZN9rocsparseL37gebsr2csr_block_per_row_33_128_kernelILi1024ELi32ELi64ELi32ELi32E21rocsparse_complex_numIdEEEv20rocsparse_direction_ii21rocsparse_index_base_PKT4_PKiS9_iiS4_PS5_PiSB_
	.p2align	8
	.type	_ZN9rocsparseL37gebsr2csr_block_per_row_33_128_kernelILi1024ELi32ELi64ELi32ELi32E21rocsparse_complex_numIdEEEv20rocsparse_direction_ii21rocsparse_index_base_PKT4_PKiS9_iiS4_PS5_PiSB_,@function
_ZN9rocsparseL37gebsr2csr_block_per_row_33_128_kernelILi1024ELi32ELi64ELi32ELi32E21rocsparse_complex_numIdEEEv20rocsparse_direction_ii21rocsparse_index_base_PKT4_PKiS9_iiS4_PS5_PiSB_: ; @_ZN9rocsparseL37gebsr2csr_block_per_row_33_128_kernelILi1024ELi32ELi64ELi32ELi32E21rocsparse_complex_numIdEEEv20rocsparse_direction_ii21rocsparse_index_base_PKT4_PKiS9_iiS4_PS5_PiSB_
; %bb.0:
	s_load_dwordx2 s[0:1], s[4:5], 0x18
	s_load_dwordx4 s[8:11], s[4:5], 0x28
	s_load_dwordx2 s[2:3], s[4:5], 0x40
	s_ashr_i32 s7, s6, 31
	s_lshl_b64 s[12:13], s[6:7], 2
	s_waitcnt lgkmcnt(0)
	s_add_u32 s0, s0, s12
	s_addc_u32 s1, s1, s13
	s_load_dwordx2 s[14:15], s[0:1], 0x0
	v_or_b32_e32 v1, s6, v0
	v_cmp_eq_u32_e32 vcc, 0, v1
	s_and_saveexec_b64 s[0:1], vcc
	s_cbranch_execz .LBB180_2
; %bb.1:
	v_mov_b32_e32 v1, 0
	v_mov_b32_e32 v2, s10
	global_store_dword v1, v2, s[2:3]
.LBB180_2:
	s_or_b64 exec, exec, s[0:1]
	s_load_dword s11, s[4:5], 0xc
	v_lshrrev_b32_e32 v4, 5, v0
	v_cmp_gt_i32_e64 s[0:1], s8, v4
	s_mul_i32 s23, s9, s8
	s_waitcnt lgkmcnt(0)
	s_sub_i32 s12, s14, s11
	s_sub_i32 s22, s15, s11
	s_and_saveexec_b64 s[16:17], s[0:1]
	s_cbranch_execz .LBB180_4
; %bb.3:
	s_mul_i32 s6, s6, s8
	v_add_u32_e32 v2, s6, v4
	s_mul_i32 s7, s23, s12
	s_sub_i32 s13, s22, s12
	v_ashrrev_i32_e32 v3, 31, v2
	s_mul_i32 s13, s13, s9
	s_add_i32 s7, s7, s10
	v_lshlrev_b64 v[2:3], 2, v[2:3]
	v_mul_lo_u32 v1, s13, v4
	s_add_i32 s7, s7, s13
	v_mov_b32_e32 v5, s3
	v_add_co_u32_e32 v2, vcc, s2, v2
	v_add_u32_e32 v1, s7, v1
	v_addc_co_u32_e32 v3, vcc, v5, v3, vcc
	global_store_dword v[2:3], v1, off offset:4
.LBB180_4:
	s_or_b64 exec, exec, s[16:17]
	s_cmp_ge_i32 s14, s15
	s_cbranch_scc1 .LBB180_11
; %bb.5:
	s_load_dwordx2 s[18:19], s[4:5], 0x20
	s_load_dwordx2 s[6:7], s[4:5], 0x38
	;; [unrolled: 1-line block ×4, first 2 shown]
	s_load_dword s2, s[4:5], 0x0
	s_mul_i32 s13, s8, s12
	v_and_b32_e32 v0, 31, v0
	v_add_u32_e32 v1, s13, v4
	v_mad_u64_u32 v[2:3], s[4:5], s9, v1, v[0:1]
	s_mul_i32 s4, s9, s12
	s_sub_i32 s3, s22, s12
	v_add_u32_e32 v3, s4, v0
	v_mul_lo_u32 v6, s3, v4
	s_waitcnt lgkmcnt(0)
	s_cmp_eq_u32 s2, 0
	v_cmp_gt_i32_e64 s[2:3], s9, v0
	v_mad_u64_u32 v[8:9], s[4:5], s8, v3, v[4:5]
	v_or_b32_e32 v1, 32, v0
	s_cselect_b64 vcc, -1, 0
	s_and_b64 s[4:5], s[0:1], s[2:3]
	v_cmp_gt_i32_e64 s[2:3], s9, v1
	v_add_u32_e32 v3, 32, v3
	s_and_b64 s[2:3], s[0:1], s[2:3]
	v_mad_u64_u32 v[4:5], s[0:1], s8, v3, v[4:5]
	v_add_u32_e32 v3, s13, v6
	v_mad_u64_u32 v[6:7], s[0:1], s9, v3, v[0:1]
	s_ashr_i32 s13, s12, 31
	s_lshl_b64 s[0:1], s[12:13], 2
	s_add_u32 s18, s18, s0
	s_mov_b32 s24, 0
	s_addc_u32 s19, s19, s1
	v_cndmask_b32_e32 v3, v8, v2, vcc
	s_branch .LBB180_7
.LBB180_6:                              ;   in Loop: Header=BB180_7 Depth=1
	s_or_b64 exec, exec, s[20:21]
	s_add_i32 s12, s12, 1
	s_add_i32 s24, s24, s23
	s_add_u32 s18, s18, 4
	s_addc_u32 s19, s19, 0
	s_cmp_ge_i32 s12, s22
	v_add_u32_e32 v6, s9, v6
	s_cbranch_scc1 .LBB180_11
.LBB180_7:                              ; =>This Inner Loop Header: Depth=1
	s_load_dword s0, s[18:19], 0x0
	s_waitcnt lgkmcnt(0)
	s_sub_i32 s0, s0, s11
	s_mul_i32 s8, s0, s9
	s_add_i32 s8, s8, s10
	s_and_saveexec_b64 s[20:21], s[4:5]
	s_cbranch_execz .LBB180_9
; %bb.8:                                ;   in Loop: Header=BB180_7 Depth=1
	v_add_u32_e32 v8, s24, v3
	v_ashrrev_i32_e32 v9, 31, v8
	v_lshlrev_b64 v[8:9], 4, v[8:9]
	v_mov_b32_e32 v5, s17
	v_add_co_u32_e64 v8, s[0:1], s16, v8
	v_addc_co_u32_e64 v9, s[0:1], v5, v9, s[0:1]
	global_load_dwordx4 v[8:11], v[8:9], off
	v_ashrrev_i32_e32 v7, 31, v6
	v_lshlrev_b64 v[12:13], 2, v[6:7]
	v_mov_b32_e32 v14, s15
	v_add_co_u32_e64 v12, s[0:1], s14, v12
	v_add_u32_e32 v5, s8, v0
	v_addc_co_u32_e64 v13, s[0:1], v14, v13, s[0:1]
	global_store_dword v[12:13], v5, off
	v_lshlrev_b64 v[12:13], 4, v[6:7]
	v_mov_b32_e32 v5, s7
	v_add_co_u32_e64 v12, s[0:1], s6, v12
	v_addc_co_u32_e64 v13, s[0:1], v5, v13, s[0:1]
	s_waitcnt vmcnt(1)
	global_store_dwordx4 v[12:13], v[8:11], off
.LBB180_9:                              ;   in Loop: Header=BB180_7 Depth=1
	s_or_b64 exec, exec, s[20:21]
	s_and_saveexec_b64 s[20:21], s[2:3]
	s_cbranch_execz .LBB180_6
; %bb.10:                               ;   in Loop: Header=BB180_7 Depth=1
	v_add3_u32 v5, v2, s24, 32
	v_add_u32_e32 v7, s24, v4
	v_cndmask_b32_e32 v8, v7, v5, vcc
	v_ashrrev_i32_e32 v9, 31, v8
	v_lshlrev_b64 v[8:9], 4, v[8:9]
	v_mov_b32_e32 v5, s17
	v_add_co_u32_e64 v8, s[0:1], s16, v8
	v_addc_co_u32_e64 v9, s[0:1], v5, v9, s[0:1]
	global_load_dwordx4 v[8:11], v[8:9], off
	v_add_u32_e32 v12, 32, v6
	v_ashrrev_i32_e32 v13, 31, v12
	v_lshlrev_b64 v[14:15], 2, v[12:13]
	v_mov_b32_e32 v7, s15
	v_add_co_u32_e64 v14, s[0:1], s14, v14
	v_add_u32_e32 v5, s8, v1
	v_addc_co_u32_e64 v15, s[0:1], v7, v15, s[0:1]
	v_lshlrev_b64 v[12:13], 4, v[12:13]
	global_store_dword v[14:15], v5, off
	v_mov_b32_e32 v5, s7
	v_add_co_u32_e64 v12, s[0:1], s6, v12
	v_addc_co_u32_e64 v13, s[0:1], v5, v13, s[0:1]
	s_waitcnt vmcnt(1)
	global_store_dwordx4 v[12:13], v[8:11], off
	s_branch .LBB180_6
.LBB180_11:
	s_endpgm
	.section	.rodata,"a",@progbits
	.p2align	6, 0x0
	.amdhsa_kernel _ZN9rocsparseL37gebsr2csr_block_per_row_33_128_kernelILi1024ELi32ELi64ELi32ELi32E21rocsparse_complex_numIdEEEv20rocsparse_direction_ii21rocsparse_index_base_PKT4_PKiS9_iiS4_PS5_PiSB_
		.amdhsa_group_segment_fixed_size 0
		.amdhsa_private_segment_fixed_size 0
		.amdhsa_kernarg_size 80
		.amdhsa_user_sgpr_count 6
		.amdhsa_user_sgpr_private_segment_buffer 1
		.amdhsa_user_sgpr_dispatch_ptr 0
		.amdhsa_user_sgpr_queue_ptr 0
		.amdhsa_user_sgpr_kernarg_segment_ptr 1
		.amdhsa_user_sgpr_dispatch_id 0
		.amdhsa_user_sgpr_flat_scratch_init 0
		.amdhsa_user_sgpr_kernarg_preload_length 0
		.amdhsa_user_sgpr_kernarg_preload_offset 0
		.amdhsa_user_sgpr_private_segment_size 0
		.amdhsa_uses_dynamic_stack 0
		.amdhsa_system_sgpr_private_segment_wavefront_offset 0
		.amdhsa_system_sgpr_workgroup_id_x 1
		.amdhsa_system_sgpr_workgroup_id_y 0
		.amdhsa_system_sgpr_workgroup_id_z 0
		.amdhsa_system_sgpr_workgroup_info 0
		.amdhsa_system_vgpr_workitem_id 0
		.amdhsa_next_free_vgpr 16
		.amdhsa_next_free_sgpr 25
		.amdhsa_accum_offset 16
		.amdhsa_reserve_vcc 1
		.amdhsa_reserve_flat_scratch 0
		.amdhsa_float_round_mode_32 0
		.amdhsa_float_round_mode_16_64 0
		.amdhsa_float_denorm_mode_32 3
		.amdhsa_float_denorm_mode_16_64 3
		.amdhsa_dx10_clamp 1
		.amdhsa_ieee_mode 1
		.amdhsa_fp16_overflow 0
		.amdhsa_tg_split 0
		.amdhsa_exception_fp_ieee_invalid_op 0
		.amdhsa_exception_fp_denorm_src 0
		.amdhsa_exception_fp_ieee_div_zero 0
		.amdhsa_exception_fp_ieee_overflow 0
		.amdhsa_exception_fp_ieee_underflow 0
		.amdhsa_exception_fp_ieee_inexact 0
		.amdhsa_exception_int_div_zero 0
	.end_amdhsa_kernel
	.section	.text._ZN9rocsparseL37gebsr2csr_block_per_row_33_128_kernelILi1024ELi32ELi64ELi32ELi32E21rocsparse_complex_numIdEEEv20rocsparse_direction_ii21rocsparse_index_base_PKT4_PKiS9_iiS4_PS5_PiSB_,"axG",@progbits,_ZN9rocsparseL37gebsr2csr_block_per_row_33_128_kernelILi1024ELi32ELi64ELi32ELi32E21rocsparse_complex_numIdEEEv20rocsparse_direction_ii21rocsparse_index_base_PKT4_PKiS9_iiS4_PS5_PiSB_,comdat
.Lfunc_end180:
	.size	_ZN9rocsparseL37gebsr2csr_block_per_row_33_128_kernelILi1024ELi32ELi64ELi32ELi32E21rocsparse_complex_numIdEEEv20rocsparse_direction_ii21rocsparse_index_base_PKT4_PKiS9_iiS4_PS5_PiSB_, .Lfunc_end180-_ZN9rocsparseL37gebsr2csr_block_per_row_33_128_kernelILi1024ELi32ELi64ELi32ELi32E21rocsparse_complex_numIdEEEv20rocsparse_direction_ii21rocsparse_index_base_PKT4_PKiS9_iiS4_PS5_PiSB_
                                        ; -- End function
	.section	.AMDGPU.csdata,"",@progbits
; Kernel info:
; codeLenInByte = 752
; NumSgprs: 29
; NumVgprs: 16
; NumAgprs: 0
; TotalNumVgprs: 16
; ScratchSize: 0
; MemoryBound: 0
; FloatMode: 240
; IeeeMode: 1
; LDSByteSize: 0 bytes/workgroup (compile time only)
; SGPRBlocks: 3
; VGPRBlocks: 1
; NumSGPRsForWavesPerEU: 29
; NumVGPRsForWavesPerEU: 16
; AccumOffset: 16
; Occupancy: 8
; WaveLimiterHint : 0
; COMPUTE_PGM_RSRC2:SCRATCH_EN: 0
; COMPUTE_PGM_RSRC2:USER_SGPR: 6
; COMPUTE_PGM_RSRC2:TRAP_HANDLER: 0
; COMPUTE_PGM_RSRC2:TGID_X_EN: 1
; COMPUTE_PGM_RSRC2:TGID_Y_EN: 0
; COMPUTE_PGM_RSRC2:TGID_Z_EN: 0
; COMPUTE_PGM_RSRC2:TIDIG_COMP_CNT: 0
; COMPUTE_PGM_RSRC3_GFX90A:ACCUM_OFFSET: 3
; COMPUTE_PGM_RSRC3_GFX90A:TG_SPLIT: 0
	.section	.text._ZN9rocsparseL37gebsr2csr_block_per_row_33_128_kernelILi1024ELi32ELi128ELi32ELi32E21rocsparse_complex_numIdEEEv20rocsparse_direction_ii21rocsparse_index_base_PKT4_PKiS9_iiS4_PS5_PiSB_,"axG",@progbits,_ZN9rocsparseL37gebsr2csr_block_per_row_33_128_kernelILi1024ELi32ELi128ELi32ELi32E21rocsparse_complex_numIdEEEv20rocsparse_direction_ii21rocsparse_index_base_PKT4_PKiS9_iiS4_PS5_PiSB_,comdat
	.globl	_ZN9rocsparseL37gebsr2csr_block_per_row_33_128_kernelILi1024ELi32ELi128ELi32ELi32E21rocsparse_complex_numIdEEEv20rocsparse_direction_ii21rocsparse_index_base_PKT4_PKiS9_iiS4_PS5_PiSB_ ; -- Begin function _ZN9rocsparseL37gebsr2csr_block_per_row_33_128_kernelILi1024ELi32ELi128ELi32ELi32E21rocsparse_complex_numIdEEEv20rocsparse_direction_ii21rocsparse_index_base_PKT4_PKiS9_iiS4_PS5_PiSB_
	.p2align	8
	.type	_ZN9rocsparseL37gebsr2csr_block_per_row_33_128_kernelILi1024ELi32ELi128ELi32ELi32E21rocsparse_complex_numIdEEEv20rocsparse_direction_ii21rocsparse_index_base_PKT4_PKiS9_iiS4_PS5_PiSB_,@function
_ZN9rocsparseL37gebsr2csr_block_per_row_33_128_kernelILi1024ELi32ELi128ELi32ELi32E21rocsparse_complex_numIdEEEv20rocsparse_direction_ii21rocsparse_index_base_PKT4_PKiS9_iiS4_PS5_PiSB_: ; @_ZN9rocsparseL37gebsr2csr_block_per_row_33_128_kernelILi1024ELi32ELi128ELi32ELi32E21rocsparse_complex_numIdEEEv20rocsparse_direction_ii21rocsparse_index_base_PKT4_PKiS9_iiS4_PS5_PiSB_
; %bb.0:
	s_load_dwordx2 s[0:1], s[4:5], 0x18
	s_load_dwordx4 s[8:11], s[4:5], 0x28
	s_load_dwordx2 s[2:3], s[4:5], 0x40
	s_ashr_i32 s7, s6, 31
	s_lshl_b64 s[12:13], s[6:7], 2
	s_waitcnt lgkmcnt(0)
	s_add_u32 s0, s0, s12
	s_addc_u32 s1, s1, s13
	s_load_dwordx2 s[14:15], s[0:1], 0x0
	v_or_b32_e32 v1, s6, v0
	v_cmp_eq_u32_e32 vcc, 0, v1
	s_and_saveexec_b64 s[0:1], vcc
	s_cbranch_execz .LBB181_2
; %bb.1:
	v_mov_b32_e32 v1, 0
	v_mov_b32_e32 v2, s10
	global_store_dword v1, v2, s[2:3]
.LBB181_2:
	s_or_b64 exec, exec, s[0:1]
	s_load_dword s11, s[4:5], 0xc
	v_lshrrev_b32_e32 v1, 5, v0
	v_cmp_gt_i32_e64 s[0:1], s8, v1
	s_mul_i32 s27, s9, s8
	s_waitcnt lgkmcnt(0)
	s_sub_i32 s12, s14, s11
	s_sub_i32 s26, s15, s11
	s_and_saveexec_b64 s[16:17], s[0:1]
	s_cbranch_execz .LBB181_4
; %bb.3:
	s_mul_i32 s7, s27, s12
	s_sub_i32 s13, s26, s12
	s_mul_i32 s13, s13, s9
	s_add_i32 s7, s7, s10
	v_mul_lo_u32 v2, s13, v1
	s_add_i32 s7, s7, s13
	s_mul_i32 s6, s6, s8
	v_add_u32_e32 v4, s7, v2
	v_add_u32_e32 v2, s6, v1
	v_ashrrev_i32_e32 v3, 31, v2
	v_lshlrev_b64 v[2:3], 2, v[2:3]
	v_mov_b32_e32 v5, s3
	v_add_co_u32_e32 v2, vcc, s2, v2
	v_addc_co_u32_e32 v3, vcc, v5, v3, vcc
	global_store_dword v[2:3], v4, off offset:4
.LBB181_4:
	s_or_b64 exec, exec, s[16:17]
	s_cmp_ge_i32 s14, s15
	s_cbranch_scc1 .LBB181_15
; %bb.5:
	s_load_dwordx2 s[22:23], s[4:5], 0x20
	s_load_dwordx2 s[6:7], s[4:5], 0x38
	;; [unrolled: 1-line block ×3, first 2 shown]
	s_load_dword s2, s[4:5], 0x0
	s_load_dwordx2 s[16:17], s[4:5], 0x48
	v_and_b32_e32 v0, 31, v0
	s_sub_i32 s3, s26, s12
	v_mul_lo_u32 v10, s3, v1
	s_waitcnt lgkmcnt(0)
	s_cmp_eq_u32 s2, 0
	v_cmp_gt_i32_e64 s[2:3], s9, v0
	v_or_b32_e32 v2, 32, v0
	s_cselect_b64 vcc, -1, 0
	s_and_b64 s[4:5], s[0:1], s[2:3]
	v_cmp_gt_i32_e64 s[2:3], s9, v2
	v_or_b32_e32 v3, 64, v0
	s_and_b64 s[18:19], s[0:1], s[2:3]
	v_cmp_gt_i32_e64 s[2:3], s9, v3
	v_or_b32_e32 v4, 0x60, v0
	s_and_b64 s[20:21], s[0:1], s[2:3]
	v_cmp_gt_i32_e64 s[2:3], s9, v4
	s_and_b64 s[2:3], s[0:1], s[2:3]
	s_mul_i32 s0, s8, s12
	s_mul_i32 s1, s9, s12
	s_ashr_i32 s13, s12, 31
	v_add_u32_e32 v5, s0, v1
	v_add_u32_e32 v9, s1, v0
	;; [unrolled: 1-line block ×3, first 2 shown]
	s_lshl_b64 s[0:1], s[12:13], 2
	v_add_u32_e32 v6, 0x60, v9
	v_add_u32_e32 v7, 64, v9
	;; [unrolled: 1-line block ×3, first 2 shown]
	s_add_u32 s22, s22, s0
	s_movk_i32 s28, 0x60
	v_mul_lo_u32 v5, s9, v5
	v_mul_lo_u32 v6, s8, v6
	;; [unrolled: 1-line block ×6, first 2 shown]
	s_addc_u32 s23, s23, s1
	s_branch .LBB181_7
.LBB181_6:                              ;   in Loop: Header=BB181_7 Depth=1
	s_or_b64 exec, exec, s[24:25]
	s_add_i32 s12, s12, 1
	s_add_u32 s22, s22, 4
	s_addc_u32 s23, s23, 0
	v_add_u32_e32 v5, s27, v5
	v_add_u32_e32 v1, s27, v1
	s_cmp_ge_i32 s12, s26
	v_add_u32_e32 v10, s9, v10
	s_cbranch_scc1 .LBB181_15
.LBB181_7:                              ; =>This Inner Loop Header: Depth=1
	s_load_dword s0, s[22:23], 0x0
	s_waitcnt lgkmcnt(0)
	s_sub_i32 s0, s0, s11
	s_mul_i32 s8, s0, s9
	s_add_i32 s8, s8, s10
	s_and_saveexec_b64 s[24:25], s[4:5]
	s_cbranch_execnz .LBB181_11
; %bb.8:                                ;   in Loop: Header=BB181_7 Depth=1
	s_or_b64 exec, exec, s[24:25]
	s_and_saveexec_b64 s[24:25], s[18:19]
	s_cbranch_execnz .LBB181_12
.LBB181_9:                              ;   in Loop: Header=BB181_7 Depth=1
	s_or_b64 exec, exec, s[24:25]
	s_and_saveexec_b64 s[24:25], s[20:21]
	s_cbranch_execnz .LBB181_13
.LBB181_10:                             ;   in Loop: Header=BB181_7 Depth=1
	s_or_b64 exec, exec, s[24:25]
	s_and_saveexec_b64 s[24:25], s[2:3]
	s_cbranch_execz .LBB181_6
	s_branch .LBB181_14
.LBB181_11:                             ;   in Loop: Header=BB181_7 Depth=1
	v_add_u32_e32 v11, v0, v5
	v_add_u32_e32 v12, v9, v1
	v_cndmask_b32_e32 v12, v12, v11, vcc
	v_ashrrev_i32_e32 v13, 31, v12
	v_lshlrev_b64 v[12:13], 4, v[12:13]
	v_mov_b32_e32 v11, s15
	v_add_co_u32_e64 v12, s[0:1], s14, v12
	v_addc_co_u32_e64 v13, s[0:1], v11, v13, s[0:1]
	global_load_dwordx4 v[12:15], v[12:13], off
	v_add_u32_e32 v16, v0, v10
	v_ashrrev_i32_e32 v17, 31, v16
	v_lshlrev_b64 v[18:19], 2, v[16:17]
	v_mov_b32_e32 v20, s17
	v_add_co_u32_e64 v18, s[0:1], s16, v18
	v_add_u32_e32 v11, s8, v0
	v_addc_co_u32_e64 v19, s[0:1], v20, v19, s[0:1]
	v_lshlrev_b64 v[16:17], 4, v[16:17]
	global_store_dword v[18:19], v11, off
	v_mov_b32_e32 v11, s7
	v_add_co_u32_e64 v16, s[0:1], s6, v16
	v_addc_co_u32_e64 v17, s[0:1], v11, v17, s[0:1]
	s_waitcnt vmcnt(1)
	global_store_dwordx4 v[16:17], v[12:15], off
	s_or_b64 exec, exec, s[24:25]
	s_and_saveexec_b64 s[24:25], s[18:19]
	s_cbranch_execz .LBB181_9
.LBB181_12:                             ;   in Loop: Header=BB181_7 Depth=1
	v_add3_u32 v11, v0, v5, 32
	v_add_u32_e32 v12, v8, v1
	v_cndmask_b32_e32 v12, v12, v11, vcc
	v_ashrrev_i32_e32 v13, 31, v12
	v_lshlrev_b64 v[12:13], 4, v[12:13]
	v_mov_b32_e32 v11, s15
	v_add_co_u32_e64 v12, s[0:1], s14, v12
	v_addc_co_u32_e64 v13, s[0:1], v11, v13, s[0:1]
	global_load_dwordx4 v[12:15], v[12:13], off
	v_add3_u32 v16, v0, v10, 32
	v_ashrrev_i32_e32 v17, 31, v16
	v_lshlrev_b64 v[18:19], 2, v[16:17]
	v_mov_b32_e32 v20, s17
	v_add_co_u32_e64 v18, s[0:1], s16, v18
	v_add_u32_e32 v11, s8, v2
	v_addc_co_u32_e64 v19, s[0:1], v20, v19, s[0:1]
	v_lshlrev_b64 v[16:17], 4, v[16:17]
	global_store_dword v[18:19], v11, off
	v_mov_b32_e32 v11, s7
	v_add_co_u32_e64 v16, s[0:1], s6, v16
	v_addc_co_u32_e64 v17, s[0:1], v11, v17, s[0:1]
	s_waitcnt vmcnt(1)
	global_store_dwordx4 v[16:17], v[12:15], off
	s_or_b64 exec, exec, s[24:25]
	s_and_saveexec_b64 s[24:25], s[20:21]
	s_cbranch_execz .LBB181_10
.LBB181_13:                             ;   in Loop: Header=BB181_7 Depth=1
	v_add3_u32 v11, v0, v5, 64
	v_add_u32_e32 v12, v7, v1
	v_cndmask_b32_e32 v12, v12, v11, vcc
	v_ashrrev_i32_e32 v13, 31, v12
	v_lshlrev_b64 v[12:13], 4, v[12:13]
	v_mov_b32_e32 v11, s15
	v_add_co_u32_e64 v12, s[0:1], s14, v12
	v_addc_co_u32_e64 v13, s[0:1], v11, v13, s[0:1]
	global_load_dwordx4 v[12:15], v[12:13], off
	v_add3_u32 v16, v0, v10, 64
	v_ashrrev_i32_e32 v17, 31, v16
	v_lshlrev_b64 v[18:19], 2, v[16:17]
	v_mov_b32_e32 v20, s17
	v_add_co_u32_e64 v18, s[0:1], s16, v18
	v_add_u32_e32 v11, s8, v3
	v_addc_co_u32_e64 v19, s[0:1], v20, v19, s[0:1]
	v_lshlrev_b64 v[16:17], 4, v[16:17]
	global_store_dword v[18:19], v11, off
	v_mov_b32_e32 v11, s7
	v_add_co_u32_e64 v16, s[0:1], s6, v16
	v_addc_co_u32_e64 v17, s[0:1], v11, v17, s[0:1]
	s_waitcnt vmcnt(1)
	global_store_dwordx4 v[16:17], v[12:15], off
	s_or_b64 exec, exec, s[24:25]
	s_and_saveexec_b64 s[24:25], s[2:3]
	s_cbranch_execz .LBB181_6
.LBB181_14:                             ;   in Loop: Header=BB181_7 Depth=1
	v_add3_u32 v11, v0, v5, s28
	v_add_u32_e32 v12, v6, v1
	v_cndmask_b32_e32 v12, v12, v11, vcc
	v_ashrrev_i32_e32 v13, 31, v12
	v_lshlrev_b64 v[12:13], 4, v[12:13]
	v_mov_b32_e32 v11, s15
	v_add_co_u32_e64 v12, s[0:1], s14, v12
	v_addc_co_u32_e64 v13, s[0:1], v11, v13, s[0:1]
	global_load_dwordx4 v[12:15], v[12:13], off
	v_add3_u32 v16, v0, v10, s28
	v_ashrrev_i32_e32 v17, 31, v16
	v_lshlrev_b64 v[18:19], 2, v[16:17]
	v_mov_b32_e32 v20, s17
	v_add_co_u32_e64 v18, s[0:1], s16, v18
	v_add_u32_e32 v11, s8, v4
	v_addc_co_u32_e64 v19, s[0:1], v20, v19, s[0:1]
	v_lshlrev_b64 v[16:17], 4, v[16:17]
	global_store_dword v[18:19], v11, off
	v_mov_b32_e32 v11, s7
	v_add_co_u32_e64 v16, s[0:1], s6, v16
	v_addc_co_u32_e64 v17, s[0:1], v11, v17, s[0:1]
	s_waitcnt vmcnt(1)
	global_store_dwordx4 v[16:17], v[12:15], off
	s_branch .LBB181_6
.LBB181_15:
	s_endpgm
	.section	.rodata,"a",@progbits
	.p2align	6, 0x0
	.amdhsa_kernel _ZN9rocsparseL37gebsr2csr_block_per_row_33_128_kernelILi1024ELi32ELi128ELi32ELi32E21rocsparse_complex_numIdEEEv20rocsparse_direction_ii21rocsparse_index_base_PKT4_PKiS9_iiS4_PS5_PiSB_
		.amdhsa_group_segment_fixed_size 0
		.amdhsa_private_segment_fixed_size 0
		.amdhsa_kernarg_size 80
		.amdhsa_user_sgpr_count 6
		.amdhsa_user_sgpr_private_segment_buffer 1
		.amdhsa_user_sgpr_dispatch_ptr 0
		.amdhsa_user_sgpr_queue_ptr 0
		.amdhsa_user_sgpr_kernarg_segment_ptr 1
		.amdhsa_user_sgpr_dispatch_id 0
		.amdhsa_user_sgpr_flat_scratch_init 0
		.amdhsa_user_sgpr_kernarg_preload_length 0
		.amdhsa_user_sgpr_kernarg_preload_offset 0
		.amdhsa_user_sgpr_private_segment_size 0
		.amdhsa_uses_dynamic_stack 0
		.amdhsa_system_sgpr_private_segment_wavefront_offset 0
		.amdhsa_system_sgpr_workgroup_id_x 1
		.amdhsa_system_sgpr_workgroup_id_y 0
		.amdhsa_system_sgpr_workgroup_id_z 0
		.amdhsa_system_sgpr_workgroup_info 0
		.amdhsa_system_vgpr_workitem_id 0
		.amdhsa_next_free_vgpr 21
		.amdhsa_next_free_sgpr 29
		.amdhsa_accum_offset 24
		.amdhsa_reserve_vcc 1
		.amdhsa_reserve_flat_scratch 0
		.amdhsa_float_round_mode_32 0
		.amdhsa_float_round_mode_16_64 0
		.amdhsa_float_denorm_mode_32 3
		.amdhsa_float_denorm_mode_16_64 3
		.amdhsa_dx10_clamp 1
		.amdhsa_ieee_mode 1
		.amdhsa_fp16_overflow 0
		.amdhsa_tg_split 0
		.amdhsa_exception_fp_ieee_invalid_op 0
		.amdhsa_exception_fp_denorm_src 0
		.amdhsa_exception_fp_ieee_div_zero 0
		.amdhsa_exception_fp_ieee_overflow 0
		.amdhsa_exception_fp_ieee_underflow 0
		.amdhsa_exception_fp_ieee_inexact 0
		.amdhsa_exception_int_div_zero 0
	.end_amdhsa_kernel
	.section	.text._ZN9rocsparseL37gebsr2csr_block_per_row_33_128_kernelILi1024ELi32ELi128ELi32ELi32E21rocsparse_complex_numIdEEEv20rocsparse_direction_ii21rocsparse_index_base_PKT4_PKiS9_iiS4_PS5_PiSB_,"axG",@progbits,_ZN9rocsparseL37gebsr2csr_block_per_row_33_128_kernelILi1024ELi32ELi128ELi32ELi32E21rocsparse_complex_numIdEEEv20rocsparse_direction_ii21rocsparse_index_base_PKT4_PKiS9_iiS4_PS5_PiSB_,comdat
.Lfunc_end181:
	.size	_ZN9rocsparseL37gebsr2csr_block_per_row_33_128_kernelILi1024ELi32ELi128ELi32ELi32E21rocsparse_complex_numIdEEEv20rocsparse_direction_ii21rocsparse_index_base_PKT4_PKiS9_iiS4_PS5_PiSB_, .Lfunc_end181-_ZN9rocsparseL37gebsr2csr_block_per_row_33_128_kernelILi1024ELi32ELi128ELi32ELi32E21rocsparse_complex_numIdEEEv20rocsparse_direction_ii21rocsparse_index_base_PKT4_PKiS9_iiS4_PS5_PiSB_
                                        ; -- End function
	.section	.AMDGPU.csdata,"",@progbits
; Kernel info:
; codeLenInByte = 1192
; NumSgprs: 33
; NumVgprs: 21
; NumAgprs: 0
; TotalNumVgprs: 21
; ScratchSize: 0
; MemoryBound: 0
; FloatMode: 240
; IeeeMode: 1
; LDSByteSize: 0 bytes/workgroup (compile time only)
; SGPRBlocks: 4
; VGPRBlocks: 2
; NumSGPRsForWavesPerEU: 33
; NumVGPRsForWavesPerEU: 21
; AccumOffset: 24
; Occupancy: 8
; WaveLimiterHint : 0
; COMPUTE_PGM_RSRC2:SCRATCH_EN: 0
; COMPUTE_PGM_RSRC2:USER_SGPR: 6
; COMPUTE_PGM_RSRC2:TRAP_HANDLER: 0
; COMPUTE_PGM_RSRC2:TGID_X_EN: 1
; COMPUTE_PGM_RSRC2:TGID_Y_EN: 0
; COMPUTE_PGM_RSRC2:TGID_Z_EN: 0
; COMPUTE_PGM_RSRC2:TIDIG_COMP_CNT: 0
; COMPUTE_PGM_RSRC3_GFX90A:ACCUM_OFFSET: 5
; COMPUTE_PGM_RSRC3_GFX90A:TG_SPLIT: 0
	.section	.text._ZN9rocsparseL37gebsr2csr_block_per_row_33_128_kernelILi1024ELi64ELi2ELi32ELi2E21rocsparse_complex_numIdEEEv20rocsparse_direction_ii21rocsparse_index_base_PKT4_PKiS9_iiS4_PS5_PiSB_,"axG",@progbits,_ZN9rocsparseL37gebsr2csr_block_per_row_33_128_kernelILi1024ELi64ELi2ELi32ELi2E21rocsparse_complex_numIdEEEv20rocsparse_direction_ii21rocsparse_index_base_PKT4_PKiS9_iiS4_PS5_PiSB_,comdat
	.globl	_ZN9rocsparseL37gebsr2csr_block_per_row_33_128_kernelILi1024ELi64ELi2ELi32ELi2E21rocsparse_complex_numIdEEEv20rocsparse_direction_ii21rocsparse_index_base_PKT4_PKiS9_iiS4_PS5_PiSB_ ; -- Begin function _ZN9rocsparseL37gebsr2csr_block_per_row_33_128_kernelILi1024ELi64ELi2ELi32ELi2E21rocsparse_complex_numIdEEEv20rocsparse_direction_ii21rocsparse_index_base_PKT4_PKiS9_iiS4_PS5_PiSB_
	.p2align	8
	.type	_ZN9rocsparseL37gebsr2csr_block_per_row_33_128_kernelILi1024ELi64ELi2ELi32ELi2E21rocsparse_complex_numIdEEEv20rocsparse_direction_ii21rocsparse_index_base_PKT4_PKiS9_iiS4_PS5_PiSB_,@function
_ZN9rocsparseL37gebsr2csr_block_per_row_33_128_kernelILi1024ELi64ELi2ELi32ELi2E21rocsparse_complex_numIdEEEv20rocsparse_direction_ii21rocsparse_index_base_PKT4_PKiS9_iiS4_PS5_PiSB_: ; @_ZN9rocsparseL37gebsr2csr_block_per_row_33_128_kernelILi1024ELi64ELi2ELi32ELi2E21rocsparse_complex_numIdEEEv20rocsparse_direction_ii21rocsparse_index_base_PKT4_PKiS9_iiS4_PS5_PiSB_
; %bb.0:
	s_load_dwordx2 s[0:1], s[4:5], 0x18
	s_load_dwordx4 s[8:11], s[4:5], 0x28
	s_load_dwordx2 s[14:15], s[4:5], 0x40
	s_ashr_i32 s7, s6, 31
	s_lshl_b64 s[2:3], s[6:7], 2
	s_waitcnt lgkmcnt(0)
	s_add_u32 s0, s0, s2
	s_addc_u32 s1, s1, s3
	s_load_dwordx2 s[18:19], s[0:1], 0x0
	v_or_b32_e32 v1, s6, v0
	v_cmp_eq_u32_e32 vcc, 0, v1
	s_and_saveexec_b64 s[0:1], vcc
	s_cbranch_execz .LBB182_2
; %bb.1:
	v_mov_b32_e32 v1, 0
	v_mov_b32_e32 v2, s10
	global_store_dword v1, v2, s[14:15]
.LBB182_2:
	s_or_b64 exec, exec, s[0:1]
	s_load_dword s20, s[4:5], 0xc
	v_lshrrev_b32_e32 v4, 1, v0
	s_mul_i32 s16, s6, s8
	s_waitcnt lgkmcnt(0)
	s_sub_i32 s12, s18, s20
	s_sub_i32 s21, s19, s20
	s_mul_i32 s11, s12, s9
	s_sub_i32 s13, s21, s12
	s_mul_i32 s0, s11, s8
	s_mul_i32 s17, s13, s9
	s_add_i32 s22, s0, s10
	s_add_i32 s22, s22, s17
	v_cmp_gt_i32_e64 s[0:1], s8, v4
	s_and_saveexec_b64 s[2:3], s[0:1]
	s_cbranch_execz .LBB182_4
; %bb.3:
	v_add_u32_e32 v2, s16, v4
	v_ashrrev_i32_e32 v3, 31, v2
	v_lshlrev_b64 v[2:3], 2, v[2:3]
	v_mul_lo_u32 v1, v4, s17
	v_mov_b32_e32 v5, s15
	v_add_co_u32_e32 v2, vcc, s14, v2
	v_add_u32_e32 v1, s22, v1
	v_addc_co_u32_e32 v3, vcc, v5, v3, vcc
	global_store_dword v[2:3], v1, off offset:4
.LBB182_4:
	s_or_b64 exec, exec, s[2:3]
	v_add_u32_e32 v1, 32, v4
	v_cmp_gt_i32_e64 s[2:3], s8, v1
	s_and_saveexec_b64 s[6:7], s[2:3]
	s_cbranch_execz .LBB182_6
; %bb.5:
	s_add_u32 s14, s14, 4
	s_addc_u32 s15, s15, 0
	v_mul_lo_u32 v1, v1, s17
	s_ashr_i32 s17, s16, 31
	v_mov_b32_e32 v3, s17
	v_add_co_u32_e32 v2, vcc, s16, v4
	v_addc_co_u32_e32 v3, vcc, 0, v3, vcc
	v_lshlrev_b64 v[2:3], 2, v[2:3]
	v_mov_b32_e32 v5, s15
	v_add_co_u32_e32 v2, vcc, s14, v2
	v_add_u32_e32 v1, s22, v1
	v_addc_co_u32_e32 v3, vcc, v5, v3, vcc
	global_store_dword v[2:3], v1, off offset:128
.LBB182_6:
	s_or_b64 exec, exec, s[6:7]
	s_cmp_lt_i32 s18, s19
	s_cbranch_scc0 .LBB182_13
; %bb.7:
	s_load_dwordx2 s[24:25], s[4:5], 0x20
	s_load_dwordx2 s[6:7], s[4:5], 0x38
	;; [unrolled: 1-line block ×4, first 2 shown]
	s_load_dword s26, s[4:5], 0x0
	v_and_b32_e32 v0, 1, v0
	s_mul_i32 s28, s8, s12
	v_add_u32_e32 v5, s28, v4
	v_add_u32_e32 v2, s11, v0
	;; [unrolled: 1-line block ×3, first 2 shown]
	v_mad_u64_u32 v[2:3], s[10:11], s8, v2, v[4:5]
	v_cmp_gt_i32_e64 s[4:5], s9, v0
	s_waitcnt lgkmcnt(0)
	s_cmp_eq_u32 s26, 0
	v_mul_lo_u32 v3, v4, s13
	v_add_u32_e32 v4, 32, v5
	v_mad_u64_u32 v[6:7], s[26:27], s9, v5, v[0:1]
	s_cselect_b64 vcc, -1, 0
	s_and_b64 s[10:11], s[4:5], s[0:1]
	v_mad_u64_u32 v[4:5], s[0:1], s9, v4, v[0:1]
	v_add_u32_e32 v5, s28, v3
	v_lshl_add_u32 v3, s19, 5, v5
	s_lshl_b32 s0, s18, 5
	s_ashr_i32 s13, s12, 31
	s_and_b64 s[2:3], s[4:5], s[2:3]
	v_subrev_u32_e32 v3, s0, v3
	s_lshl_b64 s[0:1], s[12:13], 2
	s_add_u32 s4, s24, s0
	s_mul_i32 s22, s9, s8
	s_mov_b32 s23, 0
	v_mul_lo_u32 v3, s9, v3
	v_mul_lo_u32 v5, s9, v5
	s_addc_u32 s5, s25, s1
	v_cndmask_b32_e32 v6, v2, v6, vcc
	s_branch .LBB182_9
.LBB182_8:                              ;   in Loop: Header=BB182_9 Depth=1
	s_or_b64 exec, exec, s[18:19]
	s_add_i32 s12, s12, 1
	s_add_i32 s23, s23, s22
	s_add_u32 s4, s4, 4
	s_addc_u32 s5, s5, 0
	s_cmp_ge_i32 s12, s21
	v_add_u32_e32 v0, s9, v0
	s_cbranch_scc1 .LBB182_13
.LBB182_9:                              ; =>This Inner Loop Header: Depth=1
	s_load_dword s0, s[4:5], 0x0
	s_waitcnt lgkmcnt(0)
	s_sub_i32 s0, s0, s20
	s_mul_i32 s0, s0, s9
	v_add_u32_e32 v7, s0, v1
	s_and_saveexec_b64 s[18:19], s[10:11]
	s_cbranch_execz .LBB182_11
; %bb.10:                               ;   in Loop: Header=BB182_9 Depth=1
	v_add_u32_e32 v8, s23, v6
	v_ashrrev_i32_e32 v9, 31, v8
	v_lshlrev_b64 v[8:9], 4, v[8:9]
	v_mov_b32_e32 v10, s17
	v_add_co_u32_e64 v8, s[0:1], s16, v8
	v_addc_co_u32_e64 v9, s[0:1], v10, v9, s[0:1]
	global_load_dwordx4 v[8:11], v[8:9], off
	v_add_u32_e32 v12, v5, v0
	v_ashrrev_i32_e32 v13, 31, v12
	v_lshlrev_b64 v[14:15], 2, v[12:13]
	v_mov_b32_e32 v16, s15
	v_add_co_u32_e64 v14, s[0:1], s14, v14
	v_addc_co_u32_e64 v15, s[0:1], v16, v15, s[0:1]
	v_lshlrev_b64 v[12:13], 4, v[12:13]
	global_store_dword v[14:15], v7, off
	v_mov_b32_e32 v14, s7
	v_add_co_u32_e64 v12, s[0:1], s6, v12
	v_addc_co_u32_e64 v13, s[0:1], v14, v13, s[0:1]
	s_waitcnt vmcnt(1)
	global_store_dwordx4 v[12:13], v[8:11], off
.LBB182_11:                             ;   in Loop: Header=BB182_9 Depth=1
	s_or_b64 exec, exec, s[18:19]
	s_and_saveexec_b64 s[18:19], s[2:3]
	s_cbranch_execz .LBB182_8
; %bb.12:                               ;   in Loop: Header=BB182_9 Depth=1
	v_add_u32_e32 v8, s23, v4
	v_add3_u32 v9, v2, s23, 32
	v_cndmask_b32_e32 v8, v9, v8, vcc
	v_ashrrev_i32_e32 v9, 31, v8
	v_lshlrev_b64 v[8:9], 4, v[8:9]
	v_mov_b32_e32 v10, s17
	v_add_co_u32_e64 v8, s[0:1], s16, v8
	v_addc_co_u32_e64 v9, s[0:1], v10, v9, s[0:1]
	global_load_dwordx4 v[8:11], v[8:9], off
	v_add_u32_e32 v12, v3, v0
	v_ashrrev_i32_e32 v13, 31, v12
	v_lshlrev_b64 v[14:15], 2, v[12:13]
	v_mov_b32_e32 v16, s15
	v_add_co_u32_e64 v14, s[0:1], s14, v14
	v_addc_co_u32_e64 v15, s[0:1], v16, v15, s[0:1]
	v_lshlrev_b64 v[12:13], 4, v[12:13]
	global_store_dword v[14:15], v7, off
	v_mov_b32_e32 v7, s7
	v_add_co_u32_e64 v12, s[0:1], s6, v12
	v_addc_co_u32_e64 v13, s[0:1], v7, v13, s[0:1]
	s_waitcnt vmcnt(1)
	global_store_dwordx4 v[12:13], v[8:11], off
	s_branch .LBB182_8
.LBB182_13:
	s_endpgm
	.section	.rodata,"a",@progbits
	.p2align	6, 0x0
	.amdhsa_kernel _ZN9rocsparseL37gebsr2csr_block_per_row_33_128_kernelILi1024ELi64ELi2ELi32ELi2E21rocsparse_complex_numIdEEEv20rocsparse_direction_ii21rocsparse_index_base_PKT4_PKiS9_iiS4_PS5_PiSB_
		.amdhsa_group_segment_fixed_size 0
		.amdhsa_private_segment_fixed_size 0
		.amdhsa_kernarg_size 80
		.amdhsa_user_sgpr_count 6
		.amdhsa_user_sgpr_private_segment_buffer 1
		.amdhsa_user_sgpr_dispatch_ptr 0
		.amdhsa_user_sgpr_queue_ptr 0
		.amdhsa_user_sgpr_kernarg_segment_ptr 1
		.amdhsa_user_sgpr_dispatch_id 0
		.amdhsa_user_sgpr_flat_scratch_init 0
		.amdhsa_user_sgpr_kernarg_preload_length 0
		.amdhsa_user_sgpr_kernarg_preload_offset 0
		.amdhsa_user_sgpr_private_segment_size 0
		.amdhsa_uses_dynamic_stack 0
		.amdhsa_system_sgpr_private_segment_wavefront_offset 0
		.amdhsa_system_sgpr_workgroup_id_x 1
		.amdhsa_system_sgpr_workgroup_id_y 0
		.amdhsa_system_sgpr_workgroup_id_z 0
		.amdhsa_system_sgpr_workgroup_info 0
		.amdhsa_system_vgpr_workitem_id 0
		.amdhsa_next_free_vgpr 17
		.amdhsa_next_free_sgpr 29
		.amdhsa_accum_offset 20
		.amdhsa_reserve_vcc 1
		.amdhsa_reserve_flat_scratch 0
		.amdhsa_float_round_mode_32 0
		.amdhsa_float_round_mode_16_64 0
		.amdhsa_float_denorm_mode_32 3
		.amdhsa_float_denorm_mode_16_64 3
		.amdhsa_dx10_clamp 1
		.amdhsa_ieee_mode 1
		.amdhsa_fp16_overflow 0
		.amdhsa_tg_split 0
		.amdhsa_exception_fp_ieee_invalid_op 0
		.amdhsa_exception_fp_denorm_src 0
		.amdhsa_exception_fp_ieee_div_zero 0
		.amdhsa_exception_fp_ieee_overflow 0
		.amdhsa_exception_fp_ieee_underflow 0
		.amdhsa_exception_fp_ieee_inexact 0
		.amdhsa_exception_int_div_zero 0
	.end_amdhsa_kernel
	.section	.text._ZN9rocsparseL37gebsr2csr_block_per_row_33_128_kernelILi1024ELi64ELi2ELi32ELi2E21rocsparse_complex_numIdEEEv20rocsparse_direction_ii21rocsparse_index_base_PKT4_PKiS9_iiS4_PS5_PiSB_,"axG",@progbits,_ZN9rocsparseL37gebsr2csr_block_per_row_33_128_kernelILi1024ELi64ELi2ELi32ELi2E21rocsparse_complex_numIdEEEv20rocsparse_direction_ii21rocsparse_index_base_PKT4_PKiS9_iiS4_PS5_PiSB_,comdat
.Lfunc_end182:
	.size	_ZN9rocsparseL37gebsr2csr_block_per_row_33_128_kernelILi1024ELi64ELi2ELi32ELi2E21rocsparse_complex_numIdEEEv20rocsparse_direction_ii21rocsparse_index_base_PKT4_PKiS9_iiS4_PS5_PiSB_, .Lfunc_end182-_ZN9rocsparseL37gebsr2csr_block_per_row_33_128_kernelILi1024ELi64ELi2ELi32ELi2E21rocsparse_complex_numIdEEEv20rocsparse_direction_ii21rocsparse_index_base_PKT4_PKiS9_iiS4_PS5_PiSB_
                                        ; -- End function
	.section	.AMDGPU.csdata,"",@progbits
; Kernel info:
; codeLenInByte = 848
; NumSgprs: 33
; NumVgprs: 17
; NumAgprs: 0
; TotalNumVgprs: 17
; ScratchSize: 0
; MemoryBound: 0
; FloatMode: 240
; IeeeMode: 1
; LDSByteSize: 0 bytes/workgroup (compile time only)
; SGPRBlocks: 4
; VGPRBlocks: 2
; NumSGPRsForWavesPerEU: 33
; NumVGPRsForWavesPerEU: 17
; AccumOffset: 20
; Occupancy: 8
; WaveLimiterHint : 1
; COMPUTE_PGM_RSRC2:SCRATCH_EN: 0
; COMPUTE_PGM_RSRC2:USER_SGPR: 6
; COMPUTE_PGM_RSRC2:TRAP_HANDLER: 0
; COMPUTE_PGM_RSRC2:TGID_X_EN: 1
; COMPUTE_PGM_RSRC2:TGID_Y_EN: 0
; COMPUTE_PGM_RSRC2:TGID_Z_EN: 0
; COMPUTE_PGM_RSRC2:TIDIG_COMP_CNT: 0
; COMPUTE_PGM_RSRC3_GFX90A:ACCUM_OFFSET: 4
; COMPUTE_PGM_RSRC3_GFX90A:TG_SPLIT: 0
	.section	.text._ZN9rocsparseL37gebsr2csr_block_per_row_33_128_kernelILi1024ELi64ELi4ELi32ELi4E21rocsparse_complex_numIdEEEv20rocsparse_direction_ii21rocsparse_index_base_PKT4_PKiS9_iiS4_PS5_PiSB_,"axG",@progbits,_ZN9rocsparseL37gebsr2csr_block_per_row_33_128_kernelILi1024ELi64ELi4ELi32ELi4E21rocsparse_complex_numIdEEEv20rocsparse_direction_ii21rocsparse_index_base_PKT4_PKiS9_iiS4_PS5_PiSB_,comdat
	.globl	_ZN9rocsparseL37gebsr2csr_block_per_row_33_128_kernelILi1024ELi64ELi4ELi32ELi4E21rocsparse_complex_numIdEEEv20rocsparse_direction_ii21rocsparse_index_base_PKT4_PKiS9_iiS4_PS5_PiSB_ ; -- Begin function _ZN9rocsparseL37gebsr2csr_block_per_row_33_128_kernelILi1024ELi64ELi4ELi32ELi4E21rocsparse_complex_numIdEEEv20rocsparse_direction_ii21rocsparse_index_base_PKT4_PKiS9_iiS4_PS5_PiSB_
	.p2align	8
	.type	_ZN9rocsparseL37gebsr2csr_block_per_row_33_128_kernelILi1024ELi64ELi4ELi32ELi4E21rocsparse_complex_numIdEEEv20rocsparse_direction_ii21rocsparse_index_base_PKT4_PKiS9_iiS4_PS5_PiSB_,@function
_ZN9rocsparseL37gebsr2csr_block_per_row_33_128_kernelILi1024ELi64ELi4ELi32ELi4E21rocsparse_complex_numIdEEEv20rocsparse_direction_ii21rocsparse_index_base_PKT4_PKiS9_iiS4_PS5_PiSB_: ; @_ZN9rocsparseL37gebsr2csr_block_per_row_33_128_kernelILi1024ELi64ELi4ELi32ELi4E21rocsparse_complex_numIdEEEv20rocsparse_direction_ii21rocsparse_index_base_PKT4_PKiS9_iiS4_PS5_PiSB_
; %bb.0:
	s_load_dwordx2 s[0:1], s[4:5], 0x18
	s_load_dwordx4 s[8:11], s[4:5], 0x28
	s_load_dwordx2 s[14:15], s[4:5], 0x40
	s_ashr_i32 s7, s6, 31
	s_lshl_b64 s[2:3], s[6:7], 2
	s_waitcnt lgkmcnt(0)
	s_add_u32 s0, s0, s2
	s_addc_u32 s1, s1, s3
	s_load_dwordx2 s[18:19], s[0:1], 0x0
	v_or_b32_e32 v1, s6, v0
	v_cmp_eq_u32_e32 vcc, 0, v1
	s_and_saveexec_b64 s[0:1], vcc
	s_cbranch_execz .LBB183_2
; %bb.1:
	v_mov_b32_e32 v1, 0
	v_mov_b32_e32 v2, s10
	global_store_dword v1, v2, s[14:15]
.LBB183_2:
	s_or_b64 exec, exec, s[0:1]
	s_load_dword s20, s[4:5], 0xc
	v_lshrrev_b32_e32 v4, 2, v0
	s_mul_i32 s16, s6, s8
	s_waitcnt lgkmcnt(0)
	s_sub_i32 s12, s18, s20
	s_sub_i32 s21, s19, s20
	s_mul_i32 s11, s12, s9
	s_sub_i32 s13, s21, s12
	s_mul_i32 s0, s11, s8
	s_mul_i32 s17, s13, s9
	s_add_i32 s22, s0, s10
	s_add_i32 s22, s22, s17
	v_cmp_gt_i32_e64 s[0:1], s8, v4
	s_and_saveexec_b64 s[2:3], s[0:1]
	s_cbranch_execz .LBB183_4
; %bb.3:
	v_add_u32_e32 v2, s16, v4
	v_ashrrev_i32_e32 v3, 31, v2
	v_lshlrev_b64 v[2:3], 2, v[2:3]
	v_mul_lo_u32 v1, v4, s17
	v_mov_b32_e32 v5, s15
	v_add_co_u32_e32 v2, vcc, s14, v2
	v_add_u32_e32 v1, s22, v1
	v_addc_co_u32_e32 v3, vcc, v5, v3, vcc
	global_store_dword v[2:3], v1, off offset:4
.LBB183_4:
	s_or_b64 exec, exec, s[2:3]
	v_add_u32_e32 v1, 32, v4
	v_cmp_gt_i32_e64 s[2:3], s8, v1
	s_and_saveexec_b64 s[6:7], s[2:3]
	s_cbranch_execz .LBB183_6
; %bb.5:
	s_add_u32 s14, s14, 4
	s_addc_u32 s15, s15, 0
	v_mul_lo_u32 v1, v1, s17
	s_ashr_i32 s17, s16, 31
	v_mov_b32_e32 v3, s17
	v_add_co_u32_e32 v2, vcc, s16, v4
	v_addc_co_u32_e32 v3, vcc, 0, v3, vcc
	v_lshlrev_b64 v[2:3], 2, v[2:3]
	v_mov_b32_e32 v5, s15
	v_add_co_u32_e32 v2, vcc, s14, v2
	v_add_u32_e32 v1, s22, v1
	v_addc_co_u32_e32 v3, vcc, v5, v3, vcc
	global_store_dword v[2:3], v1, off offset:128
.LBB183_6:
	s_or_b64 exec, exec, s[6:7]
	s_cmp_lt_i32 s18, s19
	s_cbranch_scc0 .LBB183_13
; %bb.7:
	s_load_dwordx2 s[24:25], s[4:5], 0x20
	s_load_dwordx2 s[6:7], s[4:5], 0x38
	;; [unrolled: 1-line block ×4, first 2 shown]
	s_load_dword s26, s[4:5], 0x0
	v_and_b32_e32 v0, 3, v0
	s_mul_i32 s28, s8, s12
	v_add_u32_e32 v5, s28, v4
	v_add_u32_e32 v2, s11, v0
	;; [unrolled: 1-line block ×3, first 2 shown]
	v_mad_u64_u32 v[2:3], s[10:11], s8, v2, v[4:5]
	v_cmp_gt_i32_e64 s[4:5], s9, v0
	s_waitcnt lgkmcnt(0)
	s_cmp_eq_u32 s26, 0
	v_mul_lo_u32 v3, v4, s13
	v_add_u32_e32 v4, 32, v5
	v_mad_u64_u32 v[6:7], s[26:27], s9, v5, v[0:1]
	s_cselect_b64 vcc, -1, 0
	s_and_b64 s[10:11], s[4:5], s[0:1]
	v_mad_u64_u32 v[4:5], s[0:1], s9, v4, v[0:1]
	v_add_u32_e32 v5, s28, v3
	v_lshl_add_u32 v3, s19, 5, v5
	s_lshl_b32 s0, s18, 5
	s_ashr_i32 s13, s12, 31
	s_and_b64 s[2:3], s[4:5], s[2:3]
	v_subrev_u32_e32 v3, s0, v3
	s_lshl_b64 s[0:1], s[12:13], 2
	s_add_u32 s4, s24, s0
	s_mul_i32 s22, s9, s8
	s_mov_b32 s23, 0
	v_mul_lo_u32 v3, s9, v3
	v_mul_lo_u32 v5, s9, v5
	s_addc_u32 s5, s25, s1
	v_cndmask_b32_e32 v6, v2, v6, vcc
	s_branch .LBB183_9
.LBB183_8:                              ;   in Loop: Header=BB183_9 Depth=1
	s_or_b64 exec, exec, s[18:19]
	s_add_i32 s12, s12, 1
	s_add_i32 s23, s23, s22
	s_add_u32 s4, s4, 4
	s_addc_u32 s5, s5, 0
	s_cmp_ge_i32 s12, s21
	v_add_u32_e32 v0, s9, v0
	s_cbranch_scc1 .LBB183_13
.LBB183_9:                              ; =>This Inner Loop Header: Depth=1
	s_load_dword s0, s[4:5], 0x0
	s_waitcnt lgkmcnt(0)
	s_sub_i32 s0, s0, s20
	s_mul_i32 s0, s0, s9
	v_add_u32_e32 v7, s0, v1
	s_and_saveexec_b64 s[18:19], s[10:11]
	s_cbranch_execz .LBB183_11
; %bb.10:                               ;   in Loop: Header=BB183_9 Depth=1
	v_add_u32_e32 v8, s23, v6
	v_ashrrev_i32_e32 v9, 31, v8
	v_lshlrev_b64 v[8:9], 4, v[8:9]
	v_mov_b32_e32 v10, s17
	v_add_co_u32_e64 v8, s[0:1], s16, v8
	v_addc_co_u32_e64 v9, s[0:1], v10, v9, s[0:1]
	global_load_dwordx4 v[8:11], v[8:9], off
	v_add_u32_e32 v12, v5, v0
	v_ashrrev_i32_e32 v13, 31, v12
	v_lshlrev_b64 v[14:15], 2, v[12:13]
	v_mov_b32_e32 v16, s15
	v_add_co_u32_e64 v14, s[0:1], s14, v14
	v_addc_co_u32_e64 v15, s[0:1], v16, v15, s[0:1]
	v_lshlrev_b64 v[12:13], 4, v[12:13]
	global_store_dword v[14:15], v7, off
	v_mov_b32_e32 v14, s7
	v_add_co_u32_e64 v12, s[0:1], s6, v12
	v_addc_co_u32_e64 v13, s[0:1], v14, v13, s[0:1]
	s_waitcnt vmcnt(1)
	global_store_dwordx4 v[12:13], v[8:11], off
.LBB183_11:                             ;   in Loop: Header=BB183_9 Depth=1
	s_or_b64 exec, exec, s[18:19]
	s_and_saveexec_b64 s[18:19], s[2:3]
	s_cbranch_execz .LBB183_8
; %bb.12:                               ;   in Loop: Header=BB183_9 Depth=1
	v_add_u32_e32 v8, s23, v4
	v_add3_u32 v9, v2, s23, 32
	v_cndmask_b32_e32 v8, v9, v8, vcc
	v_ashrrev_i32_e32 v9, 31, v8
	v_lshlrev_b64 v[8:9], 4, v[8:9]
	v_mov_b32_e32 v10, s17
	v_add_co_u32_e64 v8, s[0:1], s16, v8
	v_addc_co_u32_e64 v9, s[0:1], v10, v9, s[0:1]
	global_load_dwordx4 v[8:11], v[8:9], off
	v_add_u32_e32 v12, v3, v0
	v_ashrrev_i32_e32 v13, 31, v12
	v_lshlrev_b64 v[14:15], 2, v[12:13]
	v_mov_b32_e32 v16, s15
	v_add_co_u32_e64 v14, s[0:1], s14, v14
	v_addc_co_u32_e64 v15, s[0:1], v16, v15, s[0:1]
	v_lshlrev_b64 v[12:13], 4, v[12:13]
	global_store_dword v[14:15], v7, off
	v_mov_b32_e32 v7, s7
	v_add_co_u32_e64 v12, s[0:1], s6, v12
	v_addc_co_u32_e64 v13, s[0:1], v7, v13, s[0:1]
	s_waitcnt vmcnt(1)
	global_store_dwordx4 v[12:13], v[8:11], off
	s_branch .LBB183_8
.LBB183_13:
	s_endpgm
	.section	.rodata,"a",@progbits
	.p2align	6, 0x0
	.amdhsa_kernel _ZN9rocsparseL37gebsr2csr_block_per_row_33_128_kernelILi1024ELi64ELi4ELi32ELi4E21rocsparse_complex_numIdEEEv20rocsparse_direction_ii21rocsparse_index_base_PKT4_PKiS9_iiS4_PS5_PiSB_
		.amdhsa_group_segment_fixed_size 0
		.amdhsa_private_segment_fixed_size 0
		.amdhsa_kernarg_size 80
		.amdhsa_user_sgpr_count 6
		.amdhsa_user_sgpr_private_segment_buffer 1
		.amdhsa_user_sgpr_dispatch_ptr 0
		.amdhsa_user_sgpr_queue_ptr 0
		.amdhsa_user_sgpr_kernarg_segment_ptr 1
		.amdhsa_user_sgpr_dispatch_id 0
		.amdhsa_user_sgpr_flat_scratch_init 0
		.amdhsa_user_sgpr_kernarg_preload_length 0
		.amdhsa_user_sgpr_kernarg_preload_offset 0
		.amdhsa_user_sgpr_private_segment_size 0
		.amdhsa_uses_dynamic_stack 0
		.amdhsa_system_sgpr_private_segment_wavefront_offset 0
		.amdhsa_system_sgpr_workgroup_id_x 1
		.amdhsa_system_sgpr_workgroup_id_y 0
		.amdhsa_system_sgpr_workgroup_id_z 0
		.amdhsa_system_sgpr_workgroup_info 0
		.amdhsa_system_vgpr_workitem_id 0
		.amdhsa_next_free_vgpr 17
		.amdhsa_next_free_sgpr 29
		.amdhsa_accum_offset 20
		.amdhsa_reserve_vcc 1
		.amdhsa_reserve_flat_scratch 0
		.amdhsa_float_round_mode_32 0
		.amdhsa_float_round_mode_16_64 0
		.amdhsa_float_denorm_mode_32 3
		.amdhsa_float_denorm_mode_16_64 3
		.amdhsa_dx10_clamp 1
		.amdhsa_ieee_mode 1
		.amdhsa_fp16_overflow 0
		.amdhsa_tg_split 0
		.amdhsa_exception_fp_ieee_invalid_op 0
		.amdhsa_exception_fp_denorm_src 0
		.amdhsa_exception_fp_ieee_div_zero 0
		.amdhsa_exception_fp_ieee_overflow 0
		.amdhsa_exception_fp_ieee_underflow 0
		.amdhsa_exception_fp_ieee_inexact 0
		.amdhsa_exception_int_div_zero 0
	.end_amdhsa_kernel
	.section	.text._ZN9rocsparseL37gebsr2csr_block_per_row_33_128_kernelILi1024ELi64ELi4ELi32ELi4E21rocsparse_complex_numIdEEEv20rocsparse_direction_ii21rocsparse_index_base_PKT4_PKiS9_iiS4_PS5_PiSB_,"axG",@progbits,_ZN9rocsparseL37gebsr2csr_block_per_row_33_128_kernelILi1024ELi64ELi4ELi32ELi4E21rocsparse_complex_numIdEEEv20rocsparse_direction_ii21rocsparse_index_base_PKT4_PKiS9_iiS4_PS5_PiSB_,comdat
.Lfunc_end183:
	.size	_ZN9rocsparseL37gebsr2csr_block_per_row_33_128_kernelILi1024ELi64ELi4ELi32ELi4E21rocsparse_complex_numIdEEEv20rocsparse_direction_ii21rocsparse_index_base_PKT4_PKiS9_iiS4_PS5_PiSB_, .Lfunc_end183-_ZN9rocsparseL37gebsr2csr_block_per_row_33_128_kernelILi1024ELi64ELi4ELi32ELi4E21rocsparse_complex_numIdEEEv20rocsparse_direction_ii21rocsparse_index_base_PKT4_PKiS9_iiS4_PS5_PiSB_
                                        ; -- End function
	.section	.AMDGPU.csdata,"",@progbits
; Kernel info:
; codeLenInByte = 848
; NumSgprs: 33
; NumVgprs: 17
; NumAgprs: 0
; TotalNumVgprs: 17
; ScratchSize: 0
; MemoryBound: 0
; FloatMode: 240
; IeeeMode: 1
; LDSByteSize: 0 bytes/workgroup (compile time only)
; SGPRBlocks: 4
; VGPRBlocks: 2
; NumSGPRsForWavesPerEU: 33
; NumVGPRsForWavesPerEU: 17
; AccumOffset: 20
; Occupancy: 8
; WaveLimiterHint : 1
; COMPUTE_PGM_RSRC2:SCRATCH_EN: 0
; COMPUTE_PGM_RSRC2:USER_SGPR: 6
; COMPUTE_PGM_RSRC2:TRAP_HANDLER: 0
; COMPUTE_PGM_RSRC2:TGID_X_EN: 1
; COMPUTE_PGM_RSRC2:TGID_Y_EN: 0
; COMPUTE_PGM_RSRC2:TGID_Z_EN: 0
; COMPUTE_PGM_RSRC2:TIDIG_COMP_CNT: 0
; COMPUTE_PGM_RSRC3_GFX90A:ACCUM_OFFSET: 4
; COMPUTE_PGM_RSRC3_GFX90A:TG_SPLIT: 0
	.section	.text._ZN9rocsparseL37gebsr2csr_block_per_row_33_128_kernelILi1024ELi64ELi8ELi32ELi8E21rocsparse_complex_numIdEEEv20rocsparse_direction_ii21rocsparse_index_base_PKT4_PKiS9_iiS4_PS5_PiSB_,"axG",@progbits,_ZN9rocsparseL37gebsr2csr_block_per_row_33_128_kernelILi1024ELi64ELi8ELi32ELi8E21rocsparse_complex_numIdEEEv20rocsparse_direction_ii21rocsparse_index_base_PKT4_PKiS9_iiS4_PS5_PiSB_,comdat
	.globl	_ZN9rocsparseL37gebsr2csr_block_per_row_33_128_kernelILi1024ELi64ELi8ELi32ELi8E21rocsparse_complex_numIdEEEv20rocsparse_direction_ii21rocsparse_index_base_PKT4_PKiS9_iiS4_PS5_PiSB_ ; -- Begin function _ZN9rocsparseL37gebsr2csr_block_per_row_33_128_kernelILi1024ELi64ELi8ELi32ELi8E21rocsparse_complex_numIdEEEv20rocsparse_direction_ii21rocsparse_index_base_PKT4_PKiS9_iiS4_PS5_PiSB_
	.p2align	8
	.type	_ZN9rocsparseL37gebsr2csr_block_per_row_33_128_kernelILi1024ELi64ELi8ELi32ELi8E21rocsparse_complex_numIdEEEv20rocsparse_direction_ii21rocsparse_index_base_PKT4_PKiS9_iiS4_PS5_PiSB_,@function
_ZN9rocsparseL37gebsr2csr_block_per_row_33_128_kernelILi1024ELi64ELi8ELi32ELi8E21rocsparse_complex_numIdEEEv20rocsparse_direction_ii21rocsparse_index_base_PKT4_PKiS9_iiS4_PS5_PiSB_: ; @_ZN9rocsparseL37gebsr2csr_block_per_row_33_128_kernelILi1024ELi64ELi8ELi32ELi8E21rocsparse_complex_numIdEEEv20rocsparse_direction_ii21rocsparse_index_base_PKT4_PKiS9_iiS4_PS5_PiSB_
; %bb.0:
	s_load_dwordx2 s[0:1], s[4:5], 0x18
	s_load_dwordx4 s[8:11], s[4:5], 0x28
	s_load_dwordx2 s[14:15], s[4:5], 0x40
	s_ashr_i32 s7, s6, 31
	s_lshl_b64 s[2:3], s[6:7], 2
	s_waitcnt lgkmcnt(0)
	s_add_u32 s0, s0, s2
	s_addc_u32 s1, s1, s3
	s_load_dwordx2 s[18:19], s[0:1], 0x0
	v_or_b32_e32 v1, s6, v0
	v_cmp_eq_u32_e32 vcc, 0, v1
	s_and_saveexec_b64 s[0:1], vcc
	s_cbranch_execz .LBB184_2
; %bb.1:
	v_mov_b32_e32 v1, 0
	v_mov_b32_e32 v2, s10
	global_store_dword v1, v2, s[14:15]
.LBB184_2:
	s_or_b64 exec, exec, s[0:1]
	s_load_dword s20, s[4:5], 0xc
	v_lshrrev_b32_e32 v4, 3, v0
	s_mul_i32 s16, s6, s8
	s_waitcnt lgkmcnt(0)
	s_sub_i32 s12, s18, s20
	s_sub_i32 s21, s19, s20
	s_mul_i32 s11, s12, s9
	s_sub_i32 s13, s21, s12
	s_mul_i32 s0, s11, s8
	s_mul_i32 s17, s13, s9
	s_add_i32 s22, s0, s10
	s_add_i32 s22, s22, s17
	v_cmp_gt_i32_e64 s[0:1], s8, v4
	s_and_saveexec_b64 s[2:3], s[0:1]
	s_cbranch_execz .LBB184_4
; %bb.3:
	v_add_u32_e32 v2, s16, v4
	v_ashrrev_i32_e32 v3, 31, v2
	v_lshlrev_b64 v[2:3], 2, v[2:3]
	v_mul_lo_u32 v1, v4, s17
	v_mov_b32_e32 v5, s15
	v_add_co_u32_e32 v2, vcc, s14, v2
	v_add_u32_e32 v1, s22, v1
	v_addc_co_u32_e32 v3, vcc, v5, v3, vcc
	global_store_dword v[2:3], v1, off offset:4
.LBB184_4:
	s_or_b64 exec, exec, s[2:3]
	v_add_u32_e32 v1, 32, v4
	v_cmp_gt_i32_e64 s[2:3], s8, v1
	s_and_saveexec_b64 s[6:7], s[2:3]
	s_cbranch_execz .LBB184_6
; %bb.5:
	s_add_u32 s14, s14, 4
	s_addc_u32 s15, s15, 0
	v_mul_lo_u32 v1, v1, s17
	s_ashr_i32 s17, s16, 31
	v_mov_b32_e32 v3, s17
	v_add_co_u32_e32 v2, vcc, s16, v4
	v_addc_co_u32_e32 v3, vcc, 0, v3, vcc
	v_lshlrev_b64 v[2:3], 2, v[2:3]
	v_mov_b32_e32 v5, s15
	v_add_co_u32_e32 v2, vcc, s14, v2
	v_add_u32_e32 v1, s22, v1
	v_addc_co_u32_e32 v3, vcc, v5, v3, vcc
	global_store_dword v[2:3], v1, off offset:128
.LBB184_6:
	s_or_b64 exec, exec, s[6:7]
	s_cmp_lt_i32 s18, s19
	s_cbranch_scc0 .LBB184_13
; %bb.7:
	s_load_dwordx2 s[24:25], s[4:5], 0x20
	s_load_dwordx2 s[6:7], s[4:5], 0x38
	;; [unrolled: 1-line block ×4, first 2 shown]
	s_load_dword s26, s[4:5], 0x0
	v_and_b32_e32 v0, 7, v0
	s_mul_i32 s28, s8, s12
	v_add_u32_e32 v5, s28, v4
	v_add_u32_e32 v2, s11, v0
	;; [unrolled: 1-line block ×3, first 2 shown]
	v_mad_u64_u32 v[2:3], s[10:11], s8, v2, v[4:5]
	v_cmp_gt_i32_e64 s[4:5], s9, v0
	s_waitcnt lgkmcnt(0)
	s_cmp_eq_u32 s26, 0
	v_mul_lo_u32 v3, v4, s13
	v_add_u32_e32 v4, 32, v5
	v_mad_u64_u32 v[6:7], s[26:27], s9, v5, v[0:1]
	s_cselect_b64 vcc, -1, 0
	s_and_b64 s[10:11], s[4:5], s[0:1]
	v_mad_u64_u32 v[4:5], s[0:1], s9, v4, v[0:1]
	v_add_u32_e32 v5, s28, v3
	v_lshl_add_u32 v3, s19, 5, v5
	s_lshl_b32 s0, s18, 5
	s_ashr_i32 s13, s12, 31
	s_and_b64 s[2:3], s[4:5], s[2:3]
	v_subrev_u32_e32 v3, s0, v3
	s_lshl_b64 s[0:1], s[12:13], 2
	s_add_u32 s4, s24, s0
	s_mul_i32 s22, s9, s8
	s_mov_b32 s23, 0
	v_mul_lo_u32 v3, s9, v3
	v_mul_lo_u32 v5, s9, v5
	s_addc_u32 s5, s25, s1
	v_cndmask_b32_e32 v6, v2, v6, vcc
	s_branch .LBB184_9
.LBB184_8:                              ;   in Loop: Header=BB184_9 Depth=1
	s_or_b64 exec, exec, s[18:19]
	s_add_i32 s12, s12, 1
	s_add_i32 s23, s23, s22
	s_add_u32 s4, s4, 4
	s_addc_u32 s5, s5, 0
	s_cmp_ge_i32 s12, s21
	v_add_u32_e32 v0, s9, v0
	s_cbranch_scc1 .LBB184_13
.LBB184_9:                              ; =>This Inner Loop Header: Depth=1
	s_load_dword s0, s[4:5], 0x0
	s_waitcnt lgkmcnt(0)
	s_sub_i32 s0, s0, s20
	s_mul_i32 s0, s0, s9
	v_add_u32_e32 v7, s0, v1
	s_and_saveexec_b64 s[18:19], s[10:11]
	s_cbranch_execz .LBB184_11
; %bb.10:                               ;   in Loop: Header=BB184_9 Depth=1
	v_add_u32_e32 v8, s23, v6
	v_ashrrev_i32_e32 v9, 31, v8
	v_lshlrev_b64 v[8:9], 4, v[8:9]
	v_mov_b32_e32 v10, s17
	v_add_co_u32_e64 v8, s[0:1], s16, v8
	v_addc_co_u32_e64 v9, s[0:1], v10, v9, s[0:1]
	global_load_dwordx4 v[8:11], v[8:9], off
	v_add_u32_e32 v12, v5, v0
	v_ashrrev_i32_e32 v13, 31, v12
	v_lshlrev_b64 v[14:15], 2, v[12:13]
	v_mov_b32_e32 v16, s15
	v_add_co_u32_e64 v14, s[0:1], s14, v14
	v_addc_co_u32_e64 v15, s[0:1], v16, v15, s[0:1]
	v_lshlrev_b64 v[12:13], 4, v[12:13]
	global_store_dword v[14:15], v7, off
	v_mov_b32_e32 v14, s7
	v_add_co_u32_e64 v12, s[0:1], s6, v12
	v_addc_co_u32_e64 v13, s[0:1], v14, v13, s[0:1]
	s_waitcnt vmcnt(1)
	global_store_dwordx4 v[12:13], v[8:11], off
.LBB184_11:                             ;   in Loop: Header=BB184_9 Depth=1
	s_or_b64 exec, exec, s[18:19]
	s_and_saveexec_b64 s[18:19], s[2:3]
	s_cbranch_execz .LBB184_8
; %bb.12:                               ;   in Loop: Header=BB184_9 Depth=1
	v_add_u32_e32 v8, s23, v4
	v_add3_u32 v9, v2, s23, 32
	v_cndmask_b32_e32 v8, v9, v8, vcc
	v_ashrrev_i32_e32 v9, 31, v8
	v_lshlrev_b64 v[8:9], 4, v[8:9]
	v_mov_b32_e32 v10, s17
	v_add_co_u32_e64 v8, s[0:1], s16, v8
	v_addc_co_u32_e64 v9, s[0:1], v10, v9, s[0:1]
	global_load_dwordx4 v[8:11], v[8:9], off
	v_add_u32_e32 v12, v3, v0
	v_ashrrev_i32_e32 v13, 31, v12
	v_lshlrev_b64 v[14:15], 2, v[12:13]
	v_mov_b32_e32 v16, s15
	v_add_co_u32_e64 v14, s[0:1], s14, v14
	v_addc_co_u32_e64 v15, s[0:1], v16, v15, s[0:1]
	v_lshlrev_b64 v[12:13], 4, v[12:13]
	global_store_dword v[14:15], v7, off
	v_mov_b32_e32 v7, s7
	v_add_co_u32_e64 v12, s[0:1], s6, v12
	v_addc_co_u32_e64 v13, s[0:1], v7, v13, s[0:1]
	s_waitcnt vmcnt(1)
	global_store_dwordx4 v[12:13], v[8:11], off
	s_branch .LBB184_8
.LBB184_13:
	s_endpgm
	.section	.rodata,"a",@progbits
	.p2align	6, 0x0
	.amdhsa_kernel _ZN9rocsparseL37gebsr2csr_block_per_row_33_128_kernelILi1024ELi64ELi8ELi32ELi8E21rocsparse_complex_numIdEEEv20rocsparse_direction_ii21rocsparse_index_base_PKT4_PKiS9_iiS4_PS5_PiSB_
		.amdhsa_group_segment_fixed_size 0
		.amdhsa_private_segment_fixed_size 0
		.amdhsa_kernarg_size 80
		.amdhsa_user_sgpr_count 6
		.amdhsa_user_sgpr_private_segment_buffer 1
		.amdhsa_user_sgpr_dispatch_ptr 0
		.amdhsa_user_sgpr_queue_ptr 0
		.amdhsa_user_sgpr_kernarg_segment_ptr 1
		.amdhsa_user_sgpr_dispatch_id 0
		.amdhsa_user_sgpr_flat_scratch_init 0
		.amdhsa_user_sgpr_kernarg_preload_length 0
		.amdhsa_user_sgpr_kernarg_preload_offset 0
		.amdhsa_user_sgpr_private_segment_size 0
		.amdhsa_uses_dynamic_stack 0
		.amdhsa_system_sgpr_private_segment_wavefront_offset 0
		.amdhsa_system_sgpr_workgroup_id_x 1
		.amdhsa_system_sgpr_workgroup_id_y 0
		.amdhsa_system_sgpr_workgroup_id_z 0
		.amdhsa_system_sgpr_workgroup_info 0
		.amdhsa_system_vgpr_workitem_id 0
		.amdhsa_next_free_vgpr 17
		.amdhsa_next_free_sgpr 29
		.amdhsa_accum_offset 20
		.amdhsa_reserve_vcc 1
		.amdhsa_reserve_flat_scratch 0
		.amdhsa_float_round_mode_32 0
		.amdhsa_float_round_mode_16_64 0
		.amdhsa_float_denorm_mode_32 3
		.amdhsa_float_denorm_mode_16_64 3
		.amdhsa_dx10_clamp 1
		.amdhsa_ieee_mode 1
		.amdhsa_fp16_overflow 0
		.amdhsa_tg_split 0
		.amdhsa_exception_fp_ieee_invalid_op 0
		.amdhsa_exception_fp_denorm_src 0
		.amdhsa_exception_fp_ieee_div_zero 0
		.amdhsa_exception_fp_ieee_overflow 0
		.amdhsa_exception_fp_ieee_underflow 0
		.amdhsa_exception_fp_ieee_inexact 0
		.amdhsa_exception_int_div_zero 0
	.end_amdhsa_kernel
	.section	.text._ZN9rocsparseL37gebsr2csr_block_per_row_33_128_kernelILi1024ELi64ELi8ELi32ELi8E21rocsparse_complex_numIdEEEv20rocsparse_direction_ii21rocsparse_index_base_PKT4_PKiS9_iiS4_PS5_PiSB_,"axG",@progbits,_ZN9rocsparseL37gebsr2csr_block_per_row_33_128_kernelILi1024ELi64ELi8ELi32ELi8E21rocsparse_complex_numIdEEEv20rocsparse_direction_ii21rocsparse_index_base_PKT4_PKiS9_iiS4_PS5_PiSB_,comdat
.Lfunc_end184:
	.size	_ZN9rocsparseL37gebsr2csr_block_per_row_33_128_kernelILi1024ELi64ELi8ELi32ELi8E21rocsparse_complex_numIdEEEv20rocsparse_direction_ii21rocsparse_index_base_PKT4_PKiS9_iiS4_PS5_PiSB_, .Lfunc_end184-_ZN9rocsparseL37gebsr2csr_block_per_row_33_128_kernelILi1024ELi64ELi8ELi32ELi8E21rocsparse_complex_numIdEEEv20rocsparse_direction_ii21rocsparse_index_base_PKT4_PKiS9_iiS4_PS5_PiSB_
                                        ; -- End function
	.section	.AMDGPU.csdata,"",@progbits
; Kernel info:
; codeLenInByte = 848
; NumSgprs: 33
; NumVgprs: 17
; NumAgprs: 0
; TotalNumVgprs: 17
; ScratchSize: 0
; MemoryBound: 0
; FloatMode: 240
; IeeeMode: 1
; LDSByteSize: 0 bytes/workgroup (compile time only)
; SGPRBlocks: 4
; VGPRBlocks: 2
; NumSGPRsForWavesPerEU: 33
; NumVGPRsForWavesPerEU: 17
; AccumOffset: 20
; Occupancy: 8
; WaveLimiterHint : 1
; COMPUTE_PGM_RSRC2:SCRATCH_EN: 0
; COMPUTE_PGM_RSRC2:USER_SGPR: 6
; COMPUTE_PGM_RSRC2:TRAP_HANDLER: 0
; COMPUTE_PGM_RSRC2:TGID_X_EN: 1
; COMPUTE_PGM_RSRC2:TGID_Y_EN: 0
; COMPUTE_PGM_RSRC2:TGID_Z_EN: 0
; COMPUTE_PGM_RSRC2:TIDIG_COMP_CNT: 0
; COMPUTE_PGM_RSRC3_GFX90A:ACCUM_OFFSET: 4
; COMPUTE_PGM_RSRC3_GFX90A:TG_SPLIT: 0
	.section	.text._ZN9rocsparseL37gebsr2csr_block_per_row_33_128_kernelILi1024ELi64ELi16ELi32ELi16E21rocsparse_complex_numIdEEEv20rocsparse_direction_ii21rocsparse_index_base_PKT4_PKiS9_iiS4_PS5_PiSB_,"axG",@progbits,_ZN9rocsparseL37gebsr2csr_block_per_row_33_128_kernelILi1024ELi64ELi16ELi32ELi16E21rocsparse_complex_numIdEEEv20rocsparse_direction_ii21rocsparse_index_base_PKT4_PKiS9_iiS4_PS5_PiSB_,comdat
	.globl	_ZN9rocsparseL37gebsr2csr_block_per_row_33_128_kernelILi1024ELi64ELi16ELi32ELi16E21rocsparse_complex_numIdEEEv20rocsparse_direction_ii21rocsparse_index_base_PKT4_PKiS9_iiS4_PS5_PiSB_ ; -- Begin function _ZN9rocsparseL37gebsr2csr_block_per_row_33_128_kernelILi1024ELi64ELi16ELi32ELi16E21rocsparse_complex_numIdEEEv20rocsparse_direction_ii21rocsparse_index_base_PKT4_PKiS9_iiS4_PS5_PiSB_
	.p2align	8
	.type	_ZN9rocsparseL37gebsr2csr_block_per_row_33_128_kernelILi1024ELi64ELi16ELi32ELi16E21rocsparse_complex_numIdEEEv20rocsparse_direction_ii21rocsparse_index_base_PKT4_PKiS9_iiS4_PS5_PiSB_,@function
_ZN9rocsparseL37gebsr2csr_block_per_row_33_128_kernelILi1024ELi64ELi16ELi32ELi16E21rocsparse_complex_numIdEEEv20rocsparse_direction_ii21rocsparse_index_base_PKT4_PKiS9_iiS4_PS5_PiSB_: ; @_ZN9rocsparseL37gebsr2csr_block_per_row_33_128_kernelILi1024ELi64ELi16ELi32ELi16E21rocsparse_complex_numIdEEEv20rocsparse_direction_ii21rocsparse_index_base_PKT4_PKiS9_iiS4_PS5_PiSB_
; %bb.0:
	s_load_dwordx2 s[0:1], s[4:5], 0x18
	s_load_dwordx4 s[8:11], s[4:5], 0x28
	s_load_dwordx2 s[14:15], s[4:5], 0x40
	s_ashr_i32 s7, s6, 31
	s_lshl_b64 s[2:3], s[6:7], 2
	s_waitcnt lgkmcnt(0)
	s_add_u32 s0, s0, s2
	s_addc_u32 s1, s1, s3
	s_load_dwordx2 s[18:19], s[0:1], 0x0
	v_or_b32_e32 v1, s6, v0
	v_cmp_eq_u32_e32 vcc, 0, v1
	s_and_saveexec_b64 s[0:1], vcc
	s_cbranch_execz .LBB185_2
; %bb.1:
	v_mov_b32_e32 v1, 0
	v_mov_b32_e32 v2, s10
	global_store_dword v1, v2, s[14:15]
.LBB185_2:
	s_or_b64 exec, exec, s[0:1]
	s_load_dword s20, s[4:5], 0xc
	v_lshrrev_b32_e32 v4, 4, v0
	s_mul_i32 s16, s6, s8
	s_waitcnt lgkmcnt(0)
	s_sub_i32 s12, s18, s20
	s_sub_i32 s21, s19, s20
	s_mul_i32 s11, s12, s9
	s_sub_i32 s13, s21, s12
	s_mul_i32 s0, s11, s8
	s_mul_i32 s17, s13, s9
	s_add_i32 s22, s0, s10
	s_add_i32 s22, s22, s17
	v_cmp_gt_i32_e64 s[0:1], s8, v4
	s_and_saveexec_b64 s[2:3], s[0:1]
	s_cbranch_execz .LBB185_4
; %bb.3:
	v_add_u32_e32 v2, s16, v4
	v_ashrrev_i32_e32 v3, 31, v2
	v_lshlrev_b64 v[2:3], 2, v[2:3]
	v_mul_lo_u32 v1, v4, s17
	v_mov_b32_e32 v5, s15
	v_add_co_u32_e32 v2, vcc, s14, v2
	v_add_u32_e32 v1, s22, v1
	v_addc_co_u32_e32 v3, vcc, v5, v3, vcc
	global_store_dword v[2:3], v1, off offset:4
.LBB185_4:
	s_or_b64 exec, exec, s[2:3]
	v_add_u32_e32 v1, 32, v4
	v_cmp_gt_i32_e64 s[2:3], s8, v1
	s_and_saveexec_b64 s[6:7], s[2:3]
	s_cbranch_execz .LBB185_6
; %bb.5:
	s_add_u32 s14, s14, 4
	s_addc_u32 s15, s15, 0
	v_mul_lo_u32 v1, v1, s17
	s_ashr_i32 s17, s16, 31
	v_mov_b32_e32 v3, s17
	v_add_co_u32_e32 v2, vcc, s16, v4
	v_addc_co_u32_e32 v3, vcc, 0, v3, vcc
	v_lshlrev_b64 v[2:3], 2, v[2:3]
	v_mov_b32_e32 v5, s15
	v_add_co_u32_e32 v2, vcc, s14, v2
	v_add_u32_e32 v1, s22, v1
	v_addc_co_u32_e32 v3, vcc, v5, v3, vcc
	global_store_dword v[2:3], v1, off offset:128
.LBB185_6:
	s_or_b64 exec, exec, s[6:7]
	s_cmp_lt_i32 s18, s19
	s_cbranch_scc0 .LBB185_13
; %bb.7:
	s_load_dwordx2 s[24:25], s[4:5], 0x20
	s_load_dwordx2 s[6:7], s[4:5], 0x38
	;; [unrolled: 1-line block ×4, first 2 shown]
	s_load_dword s26, s[4:5], 0x0
	v_and_b32_e32 v0, 15, v0
	s_mul_i32 s28, s8, s12
	v_add_u32_e32 v5, s28, v4
	v_add_u32_e32 v2, s11, v0
	;; [unrolled: 1-line block ×3, first 2 shown]
	v_mad_u64_u32 v[2:3], s[10:11], s8, v2, v[4:5]
	v_cmp_gt_i32_e64 s[4:5], s9, v0
	s_waitcnt lgkmcnt(0)
	s_cmp_eq_u32 s26, 0
	v_mul_lo_u32 v3, v4, s13
	v_add_u32_e32 v4, 32, v5
	v_mad_u64_u32 v[6:7], s[26:27], s9, v5, v[0:1]
	s_cselect_b64 vcc, -1, 0
	s_and_b64 s[10:11], s[4:5], s[0:1]
	v_mad_u64_u32 v[4:5], s[0:1], s9, v4, v[0:1]
	v_add_u32_e32 v5, s28, v3
	v_lshl_add_u32 v3, s19, 5, v5
	s_lshl_b32 s0, s18, 5
	s_ashr_i32 s13, s12, 31
	s_and_b64 s[2:3], s[4:5], s[2:3]
	v_subrev_u32_e32 v3, s0, v3
	s_lshl_b64 s[0:1], s[12:13], 2
	s_add_u32 s4, s24, s0
	s_mul_i32 s22, s9, s8
	s_mov_b32 s23, 0
	v_mul_lo_u32 v3, s9, v3
	v_mul_lo_u32 v5, s9, v5
	s_addc_u32 s5, s25, s1
	v_cndmask_b32_e32 v6, v2, v6, vcc
	s_branch .LBB185_9
.LBB185_8:                              ;   in Loop: Header=BB185_9 Depth=1
	s_or_b64 exec, exec, s[18:19]
	s_add_i32 s12, s12, 1
	s_add_i32 s23, s23, s22
	s_add_u32 s4, s4, 4
	s_addc_u32 s5, s5, 0
	s_cmp_ge_i32 s12, s21
	v_add_u32_e32 v0, s9, v0
	s_cbranch_scc1 .LBB185_13
.LBB185_9:                              ; =>This Inner Loop Header: Depth=1
	s_load_dword s0, s[4:5], 0x0
	s_waitcnt lgkmcnt(0)
	s_sub_i32 s0, s0, s20
	s_mul_i32 s0, s0, s9
	v_add_u32_e32 v7, s0, v1
	s_and_saveexec_b64 s[18:19], s[10:11]
	s_cbranch_execz .LBB185_11
; %bb.10:                               ;   in Loop: Header=BB185_9 Depth=1
	v_add_u32_e32 v8, s23, v6
	v_ashrrev_i32_e32 v9, 31, v8
	v_lshlrev_b64 v[8:9], 4, v[8:9]
	v_mov_b32_e32 v10, s17
	v_add_co_u32_e64 v8, s[0:1], s16, v8
	v_addc_co_u32_e64 v9, s[0:1], v10, v9, s[0:1]
	global_load_dwordx4 v[8:11], v[8:9], off
	v_add_u32_e32 v12, v5, v0
	v_ashrrev_i32_e32 v13, 31, v12
	v_lshlrev_b64 v[14:15], 2, v[12:13]
	v_mov_b32_e32 v16, s15
	v_add_co_u32_e64 v14, s[0:1], s14, v14
	v_addc_co_u32_e64 v15, s[0:1], v16, v15, s[0:1]
	v_lshlrev_b64 v[12:13], 4, v[12:13]
	global_store_dword v[14:15], v7, off
	v_mov_b32_e32 v14, s7
	v_add_co_u32_e64 v12, s[0:1], s6, v12
	v_addc_co_u32_e64 v13, s[0:1], v14, v13, s[0:1]
	s_waitcnt vmcnt(1)
	global_store_dwordx4 v[12:13], v[8:11], off
.LBB185_11:                             ;   in Loop: Header=BB185_9 Depth=1
	s_or_b64 exec, exec, s[18:19]
	s_and_saveexec_b64 s[18:19], s[2:3]
	s_cbranch_execz .LBB185_8
; %bb.12:                               ;   in Loop: Header=BB185_9 Depth=1
	v_add_u32_e32 v8, s23, v4
	v_add3_u32 v9, v2, s23, 32
	v_cndmask_b32_e32 v8, v9, v8, vcc
	v_ashrrev_i32_e32 v9, 31, v8
	v_lshlrev_b64 v[8:9], 4, v[8:9]
	v_mov_b32_e32 v10, s17
	v_add_co_u32_e64 v8, s[0:1], s16, v8
	v_addc_co_u32_e64 v9, s[0:1], v10, v9, s[0:1]
	global_load_dwordx4 v[8:11], v[8:9], off
	v_add_u32_e32 v12, v3, v0
	v_ashrrev_i32_e32 v13, 31, v12
	v_lshlrev_b64 v[14:15], 2, v[12:13]
	v_mov_b32_e32 v16, s15
	v_add_co_u32_e64 v14, s[0:1], s14, v14
	v_addc_co_u32_e64 v15, s[0:1], v16, v15, s[0:1]
	v_lshlrev_b64 v[12:13], 4, v[12:13]
	global_store_dword v[14:15], v7, off
	v_mov_b32_e32 v7, s7
	v_add_co_u32_e64 v12, s[0:1], s6, v12
	v_addc_co_u32_e64 v13, s[0:1], v7, v13, s[0:1]
	s_waitcnt vmcnt(1)
	global_store_dwordx4 v[12:13], v[8:11], off
	s_branch .LBB185_8
.LBB185_13:
	s_endpgm
	.section	.rodata,"a",@progbits
	.p2align	6, 0x0
	.amdhsa_kernel _ZN9rocsparseL37gebsr2csr_block_per_row_33_128_kernelILi1024ELi64ELi16ELi32ELi16E21rocsparse_complex_numIdEEEv20rocsparse_direction_ii21rocsparse_index_base_PKT4_PKiS9_iiS4_PS5_PiSB_
		.amdhsa_group_segment_fixed_size 0
		.amdhsa_private_segment_fixed_size 0
		.amdhsa_kernarg_size 80
		.amdhsa_user_sgpr_count 6
		.amdhsa_user_sgpr_private_segment_buffer 1
		.amdhsa_user_sgpr_dispatch_ptr 0
		.amdhsa_user_sgpr_queue_ptr 0
		.amdhsa_user_sgpr_kernarg_segment_ptr 1
		.amdhsa_user_sgpr_dispatch_id 0
		.amdhsa_user_sgpr_flat_scratch_init 0
		.amdhsa_user_sgpr_kernarg_preload_length 0
		.amdhsa_user_sgpr_kernarg_preload_offset 0
		.amdhsa_user_sgpr_private_segment_size 0
		.amdhsa_uses_dynamic_stack 0
		.amdhsa_system_sgpr_private_segment_wavefront_offset 0
		.amdhsa_system_sgpr_workgroup_id_x 1
		.amdhsa_system_sgpr_workgroup_id_y 0
		.amdhsa_system_sgpr_workgroup_id_z 0
		.amdhsa_system_sgpr_workgroup_info 0
		.amdhsa_system_vgpr_workitem_id 0
		.amdhsa_next_free_vgpr 17
		.amdhsa_next_free_sgpr 29
		.amdhsa_accum_offset 20
		.amdhsa_reserve_vcc 1
		.amdhsa_reserve_flat_scratch 0
		.amdhsa_float_round_mode_32 0
		.amdhsa_float_round_mode_16_64 0
		.amdhsa_float_denorm_mode_32 3
		.amdhsa_float_denorm_mode_16_64 3
		.amdhsa_dx10_clamp 1
		.amdhsa_ieee_mode 1
		.amdhsa_fp16_overflow 0
		.amdhsa_tg_split 0
		.amdhsa_exception_fp_ieee_invalid_op 0
		.amdhsa_exception_fp_denorm_src 0
		.amdhsa_exception_fp_ieee_div_zero 0
		.amdhsa_exception_fp_ieee_overflow 0
		.amdhsa_exception_fp_ieee_underflow 0
		.amdhsa_exception_fp_ieee_inexact 0
		.amdhsa_exception_int_div_zero 0
	.end_amdhsa_kernel
	.section	.text._ZN9rocsparseL37gebsr2csr_block_per_row_33_128_kernelILi1024ELi64ELi16ELi32ELi16E21rocsparse_complex_numIdEEEv20rocsparse_direction_ii21rocsparse_index_base_PKT4_PKiS9_iiS4_PS5_PiSB_,"axG",@progbits,_ZN9rocsparseL37gebsr2csr_block_per_row_33_128_kernelILi1024ELi64ELi16ELi32ELi16E21rocsparse_complex_numIdEEEv20rocsparse_direction_ii21rocsparse_index_base_PKT4_PKiS9_iiS4_PS5_PiSB_,comdat
.Lfunc_end185:
	.size	_ZN9rocsparseL37gebsr2csr_block_per_row_33_128_kernelILi1024ELi64ELi16ELi32ELi16E21rocsparse_complex_numIdEEEv20rocsparse_direction_ii21rocsparse_index_base_PKT4_PKiS9_iiS4_PS5_PiSB_, .Lfunc_end185-_ZN9rocsparseL37gebsr2csr_block_per_row_33_128_kernelILi1024ELi64ELi16ELi32ELi16E21rocsparse_complex_numIdEEEv20rocsparse_direction_ii21rocsparse_index_base_PKT4_PKiS9_iiS4_PS5_PiSB_
                                        ; -- End function
	.section	.AMDGPU.csdata,"",@progbits
; Kernel info:
; codeLenInByte = 848
; NumSgprs: 33
; NumVgprs: 17
; NumAgprs: 0
; TotalNumVgprs: 17
; ScratchSize: 0
; MemoryBound: 0
; FloatMode: 240
; IeeeMode: 1
; LDSByteSize: 0 bytes/workgroup (compile time only)
; SGPRBlocks: 4
; VGPRBlocks: 2
; NumSGPRsForWavesPerEU: 33
; NumVGPRsForWavesPerEU: 17
; AccumOffset: 20
; Occupancy: 8
; WaveLimiterHint : 1
; COMPUTE_PGM_RSRC2:SCRATCH_EN: 0
; COMPUTE_PGM_RSRC2:USER_SGPR: 6
; COMPUTE_PGM_RSRC2:TRAP_HANDLER: 0
; COMPUTE_PGM_RSRC2:TGID_X_EN: 1
; COMPUTE_PGM_RSRC2:TGID_Y_EN: 0
; COMPUTE_PGM_RSRC2:TGID_Z_EN: 0
; COMPUTE_PGM_RSRC2:TIDIG_COMP_CNT: 0
; COMPUTE_PGM_RSRC3_GFX90A:ACCUM_OFFSET: 4
; COMPUTE_PGM_RSRC3_GFX90A:TG_SPLIT: 0
	.section	.text._ZN9rocsparseL37gebsr2csr_block_per_row_33_128_kernelILi1024ELi64ELi32ELi32ELi32E21rocsparse_complex_numIdEEEv20rocsparse_direction_ii21rocsparse_index_base_PKT4_PKiS9_iiS4_PS5_PiSB_,"axG",@progbits,_ZN9rocsparseL37gebsr2csr_block_per_row_33_128_kernelILi1024ELi64ELi32ELi32ELi32E21rocsparse_complex_numIdEEEv20rocsparse_direction_ii21rocsparse_index_base_PKT4_PKiS9_iiS4_PS5_PiSB_,comdat
	.globl	_ZN9rocsparseL37gebsr2csr_block_per_row_33_128_kernelILi1024ELi64ELi32ELi32ELi32E21rocsparse_complex_numIdEEEv20rocsparse_direction_ii21rocsparse_index_base_PKT4_PKiS9_iiS4_PS5_PiSB_ ; -- Begin function _ZN9rocsparseL37gebsr2csr_block_per_row_33_128_kernelILi1024ELi64ELi32ELi32ELi32E21rocsparse_complex_numIdEEEv20rocsparse_direction_ii21rocsparse_index_base_PKT4_PKiS9_iiS4_PS5_PiSB_
	.p2align	8
	.type	_ZN9rocsparseL37gebsr2csr_block_per_row_33_128_kernelILi1024ELi64ELi32ELi32ELi32E21rocsparse_complex_numIdEEEv20rocsparse_direction_ii21rocsparse_index_base_PKT4_PKiS9_iiS4_PS5_PiSB_,@function
_ZN9rocsparseL37gebsr2csr_block_per_row_33_128_kernelILi1024ELi64ELi32ELi32ELi32E21rocsparse_complex_numIdEEEv20rocsparse_direction_ii21rocsparse_index_base_PKT4_PKiS9_iiS4_PS5_PiSB_: ; @_ZN9rocsparseL37gebsr2csr_block_per_row_33_128_kernelILi1024ELi64ELi32ELi32ELi32E21rocsparse_complex_numIdEEEv20rocsparse_direction_ii21rocsparse_index_base_PKT4_PKiS9_iiS4_PS5_PiSB_
; %bb.0:
	s_load_dwordx2 s[0:1], s[4:5], 0x18
	s_load_dwordx4 s[8:11], s[4:5], 0x28
	s_load_dwordx2 s[14:15], s[4:5], 0x40
	s_ashr_i32 s7, s6, 31
	s_lshl_b64 s[2:3], s[6:7], 2
	s_waitcnt lgkmcnt(0)
	s_add_u32 s0, s0, s2
	s_addc_u32 s1, s1, s3
	s_load_dwordx2 s[18:19], s[0:1], 0x0
	v_or_b32_e32 v1, s6, v0
	v_cmp_eq_u32_e32 vcc, 0, v1
	s_and_saveexec_b64 s[0:1], vcc
	s_cbranch_execz .LBB186_2
; %bb.1:
	v_mov_b32_e32 v1, 0
	v_mov_b32_e32 v2, s10
	global_store_dword v1, v2, s[14:15]
.LBB186_2:
	s_or_b64 exec, exec, s[0:1]
	s_load_dword s20, s[4:5], 0xc
	v_lshrrev_b32_e32 v4, 5, v0
	s_mul_i32 s16, s6, s8
	s_waitcnt lgkmcnt(0)
	s_sub_i32 s12, s18, s20
	s_sub_i32 s21, s19, s20
	s_mul_i32 s11, s12, s9
	s_sub_i32 s13, s21, s12
	s_mul_i32 s0, s11, s8
	s_mul_i32 s17, s13, s9
	s_add_i32 s22, s0, s10
	s_add_i32 s22, s22, s17
	v_cmp_gt_i32_e64 s[0:1], s8, v4
	s_and_saveexec_b64 s[2:3], s[0:1]
	s_cbranch_execz .LBB186_4
; %bb.3:
	v_add_u32_e32 v2, s16, v4
	v_ashrrev_i32_e32 v3, 31, v2
	v_lshlrev_b64 v[2:3], 2, v[2:3]
	v_mul_lo_u32 v1, v4, s17
	v_mov_b32_e32 v5, s15
	v_add_co_u32_e32 v2, vcc, s14, v2
	v_add_u32_e32 v1, s22, v1
	v_addc_co_u32_e32 v3, vcc, v5, v3, vcc
	global_store_dword v[2:3], v1, off offset:4
.LBB186_4:
	s_or_b64 exec, exec, s[2:3]
	v_or_b32_e32 v1, 32, v4
	v_cmp_gt_i32_e64 s[2:3], s8, v1
	s_and_saveexec_b64 s[6:7], s[2:3]
	s_cbranch_execz .LBB186_6
; %bb.5:
	s_add_u32 s14, s14, 4
	s_addc_u32 s15, s15, 0
	v_mul_lo_u32 v1, v1, s17
	s_ashr_i32 s17, s16, 31
	v_mov_b32_e32 v3, s17
	v_add_co_u32_e32 v2, vcc, s16, v4
	v_addc_co_u32_e32 v3, vcc, 0, v3, vcc
	v_lshlrev_b64 v[2:3], 2, v[2:3]
	v_mov_b32_e32 v5, s15
	v_add_co_u32_e32 v2, vcc, s14, v2
	v_add_u32_e32 v1, s22, v1
	v_addc_co_u32_e32 v3, vcc, v5, v3, vcc
	global_store_dword v[2:3], v1, off offset:128
.LBB186_6:
	s_or_b64 exec, exec, s[6:7]
	s_cmp_lt_i32 s18, s19
	s_cbranch_scc0 .LBB186_13
; %bb.7:
	s_load_dwordx2 s[24:25], s[4:5], 0x20
	s_load_dwordx2 s[6:7], s[4:5], 0x38
	;; [unrolled: 1-line block ×4, first 2 shown]
	s_load_dword s26, s[4:5], 0x0
	v_and_b32_e32 v0, 31, v0
	s_mul_i32 s28, s8, s12
	v_add_u32_e32 v5, s28, v4
	v_add_u32_e32 v2, s11, v0
	;; [unrolled: 1-line block ×3, first 2 shown]
	v_mad_u64_u32 v[2:3], s[10:11], s8, v2, v[4:5]
	v_cmp_gt_i32_e64 s[4:5], s9, v0
	s_waitcnt lgkmcnt(0)
	s_cmp_eq_u32 s26, 0
	v_mul_lo_u32 v3, v4, s13
	v_add_u32_e32 v4, 32, v5
	v_mad_u64_u32 v[6:7], s[26:27], s9, v5, v[0:1]
	s_cselect_b64 vcc, -1, 0
	s_and_b64 s[10:11], s[4:5], s[0:1]
	v_mad_u64_u32 v[4:5], s[0:1], s9, v4, v[0:1]
	v_add_u32_e32 v5, s28, v3
	v_lshl_add_u32 v3, s19, 5, v5
	s_lshl_b32 s0, s18, 5
	s_ashr_i32 s13, s12, 31
	s_and_b64 s[2:3], s[4:5], s[2:3]
	v_subrev_u32_e32 v3, s0, v3
	s_lshl_b64 s[0:1], s[12:13], 2
	s_add_u32 s4, s24, s0
	s_mul_i32 s22, s9, s8
	s_mov_b32 s23, 0
	v_mul_lo_u32 v3, s9, v3
	v_mul_lo_u32 v5, s9, v5
	s_addc_u32 s5, s25, s1
	v_cndmask_b32_e32 v6, v2, v6, vcc
	s_branch .LBB186_9
.LBB186_8:                              ;   in Loop: Header=BB186_9 Depth=1
	s_or_b64 exec, exec, s[18:19]
	s_add_i32 s12, s12, 1
	s_add_i32 s23, s23, s22
	s_add_u32 s4, s4, 4
	s_addc_u32 s5, s5, 0
	s_cmp_ge_i32 s12, s21
	v_add_u32_e32 v0, s9, v0
	s_cbranch_scc1 .LBB186_13
.LBB186_9:                              ; =>This Inner Loop Header: Depth=1
	s_load_dword s0, s[4:5], 0x0
	s_waitcnt lgkmcnt(0)
	s_sub_i32 s0, s0, s20
	s_mul_i32 s0, s0, s9
	v_add_u32_e32 v7, s0, v1
	s_and_saveexec_b64 s[18:19], s[10:11]
	s_cbranch_execz .LBB186_11
; %bb.10:                               ;   in Loop: Header=BB186_9 Depth=1
	v_add_u32_e32 v8, s23, v6
	v_ashrrev_i32_e32 v9, 31, v8
	v_lshlrev_b64 v[8:9], 4, v[8:9]
	v_mov_b32_e32 v10, s17
	v_add_co_u32_e64 v8, s[0:1], s16, v8
	v_addc_co_u32_e64 v9, s[0:1], v10, v9, s[0:1]
	global_load_dwordx4 v[8:11], v[8:9], off
	v_add_u32_e32 v12, v5, v0
	v_ashrrev_i32_e32 v13, 31, v12
	v_lshlrev_b64 v[14:15], 2, v[12:13]
	v_mov_b32_e32 v16, s15
	v_add_co_u32_e64 v14, s[0:1], s14, v14
	v_addc_co_u32_e64 v15, s[0:1], v16, v15, s[0:1]
	v_lshlrev_b64 v[12:13], 4, v[12:13]
	global_store_dword v[14:15], v7, off
	v_mov_b32_e32 v14, s7
	v_add_co_u32_e64 v12, s[0:1], s6, v12
	v_addc_co_u32_e64 v13, s[0:1], v14, v13, s[0:1]
	s_waitcnt vmcnt(1)
	global_store_dwordx4 v[12:13], v[8:11], off
.LBB186_11:                             ;   in Loop: Header=BB186_9 Depth=1
	s_or_b64 exec, exec, s[18:19]
	s_and_saveexec_b64 s[18:19], s[2:3]
	s_cbranch_execz .LBB186_8
; %bb.12:                               ;   in Loop: Header=BB186_9 Depth=1
	v_add_u32_e32 v8, s23, v4
	v_add3_u32 v9, v2, s23, 32
	v_cndmask_b32_e32 v8, v9, v8, vcc
	v_ashrrev_i32_e32 v9, 31, v8
	v_lshlrev_b64 v[8:9], 4, v[8:9]
	v_mov_b32_e32 v10, s17
	v_add_co_u32_e64 v8, s[0:1], s16, v8
	v_addc_co_u32_e64 v9, s[0:1], v10, v9, s[0:1]
	global_load_dwordx4 v[8:11], v[8:9], off
	v_add_u32_e32 v12, v3, v0
	v_ashrrev_i32_e32 v13, 31, v12
	v_lshlrev_b64 v[14:15], 2, v[12:13]
	v_mov_b32_e32 v16, s15
	v_add_co_u32_e64 v14, s[0:1], s14, v14
	v_addc_co_u32_e64 v15, s[0:1], v16, v15, s[0:1]
	v_lshlrev_b64 v[12:13], 4, v[12:13]
	global_store_dword v[14:15], v7, off
	v_mov_b32_e32 v7, s7
	v_add_co_u32_e64 v12, s[0:1], s6, v12
	v_addc_co_u32_e64 v13, s[0:1], v7, v13, s[0:1]
	s_waitcnt vmcnt(1)
	global_store_dwordx4 v[12:13], v[8:11], off
	s_branch .LBB186_8
.LBB186_13:
	s_endpgm
	.section	.rodata,"a",@progbits
	.p2align	6, 0x0
	.amdhsa_kernel _ZN9rocsparseL37gebsr2csr_block_per_row_33_128_kernelILi1024ELi64ELi32ELi32ELi32E21rocsparse_complex_numIdEEEv20rocsparse_direction_ii21rocsparse_index_base_PKT4_PKiS9_iiS4_PS5_PiSB_
		.amdhsa_group_segment_fixed_size 0
		.amdhsa_private_segment_fixed_size 0
		.amdhsa_kernarg_size 80
		.amdhsa_user_sgpr_count 6
		.amdhsa_user_sgpr_private_segment_buffer 1
		.amdhsa_user_sgpr_dispatch_ptr 0
		.amdhsa_user_sgpr_queue_ptr 0
		.amdhsa_user_sgpr_kernarg_segment_ptr 1
		.amdhsa_user_sgpr_dispatch_id 0
		.amdhsa_user_sgpr_flat_scratch_init 0
		.amdhsa_user_sgpr_kernarg_preload_length 0
		.amdhsa_user_sgpr_kernarg_preload_offset 0
		.amdhsa_user_sgpr_private_segment_size 0
		.amdhsa_uses_dynamic_stack 0
		.amdhsa_system_sgpr_private_segment_wavefront_offset 0
		.amdhsa_system_sgpr_workgroup_id_x 1
		.amdhsa_system_sgpr_workgroup_id_y 0
		.amdhsa_system_sgpr_workgroup_id_z 0
		.amdhsa_system_sgpr_workgroup_info 0
		.amdhsa_system_vgpr_workitem_id 0
		.amdhsa_next_free_vgpr 17
		.amdhsa_next_free_sgpr 29
		.amdhsa_accum_offset 20
		.amdhsa_reserve_vcc 1
		.amdhsa_reserve_flat_scratch 0
		.amdhsa_float_round_mode_32 0
		.amdhsa_float_round_mode_16_64 0
		.amdhsa_float_denorm_mode_32 3
		.amdhsa_float_denorm_mode_16_64 3
		.amdhsa_dx10_clamp 1
		.amdhsa_ieee_mode 1
		.amdhsa_fp16_overflow 0
		.amdhsa_tg_split 0
		.amdhsa_exception_fp_ieee_invalid_op 0
		.amdhsa_exception_fp_denorm_src 0
		.amdhsa_exception_fp_ieee_div_zero 0
		.amdhsa_exception_fp_ieee_overflow 0
		.amdhsa_exception_fp_ieee_underflow 0
		.amdhsa_exception_fp_ieee_inexact 0
		.amdhsa_exception_int_div_zero 0
	.end_amdhsa_kernel
	.section	.text._ZN9rocsparseL37gebsr2csr_block_per_row_33_128_kernelILi1024ELi64ELi32ELi32ELi32E21rocsparse_complex_numIdEEEv20rocsparse_direction_ii21rocsparse_index_base_PKT4_PKiS9_iiS4_PS5_PiSB_,"axG",@progbits,_ZN9rocsparseL37gebsr2csr_block_per_row_33_128_kernelILi1024ELi64ELi32ELi32ELi32E21rocsparse_complex_numIdEEEv20rocsparse_direction_ii21rocsparse_index_base_PKT4_PKiS9_iiS4_PS5_PiSB_,comdat
.Lfunc_end186:
	.size	_ZN9rocsparseL37gebsr2csr_block_per_row_33_128_kernelILi1024ELi64ELi32ELi32ELi32E21rocsparse_complex_numIdEEEv20rocsparse_direction_ii21rocsparse_index_base_PKT4_PKiS9_iiS4_PS5_PiSB_, .Lfunc_end186-_ZN9rocsparseL37gebsr2csr_block_per_row_33_128_kernelILi1024ELi64ELi32ELi32ELi32E21rocsparse_complex_numIdEEEv20rocsparse_direction_ii21rocsparse_index_base_PKT4_PKiS9_iiS4_PS5_PiSB_
                                        ; -- End function
	.section	.AMDGPU.csdata,"",@progbits
; Kernel info:
; codeLenInByte = 848
; NumSgprs: 33
; NumVgprs: 17
; NumAgprs: 0
; TotalNumVgprs: 17
; ScratchSize: 0
; MemoryBound: 0
; FloatMode: 240
; IeeeMode: 1
; LDSByteSize: 0 bytes/workgroup (compile time only)
; SGPRBlocks: 4
; VGPRBlocks: 2
; NumSGPRsForWavesPerEU: 33
; NumVGPRsForWavesPerEU: 17
; AccumOffset: 20
; Occupancy: 8
; WaveLimiterHint : 1
; COMPUTE_PGM_RSRC2:SCRATCH_EN: 0
; COMPUTE_PGM_RSRC2:USER_SGPR: 6
; COMPUTE_PGM_RSRC2:TRAP_HANDLER: 0
; COMPUTE_PGM_RSRC2:TGID_X_EN: 1
; COMPUTE_PGM_RSRC2:TGID_Y_EN: 0
; COMPUTE_PGM_RSRC2:TGID_Z_EN: 0
; COMPUTE_PGM_RSRC2:TIDIG_COMP_CNT: 0
; COMPUTE_PGM_RSRC3_GFX90A:ACCUM_OFFSET: 4
; COMPUTE_PGM_RSRC3_GFX90A:TG_SPLIT: 0
	.section	.text._ZN9rocsparseL37gebsr2csr_block_per_row_33_128_kernelILi1024ELi64ELi64ELi32ELi32E21rocsparse_complex_numIdEEEv20rocsparse_direction_ii21rocsparse_index_base_PKT4_PKiS9_iiS4_PS5_PiSB_,"axG",@progbits,_ZN9rocsparseL37gebsr2csr_block_per_row_33_128_kernelILi1024ELi64ELi64ELi32ELi32E21rocsparse_complex_numIdEEEv20rocsparse_direction_ii21rocsparse_index_base_PKT4_PKiS9_iiS4_PS5_PiSB_,comdat
	.globl	_ZN9rocsparseL37gebsr2csr_block_per_row_33_128_kernelILi1024ELi64ELi64ELi32ELi32E21rocsparse_complex_numIdEEEv20rocsparse_direction_ii21rocsparse_index_base_PKT4_PKiS9_iiS4_PS5_PiSB_ ; -- Begin function _ZN9rocsparseL37gebsr2csr_block_per_row_33_128_kernelILi1024ELi64ELi64ELi32ELi32E21rocsparse_complex_numIdEEEv20rocsparse_direction_ii21rocsparse_index_base_PKT4_PKiS9_iiS4_PS5_PiSB_
	.p2align	8
	.type	_ZN9rocsparseL37gebsr2csr_block_per_row_33_128_kernelILi1024ELi64ELi64ELi32ELi32E21rocsparse_complex_numIdEEEv20rocsparse_direction_ii21rocsparse_index_base_PKT4_PKiS9_iiS4_PS5_PiSB_,@function
_ZN9rocsparseL37gebsr2csr_block_per_row_33_128_kernelILi1024ELi64ELi64ELi32ELi32E21rocsparse_complex_numIdEEEv20rocsparse_direction_ii21rocsparse_index_base_PKT4_PKiS9_iiS4_PS5_PiSB_: ; @_ZN9rocsparseL37gebsr2csr_block_per_row_33_128_kernelILi1024ELi64ELi64ELi32ELi32E21rocsparse_complex_numIdEEEv20rocsparse_direction_ii21rocsparse_index_base_PKT4_PKiS9_iiS4_PS5_PiSB_
; %bb.0:
	s_load_dwordx2 s[0:1], s[4:5], 0x18
	s_load_dwordx4 s[8:11], s[4:5], 0x28
	s_load_dwordx2 s[14:15], s[4:5], 0x40
	s_ashr_i32 s7, s6, 31
	s_lshl_b64 s[2:3], s[6:7], 2
	s_waitcnt lgkmcnt(0)
	s_add_u32 s0, s0, s2
	s_addc_u32 s1, s1, s3
	s_load_dwordx2 s[24:25], s[0:1], 0x0
	v_or_b32_e32 v1, s6, v0
	v_cmp_eq_u32_e32 vcc, 0, v1
	s_and_saveexec_b64 s[0:1], vcc
	s_cbranch_execz .LBB187_2
; %bb.1:
	v_mov_b32_e32 v1, 0
	v_mov_b32_e32 v2, s10
	global_store_dword v1, v2, s[14:15]
.LBB187_2:
	s_or_b64 exec, exec, s[0:1]
	s_load_dword s11, s[4:5], 0xc
	v_lshrrev_b32_e32 v1, 5, v0
	s_mul_i32 s16, s6, s8
	s_waitcnt lgkmcnt(0)
	s_sub_i32 s12, s24, s11
	s_sub_i32 s26, s25, s11
	s_mul_i32 s13, s12, s9
	s_sub_i32 s20, s26, s12
	s_mul_i32 s0, s13, s8
	s_mul_i32 s17, s20, s9
	s_add_i32 s18, s0, s10
	s_add_i32 s18, s18, s17
	v_cmp_gt_i32_e64 s[0:1], s8, v1
	s_and_saveexec_b64 s[2:3], s[0:1]
	s_cbranch_execz .LBB187_4
; %bb.3:
	v_mul_lo_u32 v2, v1, s17
	v_add_u32_e32 v4, s18, v2
	v_add_u32_e32 v2, s16, v1
	v_ashrrev_i32_e32 v3, 31, v2
	v_lshlrev_b64 v[2:3], 2, v[2:3]
	v_mov_b32_e32 v5, s15
	v_add_co_u32_e32 v2, vcc, s14, v2
	v_addc_co_u32_e32 v3, vcc, v5, v3, vcc
	global_store_dword v[2:3], v4, off offset:4
.LBB187_4:
	s_or_b64 exec, exec, s[2:3]
	v_or_b32_e32 v2, 32, v1
	v_cmp_gt_i32_e64 s[2:3], s8, v2
	s_and_saveexec_b64 s[6:7], s[2:3]
	s_cbranch_execz .LBB187_6
; %bb.5:
	s_add_u32 s14, s14, 4
	s_addc_u32 s15, s15, 0
	v_mul_lo_u32 v2, v2, s17
	s_ashr_i32 s17, s16, 31
	v_add_u32_e32 v4, s18, v2
	v_mov_b32_e32 v3, s17
	v_add_co_u32_e32 v2, vcc, s16, v1
	v_addc_co_u32_e32 v3, vcc, 0, v3, vcc
	v_lshlrev_b64 v[2:3], 2, v[2:3]
	v_mov_b32_e32 v5, s15
	v_add_co_u32_e32 v2, vcc, s14, v2
	v_addc_co_u32_e32 v3, vcc, v5, v3, vcc
	global_store_dword v[2:3], v4, off offset:128
.LBB187_6:
	s_or_b64 exec, exec, s[6:7]
	s_cmp_lt_i32 s24, s25
	s_cbranch_scc0 .LBB187_17
; %bb.7:
	s_load_dwordx2 s[28:29], s[4:5], 0x20
	s_load_dwordx2 s[14:15], s[4:5], 0x38
	s_load_dword s6, s[4:5], 0x0
	s_load_dwordx2 s[16:17], s[4:5], 0x10
	s_load_dwordx2 s[18:19], s[4:5], 0x48
	v_and_b32_e32 v0, 31, v0
	v_or_b32_e32 v2, 32, v0
	s_waitcnt lgkmcnt(0)
	s_cmp_eq_u32 s6, 0
	v_cmp_gt_i32_e64 s[4:5], s9, v0
	v_cmp_gt_i32_e64 s[6:7], s9, v2
	s_cselect_b64 vcc, -1, 0
	v_mul_lo_u32 v7, v1, s20
	s_and_b64 s[20:21], s[0:1], s[4:5]
	s_and_b64 s[22:23], s[0:1], s[6:7]
	s_mul_i32 s0, s8, s12
	v_add_u32_e32 v8, s0, v7
	v_add_u32_e32 v4, s0, v1
	;; [unrolled: 1-line block ×3, first 2 shown]
	v_lshl_add_u32 v7, s25, 5, v8
	s_lshl_b32 s0, s24, 5
	s_ashr_i32 s13, s12, 31
	s_and_b64 s[4:5], s[2:3], s[4:5]
	s_and_b64 s[2:3], s[2:3], s[6:7]
	v_subrev_u32_e32 v7, s0, v7
	s_lshl_b64 s[0:1], s[12:13], 2
	v_add_u32_e32 v3, 32, v4
	v_add_u32_e32 v5, 32, v6
	s_add_u32 s6, s28, s0
	s_mul_i32 s27, s9, s8
	v_mul_lo_u32 v3, s9, v3
	v_mul_lo_u32 v4, s9, v4
	;; [unrolled: 1-line block ×6, first 2 shown]
	s_addc_u32 s7, s29, s1
	s_branch .LBB187_9
.LBB187_8:                              ;   in Loop: Header=BB187_9 Depth=1
	s_or_b64 exec, exec, s[24:25]
	s_add_i32 s12, s12, 1
	s_add_u32 s6, s6, 4
	s_addc_u32 s7, s7, 0
	v_add_u32_e32 v3, s27, v3
	v_add_u32_e32 v4, s27, v4
	;; [unrolled: 1-line block ×4, first 2 shown]
	s_cmp_ge_i32 s12, s26
	v_add_u32_e32 v8, s9, v8
	s_cbranch_scc1 .LBB187_17
.LBB187_9:                              ; =>This Inner Loop Header: Depth=1
	s_load_dword s0, s[6:7], 0x0
	s_waitcnt lgkmcnt(0)
	s_sub_i32 s0, s0, s11
	s_mul_i32 s8, s0, s9
	s_add_i32 s8, s8, s10
	v_add_u32_e32 v9, s8, v0
	s_and_saveexec_b64 s[24:25], s[20:21]
	s_cbranch_execz .LBB187_11
; %bb.10:                               ;   in Loop: Header=BB187_9 Depth=1
	v_add_u32_e32 v10, v0, v4
	v_add_u32_e32 v11, v6, v1
	v_cndmask_b32_e32 v10, v11, v10, vcc
	v_ashrrev_i32_e32 v11, 31, v10
	v_lshlrev_b64 v[10:11], 4, v[10:11]
	v_mov_b32_e32 v12, s17
	v_add_co_u32_e64 v10, s[0:1], s16, v10
	v_addc_co_u32_e64 v11, s[0:1], v12, v11, s[0:1]
	global_load_dwordx4 v[10:13], v[10:11], off
	v_add_u32_e32 v14, v0, v8
	v_ashrrev_i32_e32 v15, 31, v14
	v_lshlrev_b64 v[16:17], 2, v[14:15]
	v_mov_b32_e32 v18, s19
	v_add_co_u32_e64 v16, s[0:1], s18, v16
	v_addc_co_u32_e64 v17, s[0:1], v18, v17, s[0:1]
	v_lshlrev_b64 v[14:15], 4, v[14:15]
	global_store_dword v[16:17], v9, off
	v_mov_b32_e32 v16, s15
	v_add_co_u32_e64 v14, s[0:1], s14, v14
	v_addc_co_u32_e64 v15, s[0:1], v16, v15, s[0:1]
	s_waitcnt vmcnt(1)
	global_store_dwordx4 v[14:15], v[10:13], off
.LBB187_11:                             ;   in Loop: Header=BB187_9 Depth=1
	s_or_b64 exec, exec, s[24:25]
	v_add_u32_e32 v10, s8, v2
	v_add_u32_e32 v11, v5, v1
	s_and_saveexec_b64 s[24:25], s[22:23]
	s_cbranch_execnz .LBB187_14
; %bb.12:                               ;   in Loop: Header=BB187_9 Depth=1
	s_or_b64 exec, exec, s[24:25]
	v_add_u32_e32 v12, v0, v3
	s_and_saveexec_b64 s[24:25], s[4:5]
	s_cbranch_execnz .LBB187_15
.LBB187_13:                             ;   in Loop: Header=BB187_9 Depth=1
	s_or_b64 exec, exec, s[24:25]
	s_and_saveexec_b64 s[24:25], s[2:3]
	s_cbranch_execz .LBB187_8
	s_branch .LBB187_16
.LBB187_14:                             ;   in Loop: Header=BB187_9 Depth=1
	v_add3_u32 v12, v0, v4, 32
	v_cndmask_b32_e32 v12, v11, v12, vcc
	v_ashrrev_i32_e32 v13, 31, v12
	v_lshlrev_b64 v[12:13], 4, v[12:13]
	v_mov_b32_e32 v14, s17
	v_add_co_u32_e64 v12, s[0:1], s16, v12
	v_addc_co_u32_e64 v13, s[0:1], v14, v13, s[0:1]
	global_load_dwordx4 v[12:15], v[12:13], off
	v_add3_u32 v16, v0, v8, 32
	v_ashrrev_i32_e32 v17, 31, v16
	v_lshlrev_b64 v[18:19], 2, v[16:17]
	v_mov_b32_e32 v20, s19
	v_add_co_u32_e64 v18, s[0:1], s18, v18
	v_addc_co_u32_e64 v19, s[0:1], v20, v19, s[0:1]
	v_lshlrev_b64 v[16:17], 4, v[16:17]
	global_store_dword v[18:19], v10, off
	v_mov_b32_e32 v18, s15
	v_add_co_u32_e64 v16, s[0:1], s14, v16
	v_addc_co_u32_e64 v17, s[0:1], v18, v17, s[0:1]
	s_waitcnt vmcnt(1)
	global_store_dwordx4 v[16:17], v[12:15], off
	s_or_b64 exec, exec, s[24:25]
	v_add_u32_e32 v12, v0, v3
	s_and_saveexec_b64 s[24:25], s[4:5]
	s_cbranch_execz .LBB187_13
.LBB187_15:                             ;   in Loop: Header=BB187_9 Depth=1
	v_add3_u32 v13, v6, v1, 32
	v_cndmask_b32_e32 v14, v13, v12, vcc
	v_ashrrev_i32_e32 v15, 31, v14
	v_lshlrev_b64 v[14:15], 4, v[14:15]
	v_mov_b32_e32 v13, s17
	v_add_co_u32_e64 v14, s[0:1], s16, v14
	v_addc_co_u32_e64 v15, s[0:1], v13, v15, s[0:1]
	global_load_dwordx4 v[14:17], v[14:15], off
	v_add_u32_e32 v18, v0, v7
	v_ashrrev_i32_e32 v19, 31, v18
	v_lshlrev_b64 v[20:21], 2, v[18:19]
	v_mov_b32_e32 v13, s19
	v_add_co_u32_e64 v20, s[0:1], s18, v20
	v_addc_co_u32_e64 v21, s[0:1], v13, v21, s[0:1]
	v_lshlrev_b64 v[18:19], 4, v[18:19]
	global_store_dword v[20:21], v9, off
	v_mov_b32_e32 v9, s15
	v_add_co_u32_e64 v18, s[0:1], s14, v18
	v_addc_co_u32_e64 v19, s[0:1], v9, v19, s[0:1]
	s_waitcnt vmcnt(1)
	global_store_dwordx4 v[18:19], v[14:17], off
	s_or_b64 exec, exec, s[24:25]
	s_and_saveexec_b64 s[24:25], s[2:3]
	s_cbranch_execz .LBB187_8
.LBB187_16:                             ;   in Loop: Header=BB187_9 Depth=1
	v_cndmask_b32_e32 v9, v11, v12, vcc
	v_add_u32_e32 v12, 32, v9
	v_ashrrev_i32_e32 v13, 31, v12
	v_lshlrev_b64 v[12:13], 4, v[12:13]
	v_mov_b32_e32 v9, s17
	v_add_co_u32_e64 v12, s[0:1], s16, v12
	v_addc_co_u32_e64 v13, s[0:1], v9, v13, s[0:1]
	global_load_dwordx4 v[12:15], v[12:13], off
	v_add3_u32 v16, v0, v7, 32
	v_ashrrev_i32_e32 v17, 31, v16
	v_lshlrev_b64 v[18:19], 2, v[16:17]
	v_mov_b32_e32 v9, s19
	v_add_co_u32_e64 v18, s[0:1], s18, v18
	v_addc_co_u32_e64 v19, s[0:1], v9, v19, s[0:1]
	global_store_dword v[18:19], v10, off
	v_lshlrev_b64 v[10:11], 4, v[16:17]
	v_mov_b32_e32 v9, s15
	v_add_co_u32_e64 v10, s[0:1], s14, v10
	v_addc_co_u32_e64 v11, s[0:1], v9, v11, s[0:1]
	s_waitcnt vmcnt(1)
	global_store_dwordx4 v[10:11], v[12:15], off
	s_branch .LBB187_8
.LBB187_17:
	s_endpgm
	.section	.rodata,"a",@progbits
	.p2align	6, 0x0
	.amdhsa_kernel _ZN9rocsparseL37gebsr2csr_block_per_row_33_128_kernelILi1024ELi64ELi64ELi32ELi32E21rocsparse_complex_numIdEEEv20rocsparse_direction_ii21rocsparse_index_base_PKT4_PKiS9_iiS4_PS5_PiSB_
		.amdhsa_group_segment_fixed_size 0
		.amdhsa_private_segment_fixed_size 0
		.amdhsa_kernarg_size 80
		.amdhsa_user_sgpr_count 6
		.amdhsa_user_sgpr_private_segment_buffer 1
		.amdhsa_user_sgpr_dispatch_ptr 0
		.amdhsa_user_sgpr_queue_ptr 0
		.amdhsa_user_sgpr_kernarg_segment_ptr 1
		.amdhsa_user_sgpr_dispatch_id 0
		.amdhsa_user_sgpr_flat_scratch_init 0
		.amdhsa_user_sgpr_kernarg_preload_length 0
		.amdhsa_user_sgpr_kernarg_preload_offset 0
		.amdhsa_user_sgpr_private_segment_size 0
		.amdhsa_uses_dynamic_stack 0
		.amdhsa_system_sgpr_private_segment_wavefront_offset 0
		.amdhsa_system_sgpr_workgroup_id_x 1
		.amdhsa_system_sgpr_workgroup_id_y 0
		.amdhsa_system_sgpr_workgroup_id_z 0
		.amdhsa_system_sgpr_workgroup_info 0
		.amdhsa_system_vgpr_workitem_id 0
		.amdhsa_next_free_vgpr 22
		.amdhsa_next_free_sgpr 30
		.amdhsa_accum_offset 24
		.amdhsa_reserve_vcc 1
		.amdhsa_reserve_flat_scratch 0
		.amdhsa_float_round_mode_32 0
		.amdhsa_float_round_mode_16_64 0
		.amdhsa_float_denorm_mode_32 3
		.amdhsa_float_denorm_mode_16_64 3
		.amdhsa_dx10_clamp 1
		.amdhsa_ieee_mode 1
		.amdhsa_fp16_overflow 0
		.amdhsa_tg_split 0
		.amdhsa_exception_fp_ieee_invalid_op 0
		.amdhsa_exception_fp_denorm_src 0
		.amdhsa_exception_fp_ieee_div_zero 0
		.amdhsa_exception_fp_ieee_overflow 0
		.amdhsa_exception_fp_ieee_underflow 0
		.amdhsa_exception_fp_ieee_inexact 0
		.amdhsa_exception_int_div_zero 0
	.end_amdhsa_kernel
	.section	.text._ZN9rocsparseL37gebsr2csr_block_per_row_33_128_kernelILi1024ELi64ELi64ELi32ELi32E21rocsparse_complex_numIdEEEv20rocsparse_direction_ii21rocsparse_index_base_PKT4_PKiS9_iiS4_PS5_PiSB_,"axG",@progbits,_ZN9rocsparseL37gebsr2csr_block_per_row_33_128_kernelILi1024ELi64ELi64ELi32ELi32E21rocsparse_complex_numIdEEEv20rocsparse_direction_ii21rocsparse_index_base_PKT4_PKiS9_iiS4_PS5_PiSB_,comdat
.Lfunc_end187:
	.size	_ZN9rocsparseL37gebsr2csr_block_per_row_33_128_kernelILi1024ELi64ELi64ELi32ELi32E21rocsparse_complex_numIdEEEv20rocsparse_direction_ii21rocsparse_index_base_PKT4_PKiS9_iiS4_PS5_PiSB_, .Lfunc_end187-_ZN9rocsparseL37gebsr2csr_block_per_row_33_128_kernelILi1024ELi64ELi64ELi32ELi32E21rocsparse_complex_numIdEEEv20rocsparse_direction_ii21rocsparse_index_base_PKT4_PKiS9_iiS4_PS5_PiSB_
                                        ; -- End function
	.section	.AMDGPU.csdata,"",@progbits
; Kernel info:
; codeLenInByte = 1232
; NumSgprs: 34
; NumVgprs: 22
; NumAgprs: 0
; TotalNumVgprs: 22
; ScratchSize: 0
; MemoryBound: 0
; FloatMode: 240
; IeeeMode: 1
; LDSByteSize: 0 bytes/workgroup (compile time only)
; SGPRBlocks: 4
; VGPRBlocks: 2
; NumSGPRsForWavesPerEU: 34
; NumVGPRsForWavesPerEU: 22
; AccumOffset: 24
; Occupancy: 8
; WaveLimiterHint : 0
; COMPUTE_PGM_RSRC2:SCRATCH_EN: 0
; COMPUTE_PGM_RSRC2:USER_SGPR: 6
; COMPUTE_PGM_RSRC2:TRAP_HANDLER: 0
; COMPUTE_PGM_RSRC2:TGID_X_EN: 1
; COMPUTE_PGM_RSRC2:TGID_Y_EN: 0
; COMPUTE_PGM_RSRC2:TGID_Z_EN: 0
; COMPUTE_PGM_RSRC2:TIDIG_COMP_CNT: 0
; COMPUTE_PGM_RSRC3_GFX90A:ACCUM_OFFSET: 5
; COMPUTE_PGM_RSRC3_GFX90A:TG_SPLIT: 0
	.section	.text._ZN9rocsparseL37gebsr2csr_block_per_row_33_128_kernelILi1024ELi64ELi128ELi32ELi32E21rocsparse_complex_numIdEEEv20rocsparse_direction_ii21rocsparse_index_base_PKT4_PKiS9_iiS4_PS5_PiSB_,"axG",@progbits,_ZN9rocsparseL37gebsr2csr_block_per_row_33_128_kernelILi1024ELi64ELi128ELi32ELi32E21rocsparse_complex_numIdEEEv20rocsparse_direction_ii21rocsparse_index_base_PKT4_PKiS9_iiS4_PS5_PiSB_,comdat
	.globl	_ZN9rocsparseL37gebsr2csr_block_per_row_33_128_kernelILi1024ELi64ELi128ELi32ELi32E21rocsparse_complex_numIdEEEv20rocsparse_direction_ii21rocsparse_index_base_PKT4_PKiS9_iiS4_PS5_PiSB_ ; -- Begin function _ZN9rocsparseL37gebsr2csr_block_per_row_33_128_kernelILi1024ELi64ELi128ELi32ELi32E21rocsparse_complex_numIdEEEv20rocsparse_direction_ii21rocsparse_index_base_PKT4_PKiS9_iiS4_PS5_PiSB_
	.p2align	8
	.type	_ZN9rocsparseL37gebsr2csr_block_per_row_33_128_kernelILi1024ELi64ELi128ELi32ELi32E21rocsparse_complex_numIdEEEv20rocsparse_direction_ii21rocsparse_index_base_PKT4_PKiS9_iiS4_PS5_PiSB_,@function
_ZN9rocsparseL37gebsr2csr_block_per_row_33_128_kernelILi1024ELi64ELi128ELi32ELi32E21rocsparse_complex_numIdEEEv20rocsparse_direction_ii21rocsparse_index_base_PKT4_PKiS9_iiS4_PS5_PiSB_: ; @_ZN9rocsparseL37gebsr2csr_block_per_row_33_128_kernelILi1024ELi64ELi128ELi32ELi32E21rocsparse_complex_numIdEEEv20rocsparse_direction_ii21rocsparse_index_base_PKT4_PKiS9_iiS4_PS5_PiSB_
; %bb.0:
	s_load_dwordx2 s[0:1], s[4:5], 0x18
	s_load_dwordx4 s[12:15], s[4:5], 0x28
	s_load_dwordx2 s[8:9], s[4:5], 0x40
	s_ashr_i32 s7, s6, 31
	s_lshl_b64 s[2:3], s[6:7], 2
	s_waitcnt lgkmcnt(0)
	s_add_u32 s0, s0, s2
	s_addc_u32 s1, s1, s3
	s_load_dwordx2 s[34:35], s[0:1], 0x0
	v_or_b32_e32 v1, s6, v0
	v_cmp_eq_u32_e32 vcc, 0, v1
	s_and_saveexec_b64 s[0:1], vcc
	s_cbranch_execz .LBB188_2
; %bb.1:
	v_mov_b32_e32 v1, 0
	v_mov_b32_e32 v2, s14
	global_store_dword v1, v2, s[8:9]
.LBB188_2:
	s_or_b64 exec, exec, s[0:1]
	s_load_dword s15, s[4:5], 0xc
	v_lshrrev_b32_e32 v6, 5, v0
	s_mul_i32 s11, s6, s12
	s_waitcnt lgkmcnt(0)
	s_sub_i32 s16, s34, s15
	s_sub_i32 s33, s35, s15
	s_mul_i32 s17, s16, s13
	s_sub_i32 s10, s33, s16
	s_mul_i32 s0, s17, s12
	s_mul_i32 s18, s10, s13
	s_add_i32 s19, s0, s14
	s_add_i32 s19, s19, s18
	v_cmp_gt_i32_e64 s[0:1], s12, v6
	s_and_saveexec_b64 s[2:3], s[0:1]
	s_cbranch_execz .LBB188_4
; %bb.3:
	v_add_u32_e32 v2, s11, v6
	v_ashrrev_i32_e32 v3, 31, v2
	v_lshlrev_b64 v[2:3], 2, v[2:3]
	v_mul_lo_u32 v1, v6, s18
	v_mov_b32_e32 v4, s9
	v_add_co_u32_e32 v2, vcc, s8, v2
	v_add_u32_e32 v1, s19, v1
	v_addc_co_u32_e32 v3, vcc, v4, v3, vcc
	global_store_dword v[2:3], v1, off offset:4
.LBB188_4:
	s_or_b64 exec, exec, s[2:3]
	v_or_b32_e32 v1, 32, v6
	v_cmp_gt_i32_e64 s[2:3], s12, v1
	s_and_saveexec_b64 s[6:7], s[2:3]
	s_cbranch_execz .LBB188_6
; %bb.5:
	s_add_u32 s8, s8, 4
	s_addc_u32 s9, s9, 0
	v_mul_lo_u32 v1, v1, s18
	s_ashr_i32 s18, s11, 31
	v_mov_b32_e32 v3, s18
	v_add_co_u32_e32 v2, vcc, s11, v6
	v_addc_co_u32_e32 v3, vcc, 0, v3, vcc
	v_lshlrev_b64 v[2:3], 2, v[2:3]
	v_mov_b32_e32 v4, s9
	v_add_co_u32_e32 v2, vcc, s8, v2
	v_add_u32_e32 v1, s19, v1
	v_addc_co_u32_e32 v3, vcc, v4, v3, vcc
	global_store_dword v[2:3], v1, off offset:128
.LBB188_6:
	s_or_b64 exec, exec, s[6:7]
	s_cmp_lt_i32 s34, s35
	s_cbranch_scc0 .LBB188_25
; %bb.7:
	s_load_dwordx2 s[40:41], s[4:5], 0x20
	s_load_dwordx2 s[18:19], s[4:5], 0x38
	;; [unrolled: 1-line block ×3, first 2 shown]
	s_load_dword s6, s[4:5], 0x0
	s_load_dwordx2 s[22:23], s[4:5], 0x48
	v_and_b32_e32 v8, 31, v0
	v_or_b32_e32 v9, 32, v8
	v_or_b32_e32 v10, 64, v8
	;; [unrolled: 1-line block ×3, first 2 shown]
	s_waitcnt lgkmcnt(0)
	s_cmp_eq_u32 s6, 0
	v_mul_lo_u32 v14, v6, s10
	v_cmp_gt_i32_e64 s[4:5], s13, v8
	v_cmp_gt_i32_e64 s[6:7], s13, v9
	;; [unrolled: 1-line block ×4, first 2 shown]
	s_cselect_b64 vcc, -1, 0
	s_and_b64 s[24:25], s[0:1], s[4:5]
	s_and_b64 s[26:27], s[0:1], s[6:7]
	;; [unrolled: 1-line block ×8, first 2 shown]
	s_mul_i32 s10, s12, s16
	v_add_u32_e32 v0, s10, v6
	v_add_u32_e32 v7, s17, v8
	;; [unrolled: 1-line block ×3, first 2 shown]
	v_mul_lo_u32 v13, s13, v0
	v_add_u32_e32 v0, 0x60, v7
	v_mul_lo_u32 v12, s13, v1
	v_mad_u64_u32 v[0:1], s[0:1], s12, v0, v[6:7]
	v_add_u32_e32 v1, 64, v7
	v_mad_u64_u32 v[2:3], s[0:1], s12, v1, v[6:7]
	v_add_u32_e32 v1, 32, v7
	v_mad_u64_u32 v[4:5], s[0:1], s12, v1, v[6:7]
	v_mad_u64_u32 v[6:7], s[0:1], s12, v7, v[6:7]
	v_add_u32_e32 v3, s10, v14
	v_lshl_add_u32 v1, s35, 5, v3
	s_lshl_b32 s0, s34, 5
	s_ashr_i32 s17, s16, 31
	v_subrev_u32_e32 v1, s0, v1
	s_lshl_b64 s[0:1], s[16:17], 2
	s_add_u32 s10, s40, s0
	s_mul_i32 s36, s13, s12
	s_mov_b32 s37, 0
	s_movk_i32 s38, 0x60
	v_mul_lo_u32 v1, s13, v1
	v_mul_lo_u32 v3, s13, v3
	s_addc_u32 s11, s41, s1
	s_branch .LBB188_9
.LBB188_8:                              ;   in Loop: Header=BB188_9 Depth=1
	s_or_b64 exec, exec, s[34:35]
	s_add_i32 s16, s16, 1
	s_add_i32 s37, s37, s36
	s_add_u32 s10, s10, 4
	s_addc_u32 s11, s11, 0
	v_add_u32_e32 v12, s36, v12
	v_add_u32_e32 v13, s36, v13
	;; [unrolled: 1-line block ×3, first 2 shown]
	s_cmp_ge_i32 s16, s33
	v_add_u32_e32 v3, s13, v3
	s_cbranch_scc1 .LBB188_25
.LBB188_9:                              ; =>This Inner Loop Header: Depth=1
	s_load_dword s0, s[10:11], 0x0
	s_waitcnt lgkmcnt(0)
	s_sub_i32 s0, s0, s15
	s_mul_i32 s12, s0, s13
	s_add_i32 s12, s12, s14
	v_add_u32_e32 v5, s12, v8
	s_and_saveexec_b64 s[34:35], s[24:25]
	s_cbranch_execz .LBB188_11
; %bb.10:                               ;   in Loop: Header=BB188_9 Depth=1
	v_add_u32_e32 v7, v8, v13
	v_add_u32_e32 v14, s37, v6
	v_cndmask_b32_e32 v14, v14, v7, vcc
	v_ashrrev_i32_e32 v15, 31, v14
	v_lshlrev_b64 v[14:15], 4, v[14:15]
	v_mov_b32_e32 v7, s21
	v_add_co_u32_e64 v14, s[0:1], s20, v14
	v_addc_co_u32_e64 v15, s[0:1], v7, v15, s[0:1]
	global_load_dwordx4 v[14:17], v[14:15], off
	v_add_u32_e32 v18, v8, v3
	v_ashrrev_i32_e32 v19, 31, v18
	v_lshlrev_b64 v[20:21], 2, v[18:19]
	v_mov_b32_e32 v7, s23
	v_add_co_u32_e64 v20, s[0:1], s22, v20
	v_addc_co_u32_e64 v21, s[0:1], v7, v21, s[0:1]
	v_lshlrev_b64 v[18:19], 4, v[18:19]
	v_mov_b32_e32 v7, s19
	v_add_co_u32_e64 v18, s[0:1], s18, v18
	v_addc_co_u32_e64 v19, s[0:1], v7, v19, s[0:1]
	global_store_dword v[20:21], v5, off
	s_waitcnt vmcnt(1)
	global_store_dwordx4 v[18:19], v[14:17], off
.LBB188_11:                             ;   in Loop: Header=BB188_9 Depth=1
	s_or_b64 exec, exec, s[34:35]
	v_add_u32_e32 v7, s12, v9
	v_add_u32_e32 v16, s37, v4
	s_and_saveexec_b64 s[34:35], s[26:27]
	s_cbranch_execnz .LBB188_18
; %bb.12:                               ;   in Loop: Header=BB188_9 Depth=1
	s_or_b64 exec, exec, s[34:35]
	v_add_u32_e32 v14, s12, v10
	s_and_saveexec_b64 s[34:35], s[28:29]
	s_cbranch_execnz .LBB188_19
.LBB188_13:                             ;   in Loop: Header=BB188_9 Depth=1
	s_or_b64 exec, exec, s[34:35]
	v_add_u32_e32 v15, s12, v11
	s_and_saveexec_b64 s[34:35], s[30:31]
	s_cbranch_execnz .LBB188_20
.LBB188_14:                             ;   in Loop: Header=BB188_9 Depth=1
	s_or_b64 exec, exec, s[34:35]
	v_add_u32_e32 v17, v8, v12
	s_and_saveexec_b64 s[34:35], s[4:5]
	s_cbranch_execnz .LBB188_21
.LBB188_15:                             ;   in Loop: Header=BB188_9 Depth=1
	s_or_b64 exec, exec, s[34:35]
	s_and_saveexec_b64 s[34:35], s[6:7]
	s_cbranch_execnz .LBB188_22
.LBB188_16:                             ;   in Loop: Header=BB188_9 Depth=1
	s_or_b64 exec, exec, s[34:35]
	s_and_saveexec_b64 s[34:35], s[8:9]
	s_cbranch_execnz .LBB188_23
.LBB188_17:                             ;   in Loop: Header=BB188_9 Depth=1
	s_or_b64 exec, exec, s[34:35]
	s_and_saveexec_b64 s[34:35], s[2:3]
	s_cbranch_execz .LBB188_8
	s_branch .LBB188_24
.LBB188_18:                             ;   in Loop: Header=BB188_9 Depth=1
	v_add3_u32 v14, v8, v13, 32
	v_cndmask_b32_e32 v14, v16, v14, vcc
	v_ashrrev_i32_e32 v15, 31, v14
	v_lshlrev_b64 v[14:15], 4, v[14:15]
	v_mov_b32_e32 v17, s21
	v_add_co_u32_e64 v14, s[0:1], s20, v14
	v_addc_co_u32_e64 v15, s[0:1], v17, v15, s[0:1]
	global_load_dwordx4 v[18:21], v[14:15], off
	v_add3_u32 v14, v8, v3, 32
	v_ashrrev_i32_e32 v15, 31, v14
	v_lshlrev_b64 v[22:23], 2, v[14:15]
	v_mov_b32_e32 v17, s23
	v_add_co_u32_e64 v22, s[0:1], s22, v22
	v_addc_co_u32_e64 v23, s[0:1], v17, v23, s[0:1]
	v_lshlrev_b64 v[14:15], 4, v[14:15]
	v_mov_b32_e32 v17, s19
	v_add_co_u32_e64 v14, s[0:1], s18, v14
	v_addc_co_u32_e64 v15, s[0:1], v17, v15, s[0:1]
	global_store_dword v[22:23], v7, off
	s_waitcnt vmcnt(1)
	global_store_dwordx4 v[14:15], v[18:21], off
	s_or_b64 exec, exec, s[34:35]
	v_add_u32_e32 v14, s12, v10
	s_and_saveexec_b64 s[34:35], s[28:29]
	s_cbranch_execz .LBB188_13
.LBB188_19:                             ;   in Loop: Header=BB188_9 Depth=1
	v_add3_u32 v15, v8, v13, 64
	v_add_u32_e32 v17, s37, v2
	v_cndmask_b32_e32 v18, v17, v15, vcc
	v_ashrrev_i32_e32 v19, 31, v18
	v_lshlrev_b64 v[18:19], 4, v[18:19]
	v_mov_b32_e32 v15, s21
	v_add_co_u32_e64 v18, s[0:1], s20, v18
	v_addc_co_u32_e64 v19, s[0:1], v15, v19, s[0:1]
	global_load_dwordx4 v[18:21], v[18:19], off
	v_add3_u32 v22, v8, v3, 64
	v_ashrrev_i32_e32 v23, 31, v22
	v_lshlrev_b64 v[24:25], 2, v[22:23]
	v_mov_b32_e32 v15, s23
	v_add_co_u32_e64 v24, s[0:1], s22, v24
	v_addc_co_u32_e64 v25, s[0:1], v15, v25, s[0:1]
	v_lshlrev_b64 v[22:23], 4, v[22:23]
	v_mov_b32_e32 v15, s19
	v_add_co_u32_e64 v22, s[0:1], s18, v22
	v_addc_co_u32_e64 v23, s[0:1], v15, v23, s[0:1]
	global_store_dword v[24:25], v14, off
	s_waitcnt vmcnt(1)
	global_store_dwordx4 v[22:23], v[18:21], off
	s_or_b64 exec, exec, s[34:35]
	v_add_u32_e32 v15, s12, v11
	s_and_saveexec_b64 s[34:35], s[30:31]
	s_cbranch_execz .LBB188_14
.LBB188_20:                             ;   in Loop: Header=BB188_9 Depth=1
	v_add3_u32 v17, v8, v13, s38
	v_add_u32_e32 v18, s37, v0
	v_cndmask_b32_e32 v18, v18, v17, vcc
	v_ashrrev_i32_e32 v19, 31, v18
	v_lshlrev_b64 v[18:19], 4, v[18:19]
	v_mov_b32_e32 v17, s21
	v_add_co_u32_e64 v18, s[0:1], s20, v18
	v_addc_co_u32_e64 v19, s[0:1], v17, v19, s[0:1]
	global_load_dwordx4 v[18:21], v[18:19], off
	v_add3_u32 v22, v8, v3, s38
	v_ashrrev_i32_e32 v23, 31, v22
	v_lshlrev_b64 v[24:25], 2, v[22:23]
	v_mov_b32_e32 v17, s23
	v_add_co_u32_e64 v24, s[0:1], s22, v24
	v_addc_co_u32_e64 v25, s[0:1], v17, v25, s[0:1]
	v_lshlrev_b64 v[22:23], 4, v[22:23]
	v_mov_b32_e32 v17, s19
	v_add_co_u32_e64 v22, s[0:1], s18, v22
	v_addc_co_u32_e64 v23, s[0:1], v17, v23, s[0:1]
	global_store_dword v[24:25], v15, off
	s_waitcnt vmcnt(1)
	global_store_dwordx4 v[22:23], v[18:21], off
	s_or_b64 exec, exec, s[34:35]
	v_add_u32_e32 v17, v8, v12
	s_and_saveexec_b64 s[34:35], s[4:5]
	s_cbranch_execz .LBB188_15
.LBB188_21:                             ;   in Loop: Header=BB188_9 Depth=1
	v_add3_u32 v18, v6, s37, 32
	v_cndmask_b32_e32 v18, v18, v17, vcc
	v_ashrrev_i32_e32 v19, 31, v18
	v_lshlrev_b64 v[18:19], 4, v[18:19]
	v_mov_b32_e32 v20, s21
	v_add_co_u32_e64 v18, s[0:1], s20, v18
	v_addc_co_u32_e64 v19, s[0:1], v20, v19, s[0:1]
	global_load_dwordx4 v[18:21], v[18:19], off
	v_add_u32_e32 v22, v8, v1
	v_ashrrev_i32_e32 v23, 31, v22
	v_lshlrev_b64 v[24:25], 2, v[22:23]
	v_mov_b32_e32 v26, s23
	v_add_co_u32_e64 v24, s[0:1], s22, v24
	v_addc_co_u32_e64 v25, s[0:1], v26, v25, s[0:1]
	v_lshlrev_b64 v[22:23], 4, v[22:23]
	global_store_dword v[24:25], v5, off
	v_mov_b32_e32 v5, s19
	v_add_co_u32_e64 v22, s[0:1], s18, v22
	v_addc_co_u32_e64 v23, s[0:1], v5, v23, s[0:1]
	s_waitcnt vmcnt(1)
	global_store_dwordx4 v[22:23], v[18:21], off
	s_or_b64 exec, exec, s[34:35]
	s_and_saveexec_b64 s[34:35], s[6:7]
	s_cbranch_execz .LBB188_16
.LBB188_22:                             ;   in Loop: Header=BB188_9 Depth=1
	v_cndmask_b32_e32 v5, v16, v17, vcc
	v_add_u32_e32 v16, 32, v5
	v_ashrrev_i32_e32 v17, 31, v16
	v_lshlrev_b64 v[16:17], 4, v[16:17]
	v_mov_b32_e32 v5, s21
	v_add_co_u32_e64 v16, s[0:1], s20, v16
	v_addc_co_u32_e64 v17, s[0:1], v5, v17, s[0:1]
	global_load_dwordx4 v[16:19], v[16:17], off
	v_add3_u32 v20, v8, v1, 32
	v_ashrrev_i32_e32 v21, 31, v20
	v_lshlrev_b64 v[22:23], 2, v[20:21]
	v_mov_b32_e32 v5, s23
	v_add_co_u32_e64 v22, s[0:1], s22, v22
	v_addc_co_u32_e64 v23, s[0:1], v5, v23, s[0:1]
	v_lshlrev_b64 v[20:21], 4, v[20:21]
	v_mov_b32_e32 v5, s19
	v_add_co_u32_e64 v20, s[0:1], s18, v20
	v_addc_co_u32_e64 v21, s[0:1], v5, v21, s[0:1]
	global_store_dword v[22:23], v7, off
	s_waitcnt vmcnt(1)
	global_store_dwordx4 v[20:21], v[16:19], off
	s_or_b64 exec, exec, s[34:35]
	s_and_saveexec_b64 s[34:35], s[8:9]
	s_cbranch_execz .LBB188_17
.LBB188_23:                             ;   in Loop: Header=BB188_9 Depth=1
	v_add3_u32 v5, v8, v12, 64
	v_add3_u32 v7, v2, s37, 32
	v_cndmask_b32_e32 v16, v7, v5, vcc
	v_ashrrev_i32_e32 v17, 31, v16
	v_lshlrev_b64 v[16:17], 4, v[16:17]
	v_mov_b32_e32 v5, s21
	v_add_co_u32_e64 v16, s[0:1], s20, v16
	v_addc_co_u32_e64 v17, s[0:1], v5, v17, s[0:1]
	global_load_dwordx4 v[16:19], v[16:17], off
	v_add3_u32 v20, v8, v1, 64
	v_ashrrev_i32_e32 v21, 31, v20
	v_lshlrev_b64 v[22:23], 2, v[20:21]
	v_mov_b32_e32 v5, s23
	v_add_co_u32_e64 v22, s[0:1], s22, v22
	v_addc_co_u32_e64 v23, s[0:1], v5, v23, s[0:1]
	v_lshlrev_b64 v[20:21], 4, v[20:21]
	v_mov_b32_e32 v5, s19
	v_add_co_u32_e64 v20, s[0:1], s18, v20
	v_addc_co_u32_e64 v21, s[0:1], v5, v21, s[0:1]
	global_store_dword v[22:23], v14, off
	s_waitcnt vmcnt(1)
	global_store_dwordx4 v[20:21], v[16:19], off
	s_or_b64 exec, exec, s[34:35]
	s_and_saveexec_b64 s[34:35], s[2:3]
	s_cbranch_execz .LBB188_8
.LBB188_24:                             ;   in Loop: Header=BB188_9 Depth=1
	v_add3_u32 v5, v8, v12, s38
	v_add3_u32 v7, v0, s37, 32
	v_cndmask_b32_e32 v16, v7, v5, vcc
	v_ashrrev_i32_e32 v17, 31, v16
	v_lshlrev_b64 v[16:17], 4, v[16:17]
	v_mov_b32_e32 v5, s21
	v_add_co_u32_e64 v16, s[0:1], s20, v16
	v_addc_co_u32_e64 v17, s[0:1], v5, v17, s[0:1]
	global_load_dwordx4 v[16:19], v[16:17], off
	v_add3_u32 v20, v8, v1, s38
	v_ashrrev_i32_e32 v21, 31, v20
	v_lshlrev_b64 v[22:23], 2, v[20:21]
	v_mov_b32_e32 v5, s23
	v_add_co_u32_e64 v22, s[0:1], s22, v22
	v_addc_co_u32_e64 v23, s[0:1], v5, v23, s[0:1]
	global_store_dword v[22:23], v15, off
	v_lshlrev_b64 v[14:15], 4, v[20:21]
	v_mov_b32_e32 v5, s19
	v_add_co_u32_e64 v14, s[0:1], s18, v14
	v_addc_co_u32_e64 v15, s[0:1], v5, v15, s[0:1]
	s_waitcnt vmcnt(1)
	global_store_dwordx4 v[14:15], v[16:19], off
	s_branch .LBB188_8
.LBB188_25:
	s_endpgm
	.section	.rodata,"a",@progbits
	.p2align	6, 0x0
	.amdhsa_kernel _ZN9rocsparseL37gebsr2csr_block_per_row_33_128_kernelILi1024ELi64ELi128ELi32ELi32E21rocsparse_complex_numIdEEEv20rocsparse_direction_ii21rocsparse_index_base_PKT4_PKiS9_iiS4_PS5_PiSB_
		.amdhsa_group_segment_fixed_size 0
		.amdhsa_private_segment_fixed_size 0
		.amdhsa_kernarg_size 80
		.amdhsa_user_sgpr_count 6
		.amdhsa_user_sgpr_private_segment_buffer 1
		.amdhsa_user_sgpr_dispatch_ptr 0
		.amdhsa_user_sgpr_queue_ptr 0
		.amdhsa_user_sgpr_kernarg_segment_ptr 1
		.amdhsa_user_sgpr_dispatch_id 0
		.amdhsa_user_sgpr_flat_scratch_init 0
		.amdhsa_user_sgpr_kernarg_preload_length 0
		.amdhsa_user_sgpr_kernarg_preload_offset 0
		.amdhsa_user_sgpr_private_segment_size 0
		.amdhsa_uses_dynamic_stack 0
		.amdhsa_system_sgpr_private_segment_wavefront_offset 0
		.amdhsa_system_sgpr_workgroup_id_x 1
		.amdhsa_system_sgpr_workgroup_id_y 0
		.amdhsa_system_sgpr_workgroup_id_z 0
		.amdhsa_system_sgpr_workgroup_info 0
		.amdhsa_system_vgpr_workitem_id 0
		.amdhsa_next_free_vgpr 27
		.amdhsa_next_free_sgpr 42
		.amdhsa_accum_offset 28
		.amdhsa_reserve_vcc 1
		.amdhsa_reserve_flat_scratch 0
		.amdhsa_float_round_mode_32 0
		.amdhsa_float_round_mode_16_64 0
		.amdhsa_float_denorm_mode_32 3
		.amdhsa_float_denorm_mode_16_64 3
		.amdhsa_dx10_clamp 1
		.amdhsa_ieee_mode 1
		.amdhsa_fp16_overflow 0
		.amdhsa_tg_split 0
		.amdhsa_exception_fp_ieee_invalid_op 0
		.amdhsa_exception_fp_denorm_src 0
		.amdhsa_exception_fp_ieee_div_zero 0
		.amdhsa_exception_fp_ieee_overflow 0
		.amdhsa_exception_fp_ieee_underflow 0
		.amdhsa_exception_fp_ieee_inexact 0
		.amdhsa_exception_int_div_zero 0
	.end_amdhsa_kernel
	.section	.text._ZN9rocsparseL37gebsr2csr_block_per_row_33_128_kernelILi1024ELi64ELi128ELi32ELi32E21rocsparse_complex_numIdEEEv20rocsparse_direction_ii21rocsparse_index_base_PKT4_PKiS9_iiS4_PS5_PiSB_,"axG",@progbits,_ZN9rocsparseL37gebsr2csr_block_per_row_33_128_kernelILi1024ELi64ELi128ELi32ELi32E21rocsparse_complex_numIdEEEv20rocsparse_direction_ii21rocsparse_index_base_PKT4_PKiS9_iiS4_PS5_PiSB_,comdat
.Lfunc_end188:
	.size	_ZN9rocsparseL37gebsr2csr_block_per_row_33_128_kernelILi1024ELi64ELi128ELi32ELi32E21rocsparse_complex_numIdEEEv20rocsparse_direction_ii21rocsparse_index_base_PKT4_PKiS9_iiS4_PS5_PiSB_, .Lfunc_end188-_ZN9rocsparseL37gebsr2csr_block_per_row_33_128_kernelILi1024ELi64ELi128ELi32ELi32E21rocsparse_complex_numIdEEEv20rocsparse_direction_ii21rocsparse_index_base_PKT4_PKiS9_iiS4_PS5_PiSB_
                                        ; -- End function
	.section	.AMDGPU.csdata,"",@progbits
; Kernel info:
; codeLenInByte = 2008
; NumSgprs: 46
; NumVgprs: 27
; NumAgprs: 0
; TotalNumVgprs: 27
; ScratchSize: 0
; MemoryBound: 0
; FloatMode: 240
; IeeeMode: 1
; LDSByteSize: 0 bytes/workgroup (compile time only)
; SGPRBlocks: 5
; VGPRBlocks: 3
; NumSGPRsForWavesPerEU: 46
; NumVGPRsForWavesPerEU: 27
; AccumOffset: 28
; Occupancy: 8
; WaveLimiterHint : 0
; COMPUTE_PGM_RSRC2:SCRATCH_EN: 0
; COMPUTE_PGM_RSRC2:USER_SGPR: 6
; COMPUTE_PGM_RSRC2:TRAP_HANDLER: 0
; COMPUTE_PGM_RSRC2:TGID_X_EN: 1
; COMPUTE_PGM_RSRC2:TGID_Y_EN: 0
; COMPUTE_PGM_RSRC2:TGID_Z_EN: 0
; COMPUTE_PGM_RSRC2:TIDIG_COMP_CNT: 0
; COMPUTE_PGM_RSRC3_GFX90A:ACCUM_OFFSET: 6
; COMPUTE_PGM_RSRC3_GFX90A:TG_SPLIT: 0
	.section	.text._ZN9rocsparseL37gebsr2csr_block_per_row_33_128_kernelILi1024ELi128ELi2ELi32ELi2E21rocsparse_complex_numIdEEEv20rocsparse_direction_ii21rocsparse_index_base_PKT4_PKiS9_iiS4_PS5_PiSB_,"axG",@progbits,_ZN9rocsparseL37gebsr2csr_block_per_row_33_128_kernelILi1024ELi128ELi2ELi32ELi2E21rocsparse_complex_numIdEEEv20rocsparse_direction_ii21rocsparse_index_base_PKT4_PKiS9_iiS4_PS5_PiSB_,comdat
	.globl	_ZN9rocsparseL37gebsr2csr_block_per_row_33_128_kernelILi1024ELi128ELi2ELi32ELi2E21rocsparse_complex_numIdEEEv20rocsparse_direction_ii21rocsparse_index_base_PKT4_PKiS9_iiS4_PS5_PiSB_ ; -- Begin function _ZN9rocsparseL37gebsr2csr_block_per_row_33_128_kernelILi1024ELi128ELi2ELi32ELi2E21rocsparse_complex_numIdEEEv20rocsparse_direction_ii21rocsparse_index_base_PKT4_PKiS9_iiS4_PS5_PiSB_
	.p2align	8
	.type	_ZN9rocsparseL37gebsr2csr_block_per_row_33_128_kernelILi1024ELi128ELi2ELi32ELi2E21rocsparse_complex_numIdEEEv20rocsparse_direction_ii21rocsparse_index_base_PKT4_PKiS9_iiS4_PS5_PiSB_,@function
_ZN9rocsparseL37gebsr2csr_block_per_row_33_128_kernelILi1024ELi128ELi2ELi32ELi2E21rocsparse_complex_numIdEEEv20rocsparse_direction_ii21rocsparse_index_base_PKT4_PKiS9_iiS4_PS5_PiSB_: ; @_ZN9rocsparseL37gebsr2csr_block_per_row_33_128_kernelILi1024ELi128ELi2ELi32ELi2E21rocsparse_complex_numIdEEEv20rocsparse_direction_ii21rocsparse_index_base_PKT4_PKiS9_iiS4_PS5_PiSB_
; %bb.0:
	s_load_dwordx2 s[0:1], s[4:5], 0x18
	s_load_dwordx4 s[12:15], s[4:5], 0x28
	s_load_dwordx2 s[2:3], s[4:5], 0x40
	s_ashr_i32 s7, s6, 31
	s_lshl_b64 s[8:9], s[6:7], 2
	s_waitcnt lgkmcnt(0)
	s_add_u32 s0, s0, s8
	s_addc_u32 s1, s1, s9
	s_load_dwordx2 s[22:23], s[0:1], 0x0
	v_or_b32_e32 v1, s6, v0
	v_cmp_eq_u32_e32 vcc, 0, v1
	s_and_saveexec_b64 s[0:1], vcc
	s_cbranch_execz .LBB189_2
; %bb.1:
	v_mov_b32_e32 v1, 0
	v_mov_b32_e32 v2, s14
	global_store_dword v1, v2, s[2:3]
.LBB189_2:
	s_or_b64 exec, exec, s[0:1]
	s_load_dword s24, s[4:5], 0xc
	v_lshrrev_b32_e32 v2, 1, v0
	s_mul_i32 s15, s6, s12
	s_waitcnt lgkmcnt(0)
	s_sub_i32 s10, s22, s24
	s_sub_i32 s25, s23, s24
	s_mul_i32 s11, s10, s13
	s_sub_i32 s27, s25, s10
	s_mul_i32 s0, s11, s12
	s_mul_i32 s18, s27, s13
	s_add_i32 s19, s0, s14
	s_add_i32 s19, s19, s18
	v_cmp_gt_i32_e64 s[0:1], s12, v2
	s_and_saveexec_b64 s[6:7], s[0:1]
	s_cbranch_execz .LBB189_4
; %bb.3:
	v_add_u32_e32 v4, s15, v2
	v_ashrrev_i32_e32 v5, 31, v4
	v_lshlrev_b64 v[4:5], 2, v[4:5]
	v_mul_lo_u32 v1, v2, s18
	v_mov_b32_e32 v3, s3
	v_add_co_u32_e32 v4, vcc, s2, v4
	v_add_u32_e32 v1, s19, v1
	v_addc_co_u32_e32 v5, vcc, v3, v5, vcc
	global_store_dword v[4:5], v1, off offset:4
.LBB189_4:
	s_or_b64 exec, exec, s[6:7]
	s_add_u32 s20, s2, 4
	v_add_u32_e32 v1, 32, v2
	s_addc_u32 s21, s3, 0
	v_cmp_gt_i32_e64 s[2:3], s12, v1
	s_and_saveexec_b64 s[6:7], s[2:3]
	s_cbranch_execz .LBB189_6
; %bb.5:
	s_ashr_i32 s8, s15, 31
	v_mov_b32_e32 v3, s8
	v_add_co_u32_e32 v4, vcc, s15, v2
	v_addc_co_u32_e32 v5, vcc, 0, v3, vcc
	v_lshlrev_b64 v[4:5], 2, v[4:5]
	v_mul_lo_u32 v1, v1, s18
	v_mov_b32_e32 v3, s21
	v_add_co_u32_e32 v4, vcc, s20, v4
	v_add_u32_e32 v1, s19, v1
	v_addc_co_u32_e32 v5, vcc, v3, v5, vcc
	global_store_dword v[4:5], v1, off offset:128
.LBB189_6:
	s_or_b64 exec, exec, s[6:7]
	v_add_u32_e32 v1, 64, v2
	v_cmp_gt_i32_e64 s[6:7], s12, v1
	s_and_saveexec_b64 s[8:9], s[6:7]
	s_cbranch_execz .LBB189_8
; %bb.7:
	s_ashr_i32 s16, s15, 31
	v_mov_b32_e32 v3, s16
	v_add_co_u32_e32 v4, vcc, s15, v2
	v_addc_co_u32_e32 v5, vcc, 0, v3, vcc
	v_lshlrev_b64 v[4:5], 2, v[4:5]
	v_mul_lo_u32 v1, v1, s18
	v_mov_b32_e32 v3, s21
	v_add_co_u32_e32 v4, vcc, s20, v4
	v_add_u32_e32 v1, s19, v1
	v_addc_co_u32_e32 v5, vcc, v3, v5, vcc
	global_store_dword v[4:5], v1, off offset:256
.LBB189_8:
	s_or_b64 exec, exec, s[8:9]
	v_add_u32_e32 v1, 0x60, v2
	v_cmp_gt_i32_e64 s[8:9], s12, v1
	s_and_saveexec_b64 s[16:17], s[8:9]
	s_cbranch_execz .LBB189_10
; %bb.9:
	v_mul_lo_u32 v1, v1, s18
	s_ashr_i32 s18, s15, 31
	v_mov_b32_e32 v3, s18
	v_add_co_u32_e32 v4, vcc, s15, v2
	v_addc_co_u32_e32 v5, vcc, 0, v3, vcc
	v_lshlrev_b64 v[4:5], 2, v[4:5]
	v_mov_b32_e32 v3, s21
	v_add_co_u32_e32 v4, vcc, s20, v4
	v_add_u32_e32 v1, s19, v1
	v_addc_co_u32_e32 v5, vcc, v3, v5, vcc
	global_store_dword v[4:5], v1, off offset:384
.LBB189_10:
	s_or_b64 exec, exec, s[16:17]
	s_cmp_lt_i32 s22, s23
	s_cbranch_scc0 .LBB189_21
; %bb.11:
	s_load_dwordx2 s[28:29], s[4:5], 0x20
	s_load_dwordx2 s[16:17], s[4:5], 0x38
	;; [unrolled: 1-line block ×4, first 2 shown]
	s_load_dword s15, s[4:5], 0x0
	v_and_b32_e32 v3, 1, v0
	v_cmp_gt_i32_e64 s[4:5], s13, v3
	v_add_u32_e32 v4, s14, v3
	v_mul_lo_u32 v9, v2, s27
	s_waitcnt lgkmcnt(0)
	s_cmp_eq_u32 s15, 0
	s_cselect_b64 vcc, -1, 0
	s_and_b64 s[14:15], s[4:5], s[0:1]
	s_and_b64 s[2:3], s[4:5], s[2:3]
	;; [unrolled: 1-line block ×4, first 2 shown]
	s_mul_i32 s8, s12, s10
	v_add_u32_e32 v0, s8, v2
	v_add_u32_e32 v1, 0x60, v0
	v_mul_lo_u32 v5, s13, v1
	v_add_u32_e32 v1, 64, v0
	v_mul_lo_u32 v6, s13, v1
	;; [unrolled: 2-line block ×4, first 2 shown]
	v_mad_u64_u32 v[0:1], s[0:1], s12, v0, v[2:3]
	v_add_u32_e32 v10, s8, v9
	s_mul_i32 s0, s23, 0x60
	v_add_u32_e32 v1, s0, v10
	s_mul_i32 s0, s22, 0x60
	v_subrev_u32_e32 v1, s0, v1
	v_lshl_add_u32 v2, s23, 6, v10
	s_lshl_b32 s0, s22, 6
	v_subrev_u32_e32 v2, s0, v2
	v_lshl_add_u32 v9, s23, 5, v10
	s_lshl_b32 s0, s22, 5
	s_ashr_i32 s11, s10, 31
	v_subrev_u32_e32 v9, s0, v9
	s_lshl_b64 s[0:1], s[10:11], 2
	s_add_u32 s8, s28, s0
	s_mul_i32 s26, s13, s12
	v_mul_lo_u32 v1, s13, v1
	v_mul_lo_u32 v2, s13, v2
	;; [unrolled: 1-line block ×4, first 2 shown]
	s_addc_u32 s9, s29, s1
	s_branch .LBB189_13
.LBB189_12:                             ;   in Loop: Header=BB189_13 Depth=1
	s_or_b64 exec, exec, s[22:23]
	s_add_i32 s10, s10, 1
	s_add_u32 s8, s8, 4
	s_addc_u32 s9, s9, 0
	v_add_u32_e32 v5, s26, v5
	v_add_u32_e32 v6, s26, v6
	;; [unrolled: 1-line block ×8, first 2 shown]
	s_cmp_ge_i32 s10, s25
	v_add_u32_e32 v10, s13, v10
	s_cbranch_scc1 .LBB189_21
.LBB189_13:                             ; =>This Inner Loop Header: Depth=1
	s_load_dword s0, s[8:9], 0x0
	s_waitcnt lgkmcnt(0)
	s_sub_i32 s0, s0, s24
	s_mul_i32 s0, s0, s13
	v_add_u32_e32 v11, s0, v4
	s_and_saveexec_b64 s[22:23], s[14:15]
	s_cbranch_execnz .LBB189_17
; %bb.14:                               ;   in Loop: Header=BB189_13 Depth=1
	s_or_b64 exec, exec, s[22:23]
	s_and_saveexec_b64 s[22:23], s[2:3]
	s_cbranch_execnz .LBB189_18
.LBB189_15:                             ;   in Loop: Header=BB189_13 Depth=1
	s_or_b64 exec, exec, s[22:23]
	s_and_saveexec_b64 s[22:23], s[6:7]
	s_cbranch_execnz .LBB189_19
.LBB189_16:                             ;   in Loop: Header=BB189_13 Depth=1
	s_or_b64 exec, exec, s[22:23]
	s_and_saveexec_b64 s[22:23], s[4:5]
	s_cbranch_execz .LBB189_12
	s_branch .LBB189_20
.LBB189_17:                             ;   in Loop: Header=BB189_13 Depth=1
	v_add_u32_e32 v12, v3, v8
	v_cndmask_b32_e32 v12, v0, v12, vcc
	v_ashrrev_i32_e32 v13, 31, v12
	v_lshlrev_b64 v[12:13], 4, v[12:13]
	v_mov_b32_e32 v14, s21
	v_add_co_u32_e64 v12, s[0:1], s20, v12
	v_addc_co_u32_e64 v13, s[0:1], v14, v13, s[0:1]
	global_load_dwordx4 v[12:15], v[12:13], off
	v_add_u32_e32 v16, v3, v10
	v_ashrrev_i32_e32 v17, 31, v16
	v_lshlrev_b64 v[18:19], 2, v[16:17]
	v_mov_b32_e32 v20, s19
	v_add_co_u32_e64 v18, s[0:1], s18, v18
	v_addc_co_u32_e64 v19, s[0:1], v20, v19, s[0:1]
	v_lshlrev_b64 v[16:17], 4, v[16:17]
	global_store_dword v[18:19], v11, off
	v_mov_b32_e32 v18, s17
	v_add_co_u32_e64 v16, s[0:1], s16, v16
	v_addc_co_u32_e64 v17, s[0:1], v18, v17, s[0:1]
	s_waitcnt vmcnt(1)
	global_store_dwordx4 v[16:17], v[12:15], off
	s_or_b64 exec, exec, s[22:23]
	s_and_saveexec_b64 s[22:23], s[2:3]
	s_cbranch_execz .LBB189_15
.LBB189_18:                             ;   in Loop: Header=BB189_13 Depth=1
	v_add_u32_e32 v12, v3, v7
	v_add_u32_e32 v13, 32, v0
	v_cndmask_b32_e32 v12, v13, v12, vcc
	v_ashrrev_i32_e32 v13, 31, v12
	v_lshlrev_b64 v[12:13], 4, v[12:13]
	v_mov_b32_e32 v14, s21
	v_add_co_u32_e64 v12, s[0:1], s20, v12
	v_addc_co_u32_e64 v13, s[0:1], v14, v13, s[0:1]
	global_load_dwordx4 v[12:15], v[12:13], off
	v_add_u32_e32 v16, v3, v9
	v_ashrrev_i32_e32 v17, 31, v16
	v_lshlrev_b64 v[18:19], 2, v[16:17]
	v_mov_b32_e32 v20, s19
	v_add_co_u32_e64 v18, s[0:1], s18, v18
	v_addc_co_u32_e64 v19, s[0:1], v20, v19, s[0:1]
	v_lshlrev_b64 v[16:17], 4, v[16:17]
	global_store_dword v[18:19], v11, off
	v_mov_b32_e32 v18, s17
	v_add_co_u32_e64 v16, s[0:1], s16, v16
	v_addc_co_u32_e64 v17, s[0:1], v18, v17, s[0:1]
	s_waitcnt vmcnt(1)
	global_store_dwordx4 v[16:17], v[12:15], off
	s_or_b64 exec, exec, s[22:23]
	s_and_saveexec_b64 s[22:23], s[6:7]
	s_cbranch_execz .LBB189_16
.LBB189_19:                             ;   in Loop: Header=BB189_13 Depth=1
	v_add_u32_e32 v12, v3, v6
	v_add_u32_e32 v13, 64, v0
	v_cndmask_b32_e32 v12, v13, v12, vcc
	v_ashrrev_i32_e32 v13, 31, v12
	v_lshlrev_b64 v[12:13], 4, v[12:13]
	v_mov_b32_e32 v14, s21
	v_add_co_u32_e64 v12, s[0:1], s20, v12
	v_addc_co_u32_e64 v13, s[0:1], v14, v13, s[0:1]
	global_load_dwordx4 v[12:15], v[12:13], off
	v_add_u32_e32 v16, v3, v2
	v_ashrrev_i32_e32 v17, 31, v16
	v_lshlrev_b64 v[18:19], 2, v[16:17]
	v_mov_b32_e32 v20, s19
	v_add_co_u32_e64 v18, s[0:1], s18, v18
	v_addc_co_u32_e64 v19, s[0:1], v20, v19, s[0:1]
	v_lshlrev_b64 v[16:17], 4, v[16:17]
	global_store_dword v[18:19], v11, off
	v_mov_b32_e32 v18, s17
	v_add_co_u32_e64 v16, s[0:1], s16, v16
	v_addc_co_u32_e64 v17, s[0:1], v18, v17, s[0:1]
	s_waitcnt vmcnt(1)
	global_store_dwordx4 v[16:17], v[12:15], off
	s_or_b64 exec, exec, s[22:23]
	s_and_saveexec_b64 s[22:23], s[4:5]
	s_cbranch_execz .LBB189_12
.LBB189_20:                             ;   in Loop: Header=BB189_13 Depth=1
	v_add_u32_e32 v12, v3, v5
	v_add_u32_e32 v13, 0x60, v0
	v_cndmask_b32_e32 v12, v13, v12, vcc
	v_ashrrev_i32_e32 v13, 31, v12
	v_lshlrev_b64 v[12:13], 4, v[12:13]
	v_mov_b32_e32 v14, s21
	v_add_co_u32_e64 v12, s[0:1], s20, v12
	v_addc_co_u32_e64 v13, s[0:1], v14, v13, s[0:1]
	global_load_dwordx4 v[12:15], v[12:13], off
	v_add_u32_e32 v16, v3, v1
	v_ashrrev_i32_e32 v17, 31, v16
	v_lshlrev_b64 v[18:19], 2, v[16:17]
	v_mov_b32_e32 v20, s19
	v_add_co_u32_e64 v18, s[0:1], s18, v18
	v_addc_co_u32_e64 v19, s[0:1], v20, v19, s[0:1]
	v_lshlrev_b64 v[16:17], 4, v[16:17]
	global_store_dword v[18:19], v11, off
	v_mov_b32_e32 v11, s17
	v_add_co_u32_e64 v16, s[0:1], s16, v16
	v_addc_co_u32_e64 v17, s[0:1], v11, v17, s[0:1]
	s_waitcnt vmcnt(1)
	global_store_dwordx4 v[16:17], v[12:15], off
	s_branch .LBB189_12
.LBB189_21:
	s_endpgm
	.section	.rodata,"a",@progbits
	.p2align	6, 0x0
	.amdhsa_kernel _ZN9rocsparseL37gebsr2csr_block_per_row_33_128_kernelILi1024ELi128ELi2ELi32ELi2E21rocsparse_complex_numIdEEEv20rocsparse_direction_ii21rocsparse_index_base_PKT4_PKiS9_iiS4_PS5_PiSB_
		.amdhsa_group_segment_fixed_size 0
		.amdhsa_private_segment_fixed_size 0
		.amdhsa_kernarg_size 80
		.amdhsa_user_sgpr_count 6
		.amdhsa_user_sgpr_private_segment_buffer 1
		.amdhsa_user_sgpr_dispatch_ptr 0
		.amdhsa_user_sgpr_queue_ptr 0
		.amdhsa_user_sgpr_kernarg_segment_ptr 1
		.amdhsa_user_sgpr_dispatch_id 0
		.amdhsa_user_sgpr_flat_scratch_init 0
		.amdhsa_user_sgpr_kernarg_preload_length 0
		.amdhsa_user_sgpr_kernarg_preload_offset 0
		.amdhsa_user_sgpr_private_segment_size 0
		.amdhsa_uses_dynamic_stack 0
		.amdhsa_system_sgpr_private_segment_wavefront_offset 0
		.amdhsa_system_sgpr_workgroup_id_x 1
		.amdhsa_system_sgpr_workgroup_id_y 0
		.amdhsa_system_sgpr_workgroup_id_z 0
		.amdhsa_system_sgpr_workgroup_info 0
		.amdhsa_system_vgpr_workitem_id 0
		.amdhsa_next_free_vgpr 21
		.amdhsa_next_free_sgpr 30
		.amdhsa_accum_offset 24
		.amdhsa_reserve_vcc 1
		.amdhsa_reserve_flat_scratch 0
		.amdhsa_float_round_mode_32 0
		.amdhsa_float_round_mode_16_64 0
		.amdhsa_float_denorm_mode_32 3
		.amdhsa_float_denorm_mode_16_64 3
		.amdhsa_dx10_clamp 1
		.amdhsa_ieee_mode 1
		.amdhsa_fp16_overflow 0
		.amdhsa_tg_split 0
		.amdhsa_exception_fp_ieee_invalid_op 0
		.amdhsa_exception_fp_denorm_src 0
		.amdhsa_exception_fp_ieee_div_zero 0
		.amdhsa_exception_fp_ieee_overflow 0
		.amdhsa_exception_fp_ieee_underflow 0
		.amdhsa_exception_fp_ieee_inexact 0
		.amdhsa_exception_int_div_zero 0
	.end_amdhsa_kernel
	.section	.text._ZN9rocsparseL37gebsr2csr_block_per_row_33_128_kernelILi1024ELi128ELi2ELi32ELi2E21rocsparse_complex_numIdEEEv20rocsparse_direction_ii21rocsparse_index_base_PKT4_PKiS9_iiS4_PS5_PiSB_,"axG",@progbits,_ZN9rocsparseL37gebsr2csr_block_per_row_33_128_kernelILi1024ELi128ELi2ELi32ELi2E21rocsparse_complex_numIdEEEv20rocsparse_direction_ii21rocsparse_index_base_PKT4_PKiS9_iiS4_PS5_PiSB_,comdat
.Lfunc_end189:
	.size	_ZN9rocsparseL37gebsr2csr_block_per_row_33_128_kernelILi1024ELi128ELi2ELi32ELi2E21rocsparse_complex_numIdEEEv20rocsparse_direction_ii21rocsparse_index_base_PKT4_PKiS9_iiS4_PS5_PiSB_, .Lfunc_end189-_ZN9rocsparseL37gebsr2csr_block_per_row_33_128_kernelILi1024ELi128ELi2ELi32ELi2E21rocsparse_complex_numIdEEEv20rocsparse_direction_ii21rocsparse_index_base_PKT4_PKiS9_iiS4_PS5_PiSB_
                                        ; -- End function
	.section	.AMDGPU.csdata,"",@progbits
; Kernel info:
; codeLenInByte = 1464
; NumSgprs: 34
; NumVgprs: 21
; NumAgprs: 0
; TotalNumVgprs: 21
; ScratchSize: 0
; MemoryBound: 0
; FloatMode: 240
; IeeeMode: 1
; LDSByteSize: 0 bytes/workgroup (compile time only)
; SGPRBlocks: 4
; VGPRBlocks: 2
; NumSGPRsForWavesPerEU: 34
; NumVGPRsForWavesPerEU: 21
; AccumOffset: 24
; Occupancy: 8
; WaveLimiterHint : 0
; COMPUTE_PGM_RSRC2:SCRATCH_EN: 0
; COMPUTE_PGM_RSRC2:USER_SGPR: 6
; COMPUTE_PGM_RSRC2:TRAP_HANDLER: 0
; COMPUTE_PGM_RSRC2:TGID_X_EN: 1
; COMPUTE_PGM_RSRC2:TGID_Y_EN: 0
; COMPUTE_PGM_RSRC2:TGID_Z_EN: 0
; COMPUTE_PGM_RSRC2:TIDIG_COMP_CNT: 0
; COMPUTE_PGM_RSRC3_GFX90A:ACCUM_OFFSET: 5
; COMPUTE_PGM_RSRC3_GFX90A:TG_SPLIT: 0
	.section	.text._ZN9rocsparseL37gebsr2csr_block_per_row_33_128_kernelILi1024ELi128ELi4ELi32ELi4E21rocsparse_complex_numIdEEEv20rocsparse_direction_ii21rocsparse_index_base_PKT4_PKiS9_iiS4_PS5_PiSB_,"axG",@progbits,_ZN9rocsparseL37gebsr2csr_block_per_row_33_128_kernelILi1024ELi128ELi4ELi32ELi4E21rocsparse_complex_numIdEEEv20rocsparse_direction_ii21rocsparse_index_base_PKT4_PKiS9_iiS4_PS5_PiSB_,comdat
	.globl	_ZN9rocsparseL37gebsr2csr_block_per_row_33_128_kernelILi1024ELi128ELi4ELi32ELi4E21rocsparse_complex_numIdEEEv20rocsparse_direction_ii21rocsparse_index_base_PKT4_PKiS9_iiS4_PS5_PiSB_ ; -- Begin function _ZN9rocsparseL37gebsr2csr_block_per_row_33_128_kernelILi1024ELi128ELi4ELi32ELi4E21rocsparse_complex_numIdEEEv20rocsparse_direction_ii21rocsparse_index_base_PKT4_PKiS9_iiS4_PS5_PiSB_
	.p2align	8
	.type	_ZN9rocsparseL37gebsr2csr_block_per_row_33_128_kernelILi1024ELi128ELi4ELi32ELi4E21rocsparse_complex_numIdEEEv20rocsparse_direction_ii21rocsparse_index_base_PKT4_PKiS9_iiS4_PS5_PiSB_,@function
_ZN9rocsparseL37gebsr2csr_block_per_row_33_128_kernelILi1024ELi128ELi4ELi32ELi4E21rocsparse_complex_numIdEEEv20rocsparse_direction_ii21rocsparse_index_base_PKT4_PKiS9_iiS4_PS5_PiSB_: ; @_ZN9rocsparseL37gebsr2csr_block_per_row_33_128_kernelILi1024ELi128ELi4ELi32ELi4E21rocsparse_complex_numIdEEEv20rocsparse_direction_ii21rocsparse_index_base_PKT4_PKiS9_iiS4_PS5_PiSB_
; %bb.0:
	s_load_dwordx2 s[0:1], s[4:5], 0x18
	s_load_dwordx4 s[12:15], s[4:5], 0x28
	s_load_dwordx2 s[2:3], s[4:5], 0x40
	s_ashr_i32 s7, s6, 31
	s_lshl_b64 s[8:9], s[6:7], 2
	s_waitcnt lgkmcnt(0)
	s_add_u32 s0, s0, s8
	s_addc_u32 s1, s1, s9
	s_load_dwordx2 s[22:23], s[0:1], 0x0
	v_or_b32_e32 v1, s6, v0
	v_cmp_eq_u32_e32 vcc, 0, v1
	s_and_saveexec_b64 s[0:1], vcc
	s_cbranch_execz .LBB190_2
; %bb.1:
	v_mov_b32_e32 v1, 0
	v_mov_b32_e32 v2, s14
	global_store_dword v1, v2, s[2:3]
.LBB190_2:
	s_or_b64 exec, exec, s[0:1]
	s_load_dword s24, s[4:5], 0xc
	v_lshrrev_b32_e32 v2, 2, v0
	s_mul_i32 s15, s6, s12
	s_waitcnt lgkmcnt(0)
	s_sub_i32 s10, s22, s24
	s_sub_i32 s25, s23, s24
	s_mul_i32 s11, s10, s13
	s_sub_i32 s27, s25, s10
	s_mul_i32 s0, s11, s12
	s_mul_i32 s18, s27, s13
	s_add_i32 s19, s0, s14
	s_add_i32 s19, s19, s18
	v_cmp_gt_i32_e64 s[0:1], s12, v2
	s_and_saveexec_b64 s[6:7], s[0:1]
	s_cbranch_execz .LBB190_4
; %bb.3:
	v_add_u32_e32 v4, s15, v2
	v_ashrrev_i32_e32 v5, 31, v4
	v_lshlrev_b64 v[4:5], 2, v[4:5]
	v_mul_lo_u32 v1, v2, s18
	v_mov_b32_e32 v3, s3
	v_add_co_u32_e32 v4, vcc, s2, v4
	v_add_u32_e32 v1, s19, v1
	v_addc_co_u32_e32 v5, vcc, v3, v5, vcc
	global_store_dword v[4:5], v1, off offset:4
.LBB190_4:
	s_or_b64 exec, exec, s[6:7]
	s_add_u32 s20, s2, 4
	v_add_u32_e32 v1, 32, v2
	s_addc_u32 s21, s3, 0
	v_cmp_gt_i32_e64 s[2:3], s12, v1
	s_and_saveexec_b64 s[6:7], s[2:3]
	s_cbranch_execz .LBB190_6
; %bb.5:
	s_ashr_i32 s8, s15, 31
	v_mov_b32_e32 v3, s8
	v_add_co_u32_e32 v4, vcc, s15, v2
	v_addc_co_u32_e32 v5, vcc, 0, v3, vcc
	v_lshlrev_b64 v[4:5], 2, v[4:5]
	v_mul_lo_u32 v1, v1, s18
	v_mov_b32_e32 v3, s21
	v_add_co_u32_e32 v4, vcc, s20, v4
	v_add_u32_e32 v1, s19, v1
	v_addc_co_u32_e32 v5, vcc, v3, v5, vcc
	global_store_dword v[4:5], v1, off offset:128
.LBB190_6:
	s_or_b64 exec, exec, s[6:7]
	v_add_u32_e32 v1, 64, v2
	v_cmp_gt_i32_e64 s[6:7], s12, v1
	s_and_saveexec_b64 s[8:9], s[6:7]
	s_cbranch_execz .LBB190_8
; %bb.7:
	s_ashr_i32 s16, s15, 31
	v_mov_b32_e32 v3, s16
	v_add_co_u32_e32 v4, vcc, s15, v2
	v_addc_co_u32_e32 v5, vcc, 0, v3, vcc
	v_lshlrev_b64 v[4:5], 2, v[4:5]
	v_mul_lo_u32 v1, v1, s18
	v_mov_b32_e32 v3, s21
	v_add_co_u32_e32 v4, vcc, s20, v4
	v_add_u32_e32 v1, s19, v1
	v_addc_co_u32_e32 v5, vcc, v3, v5, vcc
	global_store_dword v[4:5], v1, off offset:256
.LBB190_8:
	s_or_b64 exec, exec, s[8:9]
	v_add_u32_e32 v1, 0x60, v2
	v_cmp_gt_i32_e64 s[8:9], s12, v1
	s_and_saveexec_b64 s[16:17], s[8:9]
	s_cbranch_execz .LBB190_10
; %bb.9:
	v_mul_lo_u32 v1, v1, s18
	s_ashr_i32 s18, s15, 31
	v_mov_b32_e32 v3, s18
	v_add_co_u32_e32 v4, vcc, s15, v2
	v_addc_co_u32_e32 v5, vcc, 0, v3, vcc
	v_lshlrev_b64 v[4:5], 2, v[4:5]
	v_mov_b32_e32 v3, s21
	v_add_co_u32_e32 v4, vcc, s20, v4
	v_add_u32_e32 v1, s19, v1
	v_addc_co_u32_e32 v5, vcc, v3, v5, vcc
	global_store_dword v[4:5], v1, off offset:384
.LBB190_10:
	s_or_b64 exec, exec, s[16:17]
	s_cmp_lt_i32 s22, s23
	s_cbranch_scc0 .LBB190_21
; %bb.11:
	s_load_dwordx2 s[28:29], s[4:5], 0x20
	s_load_dwordx2 s[16:17], s[4:5], 0x38
	;; [unrolled: 1-line block ×4, first 2 shown]
	s_load_dword s15, s[4:5], 0x0
	v_and_b32_e32 v3, 3, v0
	v_cmp_gt_i32_e64 s[4:5], s13, v3
	v_add_u32_e32 v4, s14, v3
	v_mul_lo_u32 v9, v2, s27
	s_waitcnt lgkmcnt(0)
	s_cmp_eq_u32 s15, 0
	s_cselect_b64 vcc, -1, 0
	s_and_b64 s[14:15], s[4:5], s[0:1]
	s_and_b64 s[2:3], s[4:5], s[2:3]
	;; [unrolled: 1-line block ×4, first 2 shown]
	s_mul_i32 s8, s12, s10
	v_add_u32_e32 v0, s8, v2
	v_add_u32_e32 v1, 0x60, v0
	v_mul_lo_u32 v5, s13, v1
	v_add_u32_e32 v1, 64, v0
	v_mul_lo_u32 v6, s13, v1
	;; [unrolled: 2-line block ×4, first 2 shown]
	v_mad_u64_u32 v[0:1], s[0:1], s12, v0, v[2:3]
	v_add_u32_e32 v10, s8, v9
	s_mul_i32 s0, s23, 0x60
	v_add_u32_e32 v1, s0, v10
	s_mul_i32 s0, s22, 0x60
	v_subrev_u32_e32 v1, s0, v1
	v_lshl_add_u32 v2, s23, 6, v10
	s_lshl_b32 s0, s22, 6
	v_subrev_u32_e32 v2, s0, v2
	v_lshl_add_u32 v9, s23, 5, v10
	s_lshl_b32 s0, s22, 5
	s_ashr_i32 s11, s10, 31
	v_subrev_u32_e32 v9, s0, v9
	s_lshl_b64 s[0:1], s[10:11], 2
	s_add_u32 s8, s28, s0
	s_mul_i32 s26, s13, s12
	v_mul_lo_u32 v1, s13, v1
	v_mul_lo_u32 v2, s13, v2
	;; [unrolled: 1-line block ×4, first 2 shown]
	s_addc_u32 s9, s29, s1
	s_branch .LBB190_13
.LBB190_12:                             ;   in Loop: Header=BB190_13 Depth=1
	s_or_b64 exec, exec, s[22:23]
	s_add_i32 s10, s10, 1
	s_add_u32 s8, s8, 4
	s_addc_u32 s9, s9, 0
	v_add_u32_e32 v5, s26, v5
	v_add_u32_e32 v6, s26, v6
	;; [unrolled: 1-line block ×8, first 2 shown]
	s_cmp_ge_i32 s10, s25
	v_add_u32_e32 v10, s13, v10
	s_cbranch_scc1 .LBB190_21
.LBB190_13:                             ; =>This Inner Loop Header: Depth=1
	s_load_dword s0, s[8:9], 0x0
	s_waitcnt lgkmcnt(0)
	s_sub_i32 s0, s0, s24
	s_mul_i32 s0, s0, s13
	v_add_u32_e32 v11, s0, v4
	s_and_saveexec_b64 s[22:23], s[14:15]
	s_cbranch_execnz .LBB190_17
; %bb.14:                               ;   in Loop: Header=BB190_13 Depth=1
	s_or_b64 exec, exec, s[22:23]
	s_and_saveexec_b64 s[22:23], s[2:3]
	s_cbranch_execnz .LBB190_18
.LBB190_15:                             ;   in Loop: Header=BB190_13 Depth=1
	s_or_b64 exec, exec, s[22:23]
	s_and_saveexec_b64 s[22:23], s[6:7]
	s_cbranch_execnz .LBB190_19
.LBB190_16:                             ;   in Loop: Header=BB190_13 Depth=1
	s_or_b64 exec, exec, s[22:23]
	s_and_saveexec_b64 s[22:23], s[4:5]
	s_cbranch_execz .LBB190_12
	s_branch .LBB190_20
.LBB190_17:                             ;   in Loop: Header=BB190_13 Depth=1
	v_add_u32_e32 v12, v3, v8
	v_cndmask_b32_e32 v12, v0, v12, vcc
	v_ashrrev_i32_e32 v13, 31, v12
	v_lshlrev_b64 v[12:13], 4, v[12:13]
	v_mov_b32_e32 v14, s21
	v_add_co_u32_e64 v12, s[0:1], s20, v12
	v_addc_co_u32_e64 v13, s[0:1], v14, v13, s[0:1]
	global_load_dwordx4 v[12:15], v[12:13], off
	v_add_u32_e32 v16, v3, v10
	v_ashrrev_i32_e32 v17, 31, v16
	v_lshlrev_b64 v[18:19], 2, v[16:17]
	v_mov_b32_e32 v20, s19
	v_add_co_u32_e64 v18, s[0:1], s18, v18
	v_addc_co_u32_e64 v19, s[0:1], v20, v19, s[0:1]
	v_lshlrev_b64 v[16:17], 4, v[16:17]
	global_store_dword v[18:19], v11, off
	v_mov_b32_e32 v18, s17
	v_add_co_u32_e64 v16, s[0:1], s16, v16
	v_addc_co_u32_e64 v17, s[0:1], v18, v17, s[0:1]
	s_waitcnt vmcnt(1)
	global_store_dwordx4 v[16:17], v[12:15], off
	s_or_b64 exec, exec, s[22:23]
	s_and_saveexec_b64 s[22:23], s[2:3]
	s_cbranch_execz .LBB190_15
.LBB190_18:                             ;   in Loop: Header=BB190_13 Depth=1
	v_add_u32_e32 v12, v3, v7
	v_add_u32_e32 v13, 32, v0
	v_cndmask_b32_e32 v12, v13, v12, vcc
	v_ashrrev_i32_e32 v13, 31, v12
	v_lshlrev_b64 v[12:13], 4, v[12:13]
	v_mov_b32_e32 v14, s21
	v_add_co_u32_e64 v12, s[0:1], s20, v12
	v_addc_co_u32_e64 v13, s[0:1], v14, v13, s[0:1]
	global_load_dwordx4 v[12:15], v[12:13], off
	v_add_u32_e32 v16, v3, v9
	v_ashrrev_i32_e32 v17, 31, v16
	v_lshlrev_b64 v[18:19], 2, v[16:17]
	v_mov_b32_e32 v20, s19
	v_add_co_u32_e64 v18, s[0:1], s18, v18
	v_addc_co_u32_e64 v19, s[0:1], v20, v19, s[0:1]
	v_lshlrev_b64 v[16:17], 4, v[16:17]
	global_store_dword v[18:19], v11, off
	v_mov_b32_e32 v18, s17
	v_add_co_u32_e64 v16, s[0:1], s16, v16
	v_addc_co_u32_e64 v17, s[0:1], v18, v17, s[0:1]
	s_waitcnt vmcnt(1)
	global_store_dwordx4 v[16:17], v[12:15], off
	s_or_b64 exec, exec, s[22:23]
	s_and_saveexec_b64 s[22:23], s[6:7]
	s_cbranch_execz .LBB190_16
.LBB190_19:                             ;   in Loop: Header=BB190_13 Depth=1
	v_add_u32_e32 v12, v3, v6
	v_add_u32_e32 v13, 64, v0
	v_cndmask_b32_e32 v12, v13, v12, vcc
	v_ashrrev_i32_e32 v13, 31, v12
	v_lshlrev_b64 v[12:13], 4, v[12:13]
	v_mov_b32_e32 v14, s21
	v_add_co_u32_e64 v12, s[0:1], s20, v12
	v_addc_co_u32_e64 v13, s[0:1], v14, v13, s[0:1]
	global_load_dwordx4 v[12:15], v[12:13], off
	v_add_u32_e32 v16, v3, v2
	v_ashrrev_i32_e32 v17, 31, v16
	v_lshlrev_b64 v[18:19], 2, v[16:17]
	v_mov_b32_e32 v20, s19
	v_add_co_u32_e64 v18, s[0:1], s18, v18
	v_addc_co_u32_e64 v19, s[0:1], v20, v19, s[0:1]
	v_lshlrev_b64 v[16:17], 4, v[16:17]
	global_store_dword v[18:19], v11, off
	v_mov_b32_e32 v18, s17
	v_add_co_u32_e64 v16, s[0:1], s16, v16
	v_addc_co_u32_e64 v17, s[0:1], v18, v17, s[0:1]
	s_waitcnt vmcnt(1)
	global_store_dwordx4 v[16:17], v[12:15], off
	s_or_b64 exec, exec, s[22:23]
	s_and_saveexec_b64 s[22:23], s[4:5]
	s_cbranch_execz .LBB190_12
.LBB190_20:                             ;   in Loop: Header=BB190_13 Depth=1
	v_add_u32_e32 v12, v3, v5
	v_add_u32_e32 v13, 0x60, v0
	v_cndmask_b32_e32 v12, v13, v12, vcc
	v_ashrrev_i32_e32 v13, 31, v12
	v_lshlrev_b64 v[12:13], 4, v[12:13]
	v_mov_b32_e32 v14, s21
	v_add_co_u32_e64 v12, s[0:1], s20, v12
	v_addc_co_u32_e64 v13, s[0:1], v14, v13, s[0:1]
	global_load_dwordx4 v[12:15], v[12:13], off
	v_add_u32_e32 v16, v3, v1
	v_ashrrev_i32_e32 v17, 31, v16
	v_lshlrev_b64 v[18:19], 2, v[16:17]
	v_mov_b32_e32 v20, s19
	v_add_co_u32_e64 v18, s[0:1], s18, v18
	v_addc_co_u32_e64 v19, s[0:1], v20, v19, s[0:1]
	v_lshlrev_b64 v[16:17], 4, v[16:17]
	global_store_dword v[18:19], v11, off
	v_mov_b32_e32 v11, s17
	v_add_co_u32_e64 v16, s[0:1], s16, v16
	v_addc_co_u32_e64 v17, s[0:1], v11, v17, s[0:1]
	s_waitcnt vmcnt(1)
	global_store_dwordx4 v[16:17], v[12:15], off
	s_branch .LBB190_12
.LBB190_21:
	s_endpgm
	.section	.rodata,"a",@progbits
	.p2align	6, 0x0
	.amdhsa_kernel _ZN9rocsparseL37gebsr2csr_block_per_row_33_128_kernelILi1024ELi128ELi4ELi32ELi4E21rocsparse_complex_numIdEEEv20rocsparse_direction_ii21rocsparse_index_base_PKT4_PKiS9_iiS4_PS5_PiSB_
		.amdhsa_group_segment_fixed_size 0
		.amdhsa_private_segment_fixed_size 0
		.amdhsa_kernarg_size 80
		.amdhsa_user_sgpr_count 6
		.amdhsa_user_sgpr_private_segment_buffer 1
		.amdhsa_user_sgpr_dispatch_ptr 0
		.amdhsa_user_sgpr_queue_ptr 0
		.amdhsa_user_sgpr_kernarg_segment_ptr 1
		.amdhsa_user_sgpr_dispatch_id 0
		.amdhsa_user_sgpr_flat_scratch_init 0
		.amdhsa_user_sgpr_kernarg_preload_length 0
		.amdhsa_user_sgpr_kernarg_preload_offset 0
		.amdhsa_user_sgpr_private_segment_size 0
		.amdhsa_uses_dynamic_stack 0
		.amdhsa_system_sgpr_private_segment_wavefront_offset 0
		.amdhsa_system_sgpr_workgroup_id_x 1
		.amdhsa_system_sgpr_workgroup_id_y 0
		.amdhsa_system_sgpr_workgroup_id_z 0
		.amdhsa_system_sgpr_workgroup_info 0
		.amdhsa_system_vgpr_workitem_id 0
		.amdhsa_next_free_vgpr 21
		.amdhsa_next_free_sgpr 30
		.amdhsa_accum_offset 24
		.amdhsa_reserve_vcc 1
		.amdhsa_reserve_flat_scratch 0
		.amdhsa_float_round_mode_32 0
		.amdhsa_float_round_mode_16_64 0
		.amdhsa_float_denorm_mode_32 3
		.amdhsa_float_denorm_mode_16_64 3
		.amdhsa_dx10_clamp 1
		.amdhsa_ieee_mode 1
		.amdhsa_fp16_overflow 0
		.amdhsa_tg_split 0
		.amdhsa_exception_fp_ieee_invalid_op 0
		.amdhsa_exception_fp_denorm_src 0
		.amdhsa_exception_fp_ieee_div_zero 0
		.amdhsa_exception_fp_ieee_overflow 0
		.amdhsa_exception_fp_ieee_underflow 0
		.amdhsa_exception_fp_ieee_inexact 0
		.amdhsa_exception_int_div_zero 0
	.end_amdhsa_kernel
	.section	.text._ZN9rocsparseL37gebsr2csr_block_per_row_33_128_kernelILi1024ELi128ELi4ELi32ELi4E21rocsparse_complex_numIdEEEv20rocsparse_direction_ii21rocsparse_index_base_PKT4_PKiS9_iiS4_PS5_PiSB_,"axG",@progbits,_ZN9rocsparseL37gebsr2csr_block_per_row_33_128_kernelILi1024ELi128ELi4ELi32ELi4E21rocsparse_complex_numIdEEEv20rocsparse_direction_ii21rocsparse_index_base_PKT4_PKiS9_iiS4_PS5_PiSB_,comdat
.Lfunc_end190:
	.size	_ZN9rocsparseL37gebsr2csr_block_per_row_33_128_kernelILi1024ELi128ELi4ELi32ELi4E21rocsparse_complex_numIdEEEv20rocsparse_direction_ii21rocsparse_index_base_PKT4_PKiS9_iiS4_PS5_PiSB_, .Lfunc_end190-_ZN9rocsparseL37gebsr2csr_block_per_row_33_128_kernelILi1024ELi128ELi4ELi32ELi4E21rocsparse_complex_numIdEEEv20rocsparse_direction_ii21rocsparse_index_base_PKT4_PKiS9_iiS4_PS5_PiSB_
                                        ; -- End function
	.section	.AMDGPU.csdata,"",@progbits
; Kernel info:
; codeLenInByte = 1464
; NumSgprs: 34
; NumVgprs: 21
; NumAgprs: 0
; TotalNumVgprs: 21
; ScratchSize: 0
; MemoryBound: 0
; FloatMode: 240
; IeeeMode: 1
; LDSByteSize: 0 bytes/workgroup (compile time only)
; SGPRBlocks: 4
; VGPRBlocks: 2
; NumSGPRsForWavesPerEU: 34
; NumVGPRsForWavesPerEU: 21
; AccumOffset: 24
; Occupancy: 8
; WaveLimiterHint : 0
; COMPUTE_PGM_RSRC2:SCRATCH_EN: 0
; COMPUTE_PGM_RSRC2:USER_SGPR: 6
; COMPUTE_PGM_RSRC2:TRAP_HANDLER: 0
; COMPUTE_PGM_RSRC2:TGID_X_EN: 1
; COMPUTE_PGM_RSRC2:TGID_Y_EN: 0
; COMPUTE_PGM_RSRC2:TGID_Z_EN: 0
; COMPUTE_PGM_RSRC2:TIDIG_COMP_CNT: 0
; COMPUTE_PGM_RSRC3_GFX90A:ACCUM_OFFSET: 5
; COMPUTE_PGM_RSRC3_GFX90A:TG_SPLIT: 0
	.section	.text._ZN9rocsparseL37gebsr2csr_block_per_row_33_128_kernelILi1024ELi128ELi8ELi32ELi8E21rocsparse_complex_numIdEEEv20rocsparse_direction_ii21rocsparse_index_base_PKT4_PKiS9_iiS4_PS5_PiSB_,"axG",@progbits,_ZN9rocsparseL37gebsr2csr_block_per_row_33_128_kernelILi1024ELi128ELi8ELi32ELi8E21rocsparse_complex_numIdEEEv20rocsparse_direction_ii21rocsparse_index_base_PKT4_PKiS9_iiS4_PS5_PiSB_,comdat
	.globl	_ZN9rocsparseL37gebsr2csr_block_per_row_33_128_kernelILi1024ELi128ELi8ELi32ELi8E21rocsparse_complex_numIdEEEv20rocsparse_direction_ii21rocsparse_index_base_PKT4_PKiS9_iiS4_PS5_PiSB_ ; -- Begin function _ZN9rocsparseL37gebsr2csr_block_per_row_33_128_kernelILi1024ELi128ELi8ELi32ELi8E21rocsparse_complex_numIdEEEv20rocsparse_direction_ii21rocsparse_index_base_PKT4_PKiS9_iiS4_PS5_PiSB_
	.p2align	8
	.type	_ZN9rocsparseL37gebsr2csr_block_per_row_33_128_kernelILi1024ELi128ELi8ELi32ELi8E21rocsparse_complex_numIdEEEv20rocsparse_direction_ii21rocsparse_index_base_PKT4_PKiS9_iiS4_PS5_PiSB_,@function
_ZN9rocsparseL37gebsr2csr_block_per_row_33_128_kernelILi1024ELi128ELi8ELi32ELi8E21rocsparse_complex_numIdEEEv20rocsparse_direction_ii21rocsparse_index_base_PKT4_PKiS9_iiS4_PS5_PiSB_: ; @_ZN9rocsparseL37gebsr2csr_block_per_row_33_128_kernelILi1024ELi128ELi8ELi32ELi8E21rocsparse_complex_numIdEEEv20rocsparse_direction_ii21rocsparse_index_base_PKT4_PKiS9_iiS4_PS5_PiSB_
; %bb.0:
	s_load_dwordx2 s[0:1], s[4:5], 0x18
	s_load_dwordx4 s[12:15], s[4:5], 0x28
	s_load_dwordx2 s[2:3], s[4:5], 0x40
	s_ashr_i32 s7, s6, 31
	s_lshl_b64 s[8:9], s[6:7], 2
	s_waitcnt lgkmcnt(0)
	s_add_u32 s0, s0, s8
	s_addc_u32 s1, s1, s9
	s_load_dwordx2 s[22:23], s[0:1], 0x0
	v_or_b32_e32 v1, s6, v0
	v_cmp_eq_u32_e32 vcc, 0, v1
	s_and_saveexec_b64 s[0:1], vcc
	s_cbranch_execz .LBB191_2
; %bb.1:
	v_mov_b32_e32 v1, 0
	v_mov_b32_e32 v2, s14
	global_store_dword v1, v2, s[2:3]
.LBB191_2:
	s_or_b64 exec, exec, s[0:1]
	s_load_dword s24, s[4:5], 0xc
	v_lshrrev_b32_e32 v2, 3, v0
	s_mul_i32 s15, s6, s12
	s_waitcnt lgkmcnt(0)
	s_sub_i32 s10, s22, s24
	s_sub_i32 s25, s23, s24
	s_mul_i32 s11, s10, s13
	s_sub_i32 s27, s25, s10
	s_mul_i32 s0, s11, s12
	s_mul_i32 s18, s27, s13
	s_add_i32 s19, s0, s14
	s_add_i32 s19, s19, s18
	v_cmp_gt_i32_e64 s[0:1], s12, v2
	s_and_saveexec_b64 s[6:7], s[0:1]
	s_cbranch_execz .LBB191_4
; %bb.3:
	v_add_u32_e32 v4, s15, v2
	v_ashrrev_i32_e32 v5, 31, v4
	v_lshlrev_b64 v[4:5], 2, v[4:5]
	v_mul_lo_u32 v1, v2, s18
	v_mov_b32_e32 v3, s3
	v_add_co_u32_e32 v4, vcc, s2, v4
	v_add_u32_e32 v1, s19, v1
	v_addc_co_u32_e32 v5, vcc, v3, v5, vcc
	global_store_dword v[4:5], v1, off offset:4
.LBB191_4:
	s_or_b64 exec, exec, s[6:7]
	s_add_u32 s20, s2, 4
	v_add_u32_e32 v1, 32, v2
	s_addc_u32 s21, s3, 0
	v_cmp_gt_i32_e64 s[2:3], s12, v1
	s_and_saveexec_b64 s[6:7], s[2:3]
	s_cbranch_execz .LBB191_6
; %bb.5:
	s_ashr_i32 s8, s15, 31
	v_mov_b32_e32 v3, s8
	v_add_co_u32_e32 v4, vcc, s15, v2
	v_addc_co_u32_e32 v5, vcc, 0, v3, vcc
	v_lshlrev_b64 v[4:5], 2, v[4:5]
	v_mul_lo_u32 v1, v1, s18
	v_mov_b32_e32 v3, s21
	v_add_co_u32_e32 v4, vcc, s20, v4
	v_add_u32_e32 v1, s19, v1
	v_addc_co_u32_e32 v5, vcc, v3, v5, vcc
	global_store_dword v[4:5], v1, off offset:128
.LBB191_6:
	s_or_b64 exec, exec, s[6:7]
	v_add_u32_e32 v1, 64, v2
	v_cmp_gt_i32_e64 s[6:7], s12, v1
	s_and_saveexec_b64 s[8:9], s[6:7]
	s_cbranch_execz .LBB191_8
; %bb.7:
	s_ashr_i32 s16, s15, 31
	v_mov_b32_e32 v3, s16
	v_add_co_u32_e32 v4, vcc, s15, v2
	v_addc_co_u32_e32 v5, vcc, 0, v3, vcc
	v_lshlrev_b64 v[4:5], 2, v[4:5]
	v_mul_lo_u32 v1, v1, s18
	v_mov_b32_e32 v3, s21
	v_add_co_u32_e32 v4, vcc, s20, v4
	v_add_u32_e32 v1, s19, v1
	v_addc_co_u32_e32 v5, vcc, v3, v5, vcc
	global_store_dword v[4:5], v1, off offset:256
.LBB191_8:
	s_or_b64 exec, exec, s[8:9]
	v_add_u32_e32 v1, 0x60, v2
	v_cmp_gt_i32_e64 s[8:9], s12, v1
	s_and_saveexec_b64 s[16:17], s[8:9]
	s_cbranch_execz .LBB191_10
; %bb.9:
	v_mul_lo_u32 v1, v1, s18
	s_ashr_i32 s18, s15, 31
	v_mov_b32_e32 v3, s18
	v_add_co_u32_e32 v4, vcc, s15, v2
	v_addc_co_u32_e32 v5, vcc, 0, v3, vcc
	v_lshlrev_b64 v[4:5], 2, v[4:5]
	v_mov_b32_e32 v3, s21
	v_add_co_u32_e32 v4, vcc, s20, v4
	v_add_u32_e32 v1, s19, v1
	v_addc_co_u32_e32 v5, vcc, v3, v5, vcc
	global_store_dword v[4:5], v1, off offset:384
.LBB191_10:
	s_or_b64 exec, exec, s[16:17]
	s_cmp_lt_i32 s22, s23
	s_cbranch_scc0 .LBB191_21
; %bb.11:
	s_load_dwordx2 s[28:29], s[4:5], 0x20
	s_load_dwordx2 s[16:17], s[4:5], 0x38
	;; [unrolled: 1-line block ×4, first 2 shown]
	s_load_dword s15, s[4:5], 0x0
	v_and_b32_e32 v3, 7, v0
	v_cmp_gt_i32_e64 s[4:5], s13, v3
	v_add_u32_e32 v4, s14, v3
	v_mul_lo_u32 v9, v2, s27
	s_waitcnt lgkmcnt(0)
	s_cmp_eq_u32 s15, 0
	s_cselect_b64 vcc, -1, 0
	s_and_b64 s[14:15], s[4:5], s[0:1]
	s_and_b64 s[2:3], s[4:5], s[2:3]
	;; [unrolled: 1-line block ×4, first 2 shown]
	s_mul_i32 s8, s12, s10
	v_add_u32_e32 v0, s8, v2
	v_add_u32_e32 v1, 0x60, v0
	v_mul_lo_u32 v5, s13, v1
	v_add_u32_e32 v1, 64, v0
	v_mul_lo_u32 v6, s13, v1
	;; [unrolled: 2-line block ×4, first 2 shown]
	v_mad_u64_u32 v[0:1], s[0:1], s12, v0, v[2:3]
	v_add_u32_e32 v10, s8, v9
	s_mul_i32 s0, s23, 0x60
	v_add_u32_e32 v1, s0, v10
	s_mul_i32 s0, s22, 0x60
	v_subrev_u32_e32 v1, s0, v1
	v_lshl_add_u32 v2, s23, 6, v10
	s_lshl_b32 s0, s22, 6
	v_subrev_u32_e32 v2, s0, v2
	v_lshl_add_u32 v9, s23, 5, v10
	s_lshl_b32 s0, s22, 5
	s_ashr_i32 s11, s10, 31
	v_subrev_u32_e32 v9, s0, v9
	s_lshl_b64 s[0:1], s[10:11], 2
	s_add_u32 s8, s28, s0
	s_mul_i32 s26, s13, s12
	v_mul_lo_u32 v1, s13, v1
	v_mul_lo_u32 v2, s13, v2
	;; [unrolled: 1-line block ×4, first 2 shown]
	s_addc_u32 s9, s29, s1
	s_branch .LBB191_13
.LBB191_12:                             ;   in Loop: Header=BB191_13 Depth=1
	s_or_b64 exec, exec, s[22:23]
	s_add_i32 s10, s10, 1
	s_add_u32 s8, s8, 4
	s_addc_u32 s9, s9, 0
	v_add_u32_e32 v5, s26, v5
	v_add_u32_e32 v6, s26, v6
	v_add_u32_e32 v7, s26, v7
	v_add_u32_e32 v8, s26, v8
	v_add_u32_e32 v0, s26, v0
	v_add_u32_e32 v1, s13, v1
	v_add_u32_e32 v2, s13, v2
	v_add_u32_e32 v9, s13, v9
	s_cmp_ge_i32 s10, s25
	v_add_u32_e32 v10, s13, v10
	s_cbranch_scc1 .LBB191_21
.LBB191_13:                             ; =>This Inner Loop Header: Depth=1
	s_load_dword s0, s[8:9], 0x0
	s_waitcnt lgkmcnt(0)
	s_sub_i32 s0, s0, s24
	s_mul_i32 s0, s0, s13
	v_add_u32_e32 v11, s0, v4
	s_and_saveexec_b64 s[22:23], s[14:15]
	s_cbranch_execnz .LBB191_17
; %bb.14:                               ;   in Loop: Header=BB191_13 Depth=1
	s_or_b64 exec, exec, s[22:23]
	s_and_saveexec_b64 s[22:23], s[2:3]
	s_cbranch_execnz .LBB191_18
.LBB191_15:                             ;   in Loop: Header=BB191_13 Depth=1
	s_or_b64 exec, exec, s[22:23]
	s_and_saveexec_b64 s[22:23], s[6:7]
	s_cbranch_execnz .LBB191_19
.LBB191_16:                             ;   in Loop: Header=BB191_13 Depth=1
	s_or_b64 exec, exec, s[22:23]
	s_and_saveexec_b64 s[22:23], s[4:5]
	s_cbranch_execz .LBB191_12
	s_branch .LBB191_20
.LBB191_17:                             ;   in Loop: Header=BB191_13 Depth=1
	v_add_u32_e32 v12, v3, v8
	v_cndmask_b32_e32 v12, v0, v12, vcc
	v_ashrrev_i32_e32 v13, 31, v12
	v_lshlrev_b64 v[12:13], 4, v[12:13]
	v_mov_b32_e32 v14, s21
	v_add_co_u32_e64 v12, s[0:1], s20, v12
	v_addc_co_u32_e64 v13, s[0:1], v14, v13, s[0:1]
	global_load_dwordx4 v[12:15], v[12:13], off
	v_add_u32_e32 v16, v3, v10
	v_ashrrev_i32_e32 v17, 31, v16
	v_lshlrev_b64 v[18:19], 2, v[16:17]
	v_mov_b32_e32 v20, s19
	v_add_co_u32_e64 v18, s[0:1], s18, v18
	v_addc_co_u32_e64 v19, s[0:1], v20, v19, s[0:1]
	v_lshlrev_b64 v[16:17], 4, v[16:17]
	global_store_dword v[18:19], v11, off
	v_mov_b32_e32 v18, s17
	v_add_co_u32_e64 v16, s[0:1], s16, v16
	v_addc_co_u32_e64 v17, s[0:1], v18, v17, s[0:1]
	s_waitcnt vmcnt(1)
	global_store_dwordx4 v[16:17], v[12:15], off
	s_or_b64 exec, exec, s[22:23]
	s_and_saveexec_b64 s[22:23], s[2:3]
	s_cbranch_execz .LBB191_15
.LBB191_18:                             ;   in Loop: Header=BB191_13 Depth=1
	v_add_u32_e32 v12, v3, v7
	v_add_u32_e32 v13, 32, v0
	v_cndmask_b32_e32 v12, v13, v12, vcc
	v_ashrrev_i32_e32 v13, 31, v12
	v_lshlrev_b64 v[12:13], 4, v[12:13]
	v_mov_b32_e32 v14, s21
	v_add_co_u32_e64 v12, s[0:1], s20, v12
	v_addc_co_u32_e64 v13, s[0:1], v14, v13, s[0:1]
	global_load_dwordx4 v[12:15], v[12:13], off
	v_add_u32_e32 v16, v3, v9
	v_ashrrev_i32_e32 v17, 31, v16
	v_lshlrev_b64 v[18:19], 2, v[16:17]
	v_mov_b32_e32 v20, s19
	v_add_co_u32_e64 v18, s[0:1], s18, v18
	v_addc_co_u32_e64 v19, s[0:1], v20, v19, s[0:1]
	v_lshlrev_b64 v[16:17], 4, v[16:17]
	global_store_dword v[18:19], v11, off
	v_mov_b32_e32 v18, s17
	v_add_co_u32_e64 v16, s[0:1], s16, v16
	v_addc_co_u32_e64 v17, s[0:1], v18, v17, s[0:1]
	s_waitcnt vmcnt(1)
	global_store_dwordx4 v[16:17], v[12:15], off
	s_or_b64 exec, exec, s[22:23]
	s_and_saveexec_b64 s[22:23], s[6:7]
	s_cbranch_execz .LBB191_16
.LBB191_19:                             ;   in Loop: Header=BB191_13 Depth=1
	v_add_u32_e32 v12, v3, v6
	v_add_u32_e32 v13, 64, v0
	v_cndmask_b32_e32 v12, v13, v12, vcc
	v_ashrrev_i32_e32 v13, 31, v12
	v_lshlrev_b64 v[12:13], 4, v[12:13]
	v_mov_b32_e32 v14, s21
	v_add_co_u32_e64 v12, s[0:1], s20, v12
	v_addc_co_u32_e64 v13, s[0:1], v14, v13, s[0:1]
	global_load_dwordx4 v[12:15], v[12:13], off
	v_add_u32_e32 v16, v3, v2
	v_ashrrev_i32_e32 v17, 31, v16
	v_lshlrev_b64 v[18:19], 2, v[16:17]
	v_mov_b32_e32 v20, s19
	v_add_co_u32_e64 v18, s[0:1], s18, v18
	v_addc_co_u32_e64 v19, s[0:1], v20, v19, s[0:1]
	v_lshlrev_b64 v[16:17], 4, v[16:17]
	global_store_dword v[18:19], v11, off
	v_mov_b32_e32 v18, s17
	v_add_co_u32_e64 v16, s[0:1], s16, v16
	v_addc_co_u32_e64 v17, s[0:1], v18, v17, s[0:1]
	s_waitcnt vmcnt(1)
	global_store_dwordx4 v[16:17], v[12:15], off
	s_or_b64 exec, exec, s[22:23]
	s_and_saveexec_b64 s[22:23], s[4:5]
	s_cbranch_execz .LBB191_12
.LBB191_20:                             ;   in Loop: Header=BB191_13 Depth=1
	v_add_u32_e32 v12, v3, v5
	v_add_u32_e32 v13, 0x60, v0
	v_cndmask_b32_e32 v12, v13, v12, vcc
	v_ashrrev_i32_e32 v13, 31, v12
	v_lshlrev_b64 v[12:13], 4, v[12:13]
	v_mov_b32_e32 v14, s21
	v_add_co_u32_e64 v12, s[0:1], s20, v12
	v_addc_co_u32_e64 v13, s[0:1], v14, v13, s[0:1]
	global_load_dwordx4 v[12:15], v[12:13], off
	v_add_u32_e32 v16, v3, v1
	v_ashrrev_i32_e32 v17, 31, v16
	v_lshlrev_b64 v[18:19], 2, v[16:17]
	v_mov_b32_e32 v20, s19
	v_add_co_u32_e64 v18, s[0:1], s18, v18
	v_addc_co_u32_e64 v19, s[0:1], v20, v19, s[0:1]
	v_lshlrev_b64 v[16:17], 4, v[16:17]
	global_store_dword v[18:19], v11, off
	v_mov_b32_e32 v11, s17
	v_add_co_u32_e64 v16, s[0:1], s16, v16
	v_addc_co_u32_e64 v17, s[0:1], v11, v17, s[0:1]
	s_waitcnt vmcnt(1)
	global_store_dwordx4 v[16:17], v[12:15], off
	s_branch .LBB191_12
.LBB191_21:
	s_endpgm
	.section	.rodata,"a",@progbits
	.p2align	6, 0x0
	.amdhsa_kernel _ZN9rocsparseL37gebsr2csr_block_per_row_33_128_kernelILi1024ELi128ELi8ELi32ELi8E21rocsparse_complex_numIdEEEv20rocsparse_direction_ii21rocsparse_index_base_PKT4_PKiS9_iiS4_PS5_PiSB_
		.amdhsa_group_segment_fixed_size 0
		.amdhsa_private_segment_fixed_size 0
		.amdhsa_kernarg_size 80
		.amdhsa_user_sgpr_count 6
		.amdhsa_user_sgpr_private_segment_buffer 1
		.amdhsa_user_sgpr_dispatch_ptr 0
		.amdhsa_user_sgpr_queue_ptr 0
		.amdhsa_user_sgpr_kernarg_segment_ptr 1
		.amdhsa_user_sgpr_dispatch_id 0
		.amdhsa_user_sgpr_flat_scratch_init 0
		.amdhsa_user_sgpr_kernarg_preload_length 0
		.amdhsa_user_sgpr_kernarg_preload_offset 0
		.amdhsa_user_sgpr_private_segment_size 0
		.amdhsa_uses_dynamic_stack 0
		.amdhsa_system_sgpr_private_segment_wavefront_offset 0
		.amdhsa_system_sgpr_workgroup_id_x 1
		.amdhsa_system_sgpr_workgroup_id_y 0
		.amdhsa_system_sgpr_workgroup_id_z 0
		.amdhsa_system_sgpr_workgroup_info 0
		.amdhsa_system_vgpr_workitem_id 0
		.amdhsa_next_free_vgpr 21
		.amdhsa_next_free_sgpr 30
		.amdhsa_accum_offset 24
		.amdhsa_reserve_vcc 1
		.amdhsa_reserve_flat_scratch 0
		.amdhsa_float_round_mode_32 0
		.amdhsa_float_round_mode_16_64 0
		.amdhsa_float_denorm_mode_32 3
		.amdhsa_float_denorm_mode_16_64 3
		.amdhsa_dx10_clamp 1
		.amdhsa_ieee_mode 1
		.amdhsa_fp16_overflow 0
		.amdhsa_tg_split 0
		.amdhsa_exception_fp_ieee_invalid_op 0
		.amdhsa_exception_fp_denorm_src 0
		.amdhsa_exception_fp_ieee_div_zero 0
		.amdhsa_exception_fp_ieee_overflow 0
		.amdhsa_exception_fp_ieee_underflow 0
		.amdhsa_exception_fp_ieee_inexact 0
		.amdhsa_exception_int_div_zero 0
	.end_amdhsa_kernel
	.section	.text._ZN9rocsparseL37gebsr2csr_block_per_row_33_128_kernelILi1024ELi128ELi8ELi32ELi8E21rocsparse_complex_numIdEEEv20rocsparse_direction_ii21rocsparse_index_base_PKT4_PKiS9_iiS4_PS5_PiSB_,"axG",@progbits,_ZN9rocsparseL37gebsr2csr_block_per_row_33_128_kernelILi1024ELi128ELi8ELi32ELi8E21rocsparse_complex_numIdEEEv20rocsparse_direction_ii21rocsparse_index_base_PKT4_PKiS9_iiS4_PS5_PiSB_,comdat
.Lfunc_end191:
	.size	_ZN9rocsparseL37gebsr2csr_block_per_row_33_128_kernelILi1024ELi128ELi8ELi32ELi8E21rocsparse_complex_numIdEEEv20rocsparse_direction_ii21rocsparse_index_base_PKT4_PKiS9_iiS4_PS5_PiSB_, .Lfunc_end191-_ZN9rocsparseL37gebsr2csr_block_per_row_33_128_kernelILi1024ELi128ELi8ELi32ELi8E21rocsparse_complex_numIdEEEv20rocsparse_direction_ii21rocsparse_index_base_PKT4_PKiS9_iiS4_PS5_PiSB_
                                        ; -- End function
	.section	.AMDGPU.csdata,"",@progbits
; Kernel info:
; codeLenInByte = 1464
; NumSgprs: 34
; NumVgprs: 21
; NumAgprs: 0
; TotalNumVgprs: 21
; ScratchSize: 0
; MemoryBound: 0
; FloatMode: 240
; IeeeMode: 1
; LDSByteSize: 0 bytes/workgroup (compile time only)
; SGPRBlocks: 4
; VGPRBlocks: 2
; NumSGPRsForWavesPerEU: 34
; NumVGPRsForWavesPerEU: 21
; AccumOffset: 24
; Occupancy: 8
; WaveLimiterHint : 0
; COMPUTE_PGM_RSRC2:SCRATCH_EN: 0
; COMPUTE_PGM_RSRC2:USER_SGPR: 6
; COMPUTE_PGM_RSRC2:TRAP_HANDLER: 0
; COMPUTE_PGM_RSRC2:TGID_X_EN: 1
; COMPUTE_PGM_RSRC2:TGID_Y_EN: 0
; COMPUTE_PGM_RSRC2:TGID_Z_EN: 0
; COMPUTE_PGM_RSRC2:TIDIG_COMP_CNT: 0
; COMPUTE_PGM_RSRC3_GFX90A:ACCUM_OFFSET: 5
; COMPUTE_PGM_RSRC3_GFX90A:TG_SPLIT: 0
	.section	.text._ZN9rocsparseL37gebsr2csr_block_per_row_33_128_kernelILi1024ELi128ELi16ELi32ELi16E21rocsparse_complex_numIdEEEv20rocsparse_direction_ii21rocsparse_index_base_PKT4_PKiS9_iiS4_PS5_PiSB_,"axG",@progbits,_ZN9rocsparseL37gebsr2csr_block_per_row_33_128_kernelILi1024ELi128ELi16ELi32ELi16E21rocsparse_complex_numIdEEEv20rocsparse_direction_ii21rocsparse_index_base_PKT4_PKiS9_iiS4_PS5_PiSB_,comdat
	.globl	_ZN9rocsparseL37gebsr2csr_block_per_row_33_128_kernelILi1024ELi128ELi16ELi32ELi16E21rocsparse_complex_numIdEEEv20rocsparse_direction_ii21rocsparse_index_base_PKT4_PKiS9_iiS4_PS5_PiSB_ ; -- Begin function _ZN9rocsparseL37gebsr2csr_block_per_row_33_128_kernelILi1024ELi128ELi16ELi32ELi16E21rocsparse_complex_numIdEEEv20rocsparse_direction_ii21rocsparse_index_base_PKT4_PKiS9_iiS4_PS5_PiSB_
	.p2align	8
	.type	_ZN9rocsparseL37gebsr2csr_block_per_row_33_128_kernelILi1024ELi128ELi16ELi32ELi16E21rocsparse_complex_numIdEEEv20rocsparse_direction_ii21rocsparse_index_base_PKT4_PKiS9_iiS4_PS5_PiSB_,@function
_ZN9rocsparseL37gebsr2csr_block_per_row_33_128_kernelILi1024ELi128ELi16ELi32ELi16E21rocsparse_complex_numIdEEEv20rocsparse_direction_ii21rocsparse_index_base_PKT4_PKiS9_iiS4_PS5_PiSB_: ; @_ZN9rocsparseL37gebsr2csr_block_per_row_33_128_kernelILi1024ELi128ELi16ELi32ELi16E21rocsparse_complex_numIdEEEv20rocsparse_direction_ii21rocsparse_index_base_PKT4_PKiS9_iiS4_PS5_PiSB_
; %bb.0:
	s_load_dwordx2 s[0:1], s[4:5], 0x18
	s_load_dwordx4 s[12:15], s[4:5], 0x28
	s_load_dwordx2 s[2:3], s[4:5], 0x40
	s_ashr_i32 s7, s6, 31
	s_lshl_b64 s[8:9], s[6:7], 2
	s_waitcnt lgkmcnt(0)
	s_add_u32 s0, s0, s8
	s_addc_u32 s1, s1, s9
	s_load_dwordx2 s[22:23], s[0:1], 0x0
	v_or_b32_e32 v1, s6, v0
	v_cmp_eq_u32_e32 vcc, 0, v1
	s_and_saveexec_b64 s[0:1], vcc
	s_cbranch_execz .LBB192_2
; %bb.1:
	v_mov_b32_e32 v1, 0
	v_mov_b32_e32 v2, s14
	global_store_dword v1, v2, s[2:3]
.LBB192_2:
	s_or_b64 exec, exec, s[0:1]
	s_load_dword s24, s[4:5], 0xc
	v_lshrrev_b32_e32 v2, 4, v0
	s_mul_i32 s15, s6, s12
	s_waitcnt lgkmcnt(0)
	s_sub_i32 s10, s22, s24
	s_sub_i32 s25, s23, s24
	s_mul_i32 s11, s10, s13
	s_sub_i32 s27, s25, s10
	s_mul_i32 s0, s11, s12
	s_mul_i32 s18, s27, s13
	s_add_i32 s19, s0, s14
	s_add_i32 s19, s19, s18
	v_cmp_gt_i32_e64 s[0:1], s12, v2
	s_and_saveexec_b64 s[6:7], s[0:1]
	s_cbranch_execz .LBB192_4
; %bb.3:
	v_add_u32_e32 v4, s15, v2
	v_ashrrev_i32_e32 v5, 31, v4
	v_lshlrev_b64 v[4:5], 2, v[4:5]
	v_mul_lo_u32 v1, v2, s18
	v_mov_b32_e32 v3, s3
	v_add_co_u32_e32 v4, vcc, s2, v4
	v_add_u32_e32 v1, s19, v1
	v_addc_co_u32_e32 v5, vcc, v3, v5, vcc
	global_store_dword v[4:5], v1, off offset:4
.LBB192_4:
	s_or_b64 exec, exec, s[6:7]
	s_add_u32 s20, s2, 4
	v_add_u32_e32 v1, 32, v2
	s_addc_u32 s21, s3, 0
	v_cmp_gt_i32_e64 s[2:3], s12, v1
	s_and_saveexec_b64 s[6:7], s[2:3]
	s_cbranch_execz .LBB192_6
; %bb.5:
	s_ashr_i32 s8, s15, 31
	v_mov_b32_e32 v3, s8
	v_add_co_u32_e32 v4, vcc, s15, v2
	v_addc_co_u32_e32 v5, vcc, 0, v3, vcc
	v_lshlrev_b64 v[4:5], 2, v[4:5]
	v_mul_lo_u32 v1, v1, s18
	v_mov_b32_e32 v3, s21
	v_add_co_u32_e32 v4, vcc, s20, v4
	v_add_u32_e32 v1, s19, v1
	v_addc_co_u32_e32 v5, vcc, v3, v5, vcc
	global_store_dword v[4:5], v1, off offset:128
.LBB192_6:
	s_or_b64 exec, exec, s[6:7]
	v_or_b32_e32 v1, 64, v2
	v_cmp_gt_i32_e64 s[6:7], s12, v1
	s_and_saveexec_b64 s[8:9], s[6:7]
	s_cbranch_execz .LBB192_8
; %bb.7:
	s_ashr_i32 s16, s15, 31
	v_mov_b32_e32 v3, s16
	v_add_co_u32_e32 v4, vcc, s15, v2
	v_addc_co_u32_e32 v5, vcc, 0, v3, vcc
	v_lshlrev_b64 v[4:5], 2, v[4:5]
	v_mul_lo_u32 v1, v1, s18
	v_mov_b32_e32 v3, s21
	v_add_co_u32_e32 v4, vcc, s20, v4
	v_add_u32_e32 v1, s19, v1
	v_addc_co_u32_e32 v5, vcc, v3, v5, vcc
	global_store_dword v[4:5], v1, off offset:256
.LBB192_8:
	s_or_b64 exec, exec, s[8:9]
	v_add_u32_e32 v1, 0x60, v2
	v_cmp_gt_i32_e64 s[8:9], s12, v1
	s_and_saveexec_b64 s[16:17], s[8:9]
	s_cbranch_execz .LBB192_10
; %bb.9:
	v_mul_lo_u32 v1, v1, s18
	s_ashr_i32 s18, s15, 31
	v_mov_b32_e32 v3, s18
	v_add_co_u32_e32 v4, vcc, s15, v2
	v_addc_co_u32_e32 v5, vcc, 0, v3, vcc
	v_lshlrev_b64 v[4:5], 2, v[4:5]
	v_mov_b32_e32 v3, s21
	v_add_co_u32_e32 v4, vcc, s20, v4
	v_add_u32_e32 v1, s19, v1
	v_addc_co_u32_e32 v5, vcc, v3, v5, vcc
	global_store_dword v[4:5], v1, off offset:384
.LBB192_10:
	s_or_b64 exec, exec, s[16:17]
	s_cmp_lt_i32 s22, s23
	s_cbranch_scc0 .LBB192_21
; %bb.11:
	s_load_dwordx2 s[28:29], s[4:5], 0x20
	s_load_dwordx2 s[16:17], s[4:5], 0x38
	s_load_dwordx2 s[18:19], s[4:5], 0x48
	s_load_dwordx2 s[20:21], s[4:5], 0x10
	s_load_dword s15, s[4:5], 0x0
	v_and_b32_e32 v3, 15, v0
	v_cmp_gt_i32_e64 s[4:5], s13, v3
	v_add_u32_e32 v4, s14, v3
	v_mul_lo_u32 v9, v2, s27
	s_waitcnt lgkmcnt(0)
	s_cmp_eq_u32 s15, 0
	s_cselect_b64 vcc, -1, 0
	s_and_b64 s[14:15], s[4:5], s[0:1]
	s_and_b64 s[2:3], s[4:5], s[2:3]
	s_and_b64 s[6:7], s[4:5], s[6:7]
	s_and_b64 s[4:5], s[4:5], s[8:9]
	s_mul_i32 s8, s12, s10
	v_add_u32_e32 v0, s8, v2
	v_add_u32_e32 v1, 0x60, v0
	v_mul_lo_u32 v5, s13, v1
	v_add_u32_e32 v1, 64, v0
	v_mul_lo_u32 v6, s13, v1
	;; [unrolled: 2-line block ×4, first 2 shown]
	v_mad_u64_u32 v[0:1], s[0:1], s12, v0, v[2:3]
	v_add_u32_e32 v10, s8, v9
	s_mul_i32 s0, s23, 0x60
	v_add_u32_e32 v1, s0, v10
	s_mul_i32 s0, s22, 0x60
	v_subrev_u32_e32 v1, s0, v1
	v_lshl_add_u32 v2, s23, 6, v10
	s_lshl_b32 s0, s22, 6
	v_subrev_u32_e32 v2, s0, v2
	v_lshl_add_u32 v9, s23, 5, v10
	s_lshl_b32 s0, s22, 5
	s_ashr_i32 s11, s10, 31
	v_subrev_u32_e32 v9, s0, v9
	s_lshl_b64 s[0:1], s[10:11], 2
	s_add_u32 s8, s28, s0
	s_mul_i32 s26, s13, s12
	v_mul_lo_u32 v1, s13, v1
	v_mul_lo_u32 v2, s13, v2
	;; [unrolled: 1-line block ×4, first 2 shown]
	s_addc_u32 s9, s29, s1
	s_branch .LBB192_13
.LBB192_12:                             ;   in Loop: Header=BB192_13 Depth=1
	s_or_b64 exec, exec, s[22:23]
	s_add_i32 s10, s10, 1
	s_add_u32 s8, s8, 4
	s_addc_u32 s9, s9, 0
	v_add_u32_e32 v5, s26, v5
	v_add_u32_e32 v6, s26, v6
	;; [unrolled: 1-line block ×8, first 2 shown]
	s_cmp_ge_i32 s10, s25
	v_add_u32_e32 v10, s13, v10
	s_cbranch_scc1 .LBB192_21
.LBB192_13:                             ; =>This Inner Loop Header: Depth=1
	s_load_dword s0, s[8:9], 0x0
	s_waitcnt lgkmcnt(0)
	s_sub_i32 s0, s0, s24
	s_mul_i32 s0, s0, s13
	v_add_u32_e32 v11, s0, v4
	s_and_saveexec_b64 s[22:23], s[14:15]
	s_cbranch_execnz .LBB192_17
; %bb.14:                               ;   in Loop: Header=BB192_13 Depth=1
	s_or_b64 exec, exec, s[22:23]
	s_and_saveexec_b64 s[22:23], s[2:3]
	s_cbranch_execnz .LBB192_18
.LBB192_15:                             ;   in Loop: Header=BB192_13 Depth=1
	s_or_b64 exec, exec, s[22:23]
	s_and_saveexec_b64 s[22:23], s[6:7]
	s_cbranch_execnz .LBB192_19
.LBB192_16:                             ;   in Loop: Header=BB192_13 Depth=1
	s_or_b64 exec, exec, s[22:23]
	s_and_saveexec_b64 s[22:23], s[4:5]
	s_cbranch_execz .LBB192_12
	s_branch .LBB192_20
.LBB192_17:                             ;   in Loop: Header=BB192_13 Depth=1
	v_add_u32_e32 v12, v3, v8
	v_cndmask_b32_e32 v12, v0, v12, vcc
	v_ashrrev_i32_e32 v13, 31, v12
	v_lshlrev_b64 v[12:13], 4, v[12:13]
	v_mov_b32_e32 v14, s21
	v_add_co_u32_e64 v12, s[0:1], s20, v12
	v_addc_co_u32_e64 v13, s[0:1], v14, v13, s[0:1]
	global_load_dwordx4 v[12:15], v[12:13], off
	v_add_u32_e32 v16, v3, v10
	v_ashrrev_i32_e32 v17, 31, v16
	v_lshlrev_b64 v[18:19], 2, v[16:17]
	v_mov_b32_e32 v20, s19
	v_add_co_u32_e64 v18, s[0:1], s18, v18
	v_addc_co_u32_e64 v19, s[0:1], v20, v19, s[0:1]
	v_lshlrev_b64 v[16:17], 4, v[16:17]
	global_store_dword v[18:19], v11, off
	v_mov_b32_e32 v18, s17
	v_add_co_u32_e64 v16, s[0:1], s16, v16
	v_addc_co_u32_e64 v17, s[0:1], v18, v17, s[0:1]
	s_waitcnt vmcnt(1)
	global_store_dwordx4 v[16:17], v[12:15], off
	s_or_b64 exec, exec, s[22:23]
	s_and_saveexec_b64 s[22:23], s[2:3]
	s_cbranch_execz .LBB192_15
.LBB192_18:                             ;   in Loop: Header=BB192_13 Depth=1
	v_add_u32_e32 v12, v3, v7
	v_add_u32_e32 v13, 32, v0
	v_cndmask_b32_e32 v12, v13, v12, vcc
	v_ashrrev_i32_e32 v13, 31, v12
	v_lshlrev_b64 v[12:13], 4, v[12:13]
	v_mov_b32_e32 v14, s21
	v_add_co_u32_e64 v12, s[0:1], s20, v12
	v_addc_co_u32_e64 v13, s[0:1], v14, v13, s[0:1]
	global_load_dwordx4 v[12:15], v[12:13], off
	v_add_u32_e32 v16, v3, v9
	v_ashrrev_i32_e32 v17, 31, v16
	v_lshlrev_b64 v[18:19], 2, v[16:17]
	v_mov_b32_e32 v20, s19
	v_add_co_u32_e64 v18, s[0:1], s18, v18
	v_addc_co_u32_e64 v19, s[0:1], v20, v19, s[0:1]
	v_lshlrev_b64 v[16:17], 4, v[16:17]
	global_store_dword v[18:19], v11, off
	v_mov_b32_e32 v18, s17
	v_add_co_u32_e64 v16, s[0:1], s16, v16
	v_addc_co_u32_e64 v17, s[0:1], v18, v17, s[0:1]
	s_waitcnt vmcnt(1)
	global_store_dwordx4 v[16:17], v[12:15], off
	s_or_b64 exec, exec, s[22:23]
	s_and_saveexec_b64 s[22:23], s[6:7]
	s_cbranch_execz .LBB192_16
.LBB192_19:                             ;   in Loop: Header=BB192_13 Depth=1
	v_add_u32_e32 v12, v3, v6
	v_add_u32_e32 v13, 64, v0
	v_cndmask_b32_e32 v12, v13, v12, vcc
	v_ashrrev_i32_e32 v13, 31, v12
	v_lshlrev_b64 v[12:13], 4, v[12:13]
	v_mov_b32_e32 v14, s21
	v_add_co_u32_e64 v12, s[0:1], s20, v12
	v_addc_co_u32_e64 v13, s[0:1], v14, v13, s[0:1]
	global_load_dwordx4 v[12:15], v[12:13], off
	v_add_u32_e32 v16, v3, v2
	v_ashrrev_i32_e32 v17, 31, v16
	v_lshlrev_b64 v[18:19], 2, v[16:17]
	v_mov_b32_e32 v20, s19
	v_add_co_u32_e64 v18, s[0:1], s18, v18
	v_addc_co_u32_e64 v19, s[0:1], v20, v19, s[0:1]
	v_lshlrev_b64 v[16:17], 4, v[16:17]
	global_store_dword v[18:19], v11, off
	v_mov_b32_e32 v18, s17
	v_add_co_u32_e64 v16, s[0:1], s16, v16
	v_addc_co_u32_e64 v17, s[0:1], v18, v17, s[0:1]
	s_waitcnt vmcnt(1)
	global_store_dwordx4 v[16:17], v[12:15], off
	s_or_b64 exec, exec, s[22:23]
	s_and_saveexec_b64 s[22:23], s[4:5]
	s_cbranch_execz .LBB192_12
.LBB192_20:                             ;   in Loop: Header=BB192_13 Depth=1
	v_add_u32_e32 v12, v3, v5
	v_add_u32_e32 v13, 0x60, v0
	v_cndmask_b32_e32 v12, v13, v12, vcc
	v_ashrrev_i32_e32 v13, 31, v12
	v_lshlrev_b64 v[12:13], 4, v[12:13]
	v_mov_b32_e32 v14, s21
	v_add_co_u32_e64 v12, s[0:1], s20, v12
	v_addc_co_u32_e64 v13, s[0:1], v14, v13, s[0:1]
	global_load_dwordx4 v[12:15], v[12:13], off
	v_add_u32_e32 v16, v3, v1
	v_ashrrev_i32_e32 v17, 31, v16
	v_lshlrev_b64 v[18:19], 2, v[16:17]
	v_mov_b32_e32 v20, s19
	v_add_co_u32_e64 v18, s[0:1], s18, v18
	v_addc_co_u32_e64 v19, s[0:1], v20, v19, s[0:1]
	v_lshlrev_b64 v[16:17], 4, v[16:17]
	global_store_dword v[18:19], v11, off
	v_mov_b32_e32 v11, s17
	v_add_co_u32_e64 v16, s[0:1], s16, v16
	v_addc_co_u32_e64 v17, s[0:1], v11, v17, s[0:1]
	s_waitcnt vmcnt(1)
	global_store_dwordx4 v[16:17], v[12:15], off
	s_branch .LBB192_12
.LBB192_21:
	s_endpgm
	.section	.rodata,"a",@progbits
	.p2align	6, 0x0
	.amdhsa_kernel _ZN9rocsparseL37gebsr2csr_block_per_row_33_128_kernelILi1024ELi128ELi16ELi32ELi16E21rocsparse_complex_numIdEEEv20rocsparse_direction_ii21rocsparse_index_base_PKT4_PKiS9_iiS4_PS5_PiSB_
		.amdhsa_group_segment_fixed_size 0
		.amdhsa_private_segment_fixed_size 0
		.amdhsa_kernarg_size 80
		.amdhsa_user_sgpr_count 6
		.amdhsa_user_sgpr_private_segment_buffer 1
		.amdhsa_user_sgpr_dispatch_ptr 0
		.amdhsa_user_sgpr_queue_ptr 0
		.amdhsa_user_sgpr_kernarg_segment_ptr 1
		.amdhsa_user_sgpr_dispatch_id 0
		.amdhsa_user_sgpr_flat_scratch_init 0
		.amdhsa_user_sgpr_kernarg_preload_length 0
		.amdhsa_user_sgpr_kernarg_preload_offset 0
		.amdhsa_user_sgpr_private_segment_size 0
		.amdhsa_uses_dynamic_stack 0
		.amdhsa_system_sgpr_private_segment_wavefront_offset 0
		.amdhsa_system_sgpr_workgroup_id_x 1
		.amdhsa_system_sgpr_workgroup_id_y 0
		.amdhsa_system_sgpr_workgroup_id_z 0
		.amdhsa_system_sgpr_workgroup_info 0
		.amdhsa_system_vgpr_workitem_id 0
		.amdhsa_next_free_vgpr 21
		.amdhsa_next_free_sgpr 30
		.amdhsa_accum_offset 24
		.amdhsa_reserve_vcc 1
		.amdhsa_reserve_flat_scratch 0
		.amdhsa_float_round_mode_32 0
		.amdhsa_float_round_mode_16_64 0
		.amdhsa_float_denorm_mode_32 3
		.amdhsa_float_denorm_mode_16_64 3
		.amdhsa_dx10_clamp 1
		.amdhsa_ieee_mode 1
		.amdhsa_fp16_overflow 0
		.amdhsa_tg_split 0
		.amdhsa_exception_fp_ieee_invalid_op 0
		.amdhsa_exception_fp_denorm_src 0
		.amdhsa_exception_fp_ieee_div_zero 0
		.amdhsa_exception_fp_ieee_overflow 0
		.amdhsa_exception_fp_ieee_underflow 0
		.amdhsa_exception_fp_ieee_inexact 0
		.amdhsa_exception_int_div_zero 0
	.end_amdhsa_kernel
	.section	.text._ZN9rocsparseL37gebsr2csr_block_per_row_33_128_kernelILi1024ELi128ELi16ELi32ELi16E21rocsparse_complex_numIdEEEv20rocsparse_direction_ii21rocsparse_index_base_PKT4_PKiS9_iiS4_PS5_PiSB_,"axG",@progbits,_ZN9rocsparseL37gebsr2csr_block_per_row_33_128_kernelILi1024ELi128ELi16ELi32ELi16E21rocsparse_complex_numIdEEEv20rocsparse_direction_ii21rocsparse_index_base_PKT4_PKiS9_iiS4_PS5_PiSB_,comdat
.Lfunc_end192:
	.size	_ZN9rocsparseL37gebsr2csr_block_per_row_33_128_kernelILi1024ELi128ELi16ELi32ELi16E21rocsparse_complex_numIdEEEv20rocsparse_direction_ii21rocsparse_index_base_PKT4_PKiS9_iiS4_PS5_PiSB_, .Lfunc_end192-_ZN9rocsparseL37gebsr2csr_block_per_row_33_128_kernelILi1024ELi128ELi16ELi32ELi16E21rocsparse_complex_numIdEEEv20rocsparse_direction_ii21rocsparse_index_base_PKT4_PKiS9_iiS4_PS5_PiSB_
                                        ; -- End function
	.section	.AMDGPU.csdata,"",@progbits
; Kernel info:
; codeLenInByte = 1464
; NumSgprs: 34
; NumVgprs: 21
; NumAgprs: 0
; TotalNumVgprs: 21
; ScratchSize: 0
; MemoryBound: 0
; FloatMode: 240
; IeeeMode: 1
; LDSByteSize: 0 bytes/workgroup (compile time only)
; SGPRBlocks: 4
; VGPRBlocks: 2
; NumSGPRsForWavesPerEU: 34
; NumVGPRsForWavesPerEU: 21
; AccumOffset: 24
; Occupancy: 8
; WaveLimiterHint : 0
; COMPUTE_PGM_RSRC2:SCRATCH_EN: 0
; COMPUTE_PGM_RSRC2:USER_SGPR: 6
; COMPUTE_PGM_RSRC2:TRAP_HANDLER: 0
; COMPUTE_PGM_RSRC2:TGID_X_EN: 1
; COMPUTE_PGM_RSRC2:TGID_Y_EN: 0
; COMPUTE_PGM_RSRC2:TGID_Z_EN: 0
; COMPUTE_PGM_RSRC2:TIDIG_COMP_CNT: 0
; COMPUTE_PGM_RSRC3_GFX90A:ACCUM_OFFSET: 5
; COMPUTE_PGM_RSRC3_GFX90A:TG_SPLIT: 0
	.section	.text._ZN9rocsparseL37gebsr2csr_block_per_row_33_128_kernelILi1024ELi128ELi32ELi32ELi32E21rocsparse_complex_numIdEEEv20rocsparse_direction_ii21rocsparse_index_base_PKT4_PKiS9_iiS4_PS5_PiSB_,"axG",@progbits,_ZN9rocsparseL37gebsr2csr_block_per_row_33_128_kernelILi1024ELi128ELi32ELi32ELi32E21rocsparse_complex_numIdEEEv20rocsparse_direction_ii21rocsparse_index_base_PKT4_PKiS9_iiS4_PS5_PiSB_,comdat
	.globl	_ZN9rocsparseL37gebsr2csr_block_per_row_33_128_kernelILi1024ELi128ELi32ELi32ELi32E21rocsparse_complex_numIdEEEv20rocsparse_direction_ii21rocsparse_index_base_PKT4_PKiS9_iiS4_PS5_PiSB_ ; -- Begin function _ZN9rocsparseL37gebsr2csr_block_per_row_33_128_kernelILi1024ELi128ELi32ELi32ELi32E21rocsparse_complex_numIdEEEv20rocsparse_direction_ii21rocsparse_index_base_PKT4_PKiS9_iiS4_PS5_PiSB_
	.p2align	8
	.type	_ZN9rocsparseL37gebsr2csr_block_per_row_33_128_kernelILi1024ELi128ELi32ELi32ELi32E21rocsparse_complex_numIdEEEv20rocsparse_direction_ii21rocsparse_index_base_PKT4_PKiS9_iiS4_PS5_PiSB_,@function
_ZN9rocsparseL37gebsr2csr_block_per_row_33_128_kernelILi1024ELi128ELi32ELi32ELi32E21rocsparse_complex_numIdEEEv20rocsparse_direction_ii21rocsparse_index_base_PKT4_PKiS9_iiS4_PS5_PiSB_: ; @_ZN9rocsparseL37gebsr2csr_block_per_row_33_128_kernelILi1024ELi128ELi32ELi32ELi32E21rocsparse_complex_numIdEEEv20rocsparse_direction_ii21rocsparse_index_base_PKT4_PKiS9_iiS4_PS5_PiSB_
; %bb.0:
	s_load_dwordx2 s[0:1], s[4:5], 0x18
	s_load_dwordx4 s[12:15], s[4:5], 0x28
	s_load_dwordx2 s[2:3], s[4:5], 0x40
	s_ashr_i32 s7, s6, 31
	s_lshl_b64 s[8:9], s[6:7], 2
	s_waitcnt lgkmcnt(0)
	s_add_u32 s0, s0, s8
	s_addc_u32 s1, s1, s9
	s_load_dwordx2 s[22:23], s[0:1], 0x0
	v_or_b32_e32 v1, s6, v0
	v_cmp_eq_u32_e32 vcc, 0, v1
	s_and_saveexec_b64 s[0:1], vcc
	s_cbranch_execz .LBB193_2
; %bb.1:
	v_mov_b32_e32 v1, 0
	v_mov_b32_e32 v2, s14
	global_store_dword v1, v2, s[2:3]
.LBB193_2:
	s_or_b64 exec, exec, s[0:1]
	s_load_dword s24, s[4:5], 0xc
	v_lshrrev_b32_e32 v2, 5, v0
	s_mul_i32 s15, s6, s12
	s_waitcnt lgkmcnt(0)
	s_sub_i32 s10, s22, s24
	s_sub_i32 s25, s23, s24
	s_mul_i32 s11, s10, s13
	s_sub_i32 s27, s25, s10
	s_mul_i32 s0, s11, s12
	s_mul_i32 s18, s27, s13
	s_add_i32 s19, s0, s14
	s_add_i32 s19, s19, s18
	v_cmp_gt_i32_e64 s[0:1], s12, v2
	s_and_saveexec_b64 s[6:7], s[0:1]
	s_cbranch_execz .LBB193_4
; %bb.3:
	v_add_u32_e32 v4, s15, v2
	v_ashrrev_i32_e32 v5, 31, v4
	v_lshlrev_b64 v[4:5], 2, v[4:5]
	v_mul_lo_u32 v1, v2, s18
	v_mov_b32_e32 v3, s3
	v_add_co_u32_e32 v4, vcc, s2, v4
	v_add_u32_e32 v1, s19, v1
	v_addc_co_u32_e32 v5, vcc, v3, v5, vcc
	global_store_dword v[4:5], v1, off offset:4
.LBB193_4:
	s_or_b64 exec, exec, s[6:7]
	s_add_u32 s20, s2, 4
	v_or_b32_e32 v1, 32, v2
	s_addc_u32 s21, s3, 0
	v_cmp_gt_i32_e64 s[2:3], s12, v1
	s_and_saveexec_b64 s[6:7], s[2:3]
	s_cbranch_execz .LBB193_6
; %bb.5:
	s_ashr_i32 s8, s15, 31
	v_mov_b32_e32 v3, s8
	v_add_co_u32_e32 v4, vcc, s15, v2
	v_addc_co_u32_e32 v5, vcc, 0, v3, vcc
	v_lshlrev_b64 v[4:5], 2, v[4:5]
	v_mul_lo_u32 v1, v1, s18
	v_mov_b32_e32 v3, s21
	v_add_co_u32_e32 v4, vcc, s20, v4
	v_add_u32_e32 v1, s19, v1
	v_addc_co_u32_e32 v5, vcc, v3, v5, vcc
	global_store_dword v[4:5], v1, off offset:128
.LBB193_6:
	s_or_b64 exec, exec, s[6:7]
	v_or_b32_e32 v1, 64, v2
	v_cmp_gt_i32_e64 s[6:7], s12, v1
	s_and_saveexec_b64 s[8:9], s[6:7]
	s_cbranch_execz .LBB193_8
; %bb.7:
	s_ashr_i32 s16, s15, 31
	v_mov_b32_e32 v3, s16
	v_add_co_u32_e32 v4, vcc, s15, v2
	v_addc_co_u32_e32 v5, vcc, 0, v3, vcc
	v_lshlrev_b64 v[4:5], 2, v[4:5]
	v_mul_lo_u32 v1, v1, s18
	v_mov_b32_e32 v3, s21
	v_add_co_u32_e32 v4, vcc, s20, v4
	v_add_u32_e32 v1, s19, v1
	v_addc_co_u32_e32 v5, vcc, v3, v5, vcc
	global_store_dword v[4:5], v1, off offset:256
.LBB193_8:
	s_or_b64 exec, exec, s[8:9]
	v_or_b32_e32 v1, 0x60, v2
	v_cmp_gt_i32_e64 s[8:9], s12, v1
	s_and_saveexec_b64 s[16:17], s[8:9]
	s_cbranch_execz .LBB193_10
; %bb.9:
	v_mul_lo_u32 v1, v1, s18
	s_ashr_i32 s18, s15, 31
	v_mov_b32_e32 v3, s18
	v_add_co_u32_e32 v4, vcc, s15, v2
	v_addc_co_u32_e32 v5, vcc, 0, v3, vcc
	v_lshlrev_b64 v[4:5], 2, v[4:5]
	v_mov_b32_e32 v3, s21
	v_add_co_u32_e32 v4, vcc, s20, v4
	v_add_u32_e32 v1, s19, v1
	v_addc_co_u32_e32 v5, vcc, v3, v5, vcc
	global_store_dword v[4:5], v1, off offset:384
.LBB193_10:
	s_or_b64 exec, exec, s[16:17]
	s_cmp_lt_i32 s22, s23
	s_cbranch_scc0 .LBB193_21
; %bb.11:
	s_load_dwordx2 s[28:29], s[4:5], 0x20
	s_load_dwordx2 s[16:17], s[4:5], 0x38
	;; [unrolled: 1-line block ×4, first 2 shown]
	s_load_dword s15, s[4:5], 0x0
	v_and_b32_e32 v3, 31, v0
	v_cmp_gt_i32_e64 s[4:5], s13, v3
	v_add_u32_e32 v4, s14, v3
	v_mul_lo_u32 v9, v2, s27
	s_waitcnt lgkmcnt(0)
	s_cmp_eq_u32 s15, 0
	s_cselect_b64 vcc, -1, 0
	s_and_b64 s[14:15], s[4:5], s[0:1]
	s_and_b64 s[2:3], s[4:5], s[2:3]
	;; [unrolled: 1-line block ×4, first 2 shown]
	s_mul_i32 s8, s12, s10
	v_add_u32_e32 v0, s8, v2
	v_add_u32_e32 v1, 0x60, v0
	v_mul_lo_u32 v5, s13, v1
	v_add_u32_e32 v1, 64, v0
	v_mul_lo_u32 v6, s13, v1
	;; [unrolled: 2-line block ×4, first 2 shown]
	v_mad_u64_u32 v[0:1], s[0:1], s12, v0, v[2:3]
	v_add_u32_e32 v10, s8, v9
	s_mul_i32 s0, s23, 0x60
	v_add_u32_e32 v1, s0, v10
	s_mul_i32 s0, s22, 0x60
	v_subrev_u32_e32 v1, s0, v1
	v_lshl_add_u32 v2, s23, 6, v10
	s_lshl_b32 s0, s22, 6
	v_subrev_u32_e32 v2, s0, v2
	v_lshl_add_u32 v9, s23, 5, v10
	s_lshl_b32 s0, s22, 5
	s_ashr_i32 s11, s10, 31
	v_subrev_u32_e32 v9, s0, v9
	s_lshl_b64 s[0:1], s[10:11], 2
	s_add_u32 s8, s28, s0
	s_mul_i32 s26, s13, s12
	v_mul_lo_u32 v1, s13, v1
	v_mul_lo_u32 v2, s13, v2
	;; [unrolled: 1-line block ×4, first 2 shown]
	s_addc_u32 s9, s29, s1
	s_branch .LBB193_13
.LBB193_12:                             ;   in Loop: Header=BB193_13 Depth=1
	s_or_b64 exec, exec, s[22:23]
	s_add_i32 s10, s10, 1
	s_add_u32 s8, s8, 4
	s_addc_u32 s9, s9, 0
	v_add_u32_e32 v5, s26, v5
	v_add_u32_e32 v6, s26, v6
	;; [unrolled: 1-line block ×8, first 2 shown]
	s_cmp_ge_i32 s10, s25
	v_add_u32_e32 v10, s13, v10
	s_cbranch_scc1 .LBB193_21
.LBB193_13:                             ; =>This Inner Loop Header: Depth=1
	s_load_dword s0, s[8:9], 0x0
	s_waitcnt lgkmcnt(0)
	s_sub_i32 s0, s0, s24
	s_mul_i32 s0, s0, s13
	v_add_u32_e32 v11, s0, v4
	s_and_saveexec_b64 s[22:23], s[14:15]
	s_cbranch_execnz .LBB193_17
; %bb.14:                               ;   in Loop: Header=BB193_13 Depth=1
	s_or_b64 exec, exec, s[22:23]
	s_and_saveexec_b64 s[22:23], s[2:3]
	s_cbranch_execnz .LBB193_18
.LBB193_15:                             ;   in Loop: Header=BB193_13 Depth=1
	s_or_b64 exec, exec, s[22:23]
	s_and_saveexec_b64 s[22:23], s[6:7]
	s_cbranch_execnz .LBB193_19
.LBB193_16:                             ;   in Loop: Header=BB193_13 Depth=1
	s_or_b64 exec, exec, s[22:23]
	s_and_saveexec_b64 s[22:23], s[4:5]
	s_cbranch_execz .LBB193_12
	s_branch .LBB193_20
.LBB193_17:                             ;   in Loop: Header=BB193_13 Depth=1
	v_add_u32_e32 v12, v3, v8
	v_cndmask_b32_e32 v12, v0, v12, vcc
	v_ashrrev_i32_e32 v13, 31, v12
	v_lshlrev_b64 v[12:13], 4, v[12:13]
	v_mov_b32_e32 v14, s21
	v_add_co_u32_e64 v12, s[0:1], s20, v12
	v_addc_co_u32_e64 v13, s[0:1], v14, v13, s[0:1]
	global_load_dwordx4 v[12:15], v[12:13], off
	v_add_u32_e32 v16, v3, v10
	v_ashrrev_i32_e32 v17, 31, v16
	v_lshlrev_b64 v[18:19], 2, v[16:17]
	v_mov_b32_e32 v20, s19
	v_add_co_u32_e64 v18, s[0:1], s18, v18
	v_addc_co_u32_e64 v19, s[0:1], v20, v19, s[0:1]
	v_lshlrev_b64 v[16:17], 4, v[16:17]
	global_store_dword v[18:19], v11, off
	v_mov_b32_e32 v18, s17
	v_add_co_u32_e64 v16, s[0:1], s16, v16
	v_addc_co_u32_e64 v17, s[0:1], v18, v17, s[0:1]
	s_waitcnt vmcnt(1)
	global_store_dwordx4 v[16:17], v[12:15], off
	s_or_b64 exec, exec, s[22:23]
	s_and_saveexec_b64 s[22:23], s[2:3]
	s_cbranch_execz .LBB193_15
.LBB193_18:                             ;   in Loop: Header=BB193_13 Depth=1
	v_add_u32_e32 v12, v3, v7
	v_add_u32_e32 v13, 32, v0
	v_cndmask_b32_e32 v12, v13, v12, vcc
	v_ashrrev_i32_e32 v13, 31, v12
	v_lshlrev_b64 v[12:13], 4, v[12:13]
	v_mov_b32_e32 v14, s21
	v_add_co_u32_e64 v12, s[0:1], s20, v12
	v_addc_co_u32_e64 v13, s[0:1], v14, v13, s[0:1]
	global_load_dwordx4 v[12:15], v[12:13], off
	v_add_u32_e32 v16, v3, v9
	v_ashrrev_i32_e32 v17, 31, v16
	v_lshlrev_b64 v[18:19], 2, v[16:17]
	v_mov_b32_e32 v20, s19
	v_add_co_u32_e64 v18, s[0:1], s18, v18
	v_addc_co_u32_e64 v19, s[0:1], v20, v19, s[0:1]
	v_lshlrev_b64 v[16:17], 4, v[16:17]
	global_store_dword v[18:19], v11, off
	v_mov_b32_e32 v18, s17
	v_add_co_u32_e64 v16, s[0:1], s16, v16
	v_addc_co_u32_e64 v17, s[0:1], v18, v17, s[0:1]
	s_waitcnt vmcnt(1)
	global_store_dwordx4 v[16:17], v[12:15], off
	s_or_b64 exec, exec, s[22:23]
	s_and_saveexec_b64 s[22:23], s[6:7]
	s_cbranch_execz .LBB193_16
.LBB193_19:                             ;   in Loop: Header=BB193_13 Depth=1
	v_add_u32_e32 v12, v3, v6
	v_add_u32_e32 v13, 64, v0
	v_cndmask_b32_e32 v12, v13, v12, vcc
	v_ashrrev_i32_e32 v13, 31, v12
	v_lshlrev_b64 v[12:13], 4, v[12:13]
	v_mov_b32_e32 v14, s21
	v_add_co_u32_e64 v12, s[0:1], s20, v12
	v_addc_co_u32_e64 v13, s[0:1], v14, v13, s[0:1]
	global_load_dwordx4 v[12:15], v[12:13], off
	v_add_u32_e32 v16, v3, v2
	v_ashrrev_i32_e32 v17, 31, v16
	v_lshlrev_b64 v[18:19], 2, v[16:17]
	v_mov_b32_e32 v20, s19
	v_add_co_u32_e64 v18, s[0:1], s18, v18
	v_addc_co_u32_e64 v19, s[0:1], v20, v19, s[0:1]
	v_lshlrev_b64 v[16:17], 4, v[16:17]
	global_store_dword v[18:19], v11, off
	v_mov_b32_e32 v18, s17
	v_add_co_u32_e64 v16, s[0:1], s16, v16
	v_addc_co_u32_e64 v17, s[0:1], v18, v17, s[0:1]
	s_waitcnt vmcnt(1)
	global_store_dwordx4 v[16:17], v[12:15], off
	s_or_b64 exec, exec, s[22:23]
	s_and_saveexec_b64 s[22:23], s[4:5]
	s_cbranch_execz .LBB193_12
.LBB193_20:                             ;   in Loop: Header=BB193_13 Depth=1
	v_add_u32_e32 v12, v3, v5
	v_add_u32_e32 v13, 0x60, v0
	v_cndmask_b32_e32 v12, v13, v12, vcc
	v_ashrrev_i32_e32 v13, 31, v12
	v_lshlrev_b64 v[12:13], 4, v[12:13]
	v_mov_b32_e32 v14, s21
	v_add_co_u32_e64 v12, s[0:1], s20, v12
	v_addc_co_u32_e64 v13, s[0:1], v14, v13, s[0:1]
	global_load_dwordx4 v[12:15], v[12:13], off
	v_add_u32_e32 v16, v3, v1
	v_ashrrev_i32_e32 v17, 31, v16
	v_lshlrev_b64 v[18:19], 2, v[16:17]
	v_mov_b32_e32 v20, s19
	v_add_co_u32_e64 v18, s[0:1], s18, v18
	v_addc_co_u32_e64 v19, s[0:1], v20, v19, s[0:1]
	v_lshlrev_b64 v[16:17], 4, v[16:17]
	global_store_dword v[18:19], v11, off
	v_mov_b32_e32 v11, s17
	v_add_co_u32_e64 v16, s[0:1], s16, v16
	v_addc_co_u32_e64 v17, s[0:1], v11, v17, s[0:1]
	s_waitcnt vmcnt(1)
	global_store_dwordx4 v[16:17], v[12:15], off
	s_branch .LBB193_12
.LBB193_21:
	s_endpgm
	.section	.rodata,"a",@progbits
	.p2align	6, 0x0
	.amdhsa_kernel _ZN9rocsparseL37gebsr2csr_block_per_row_33_128_kernelILi1024ELi128ELi32ELi32ELi32E21rocsparse_complex_numIdEEEv20rocsparse_direction_ii21rocsparse_index_base_PKT4_PKiS9_iiS4_PS5_PiSB_
		.amdhsa_group_segment_fixed_size 0
		.amdhsa_private_segment_fixed_size 0
		.amdhsa_kernarg_size 80
		.amdhsa_user_sgpr_count 6
		.amdhsa_user_sgpr_private_segment_buffer 1
		.amdhsa_user_sgpr_dispatch_ptr 0
		.amdhsa_user_sgpr_queue_ptr 0
		.amdhsa_user_sgpr_kernarg_segment_ptr 1
		.amdhsa_user_sgpr_dispatch_id 0
		.amdhsa_user_sgpr_flat_scratch_init 0
		.amdhsa_user_sgpr_kernarg_preload_length 0
		.amdhsa_user_sgpr_kernarg_preload_offset 0
		.amdhsa_user_sgpr_private_segment_size 0
		.amdhsa_uses_dynamic_stack 0
		.amdhsa_system_sgpr_private_segment_wavefront_offset 0
		.amdhsa_system_sgpr_workgroup_id_x 1
		.amdhsa_system_sgpr_workgroup_id_y 0
		.amdhsa_system_sgpr_workgroup_id_z 0
		.amdhsa_system_sgpr_workgroup_info 0
		.amdhsa_system_vgpr_workitem_id 0
		.amdhsa_next_free_vgpr 21
		.amdhsa_next_free_sgpr 30
		.amdhsa_accum_offset 24
		.amdhsa_reserve_vcc 1
		.amdhsa_reserve_flat_scratch 0
		.amdhsa_float_round_mode_32 0
		.amdhsa_float_round_mode_16_64 0
		.amdhsa_float_denorm_mode_32 3
		.amdhsa_float_denorm_mode_16_64 3
		.amdhsa_dx10_clamp 1
		.amdhsa_ieee_mode 1
		.amdhsa_fp16_overflow 0
		.amdhsa_tg_split 0
		.amdhsa_exception_fp_ieee_invalid_op 0
		.amdhsa_exception_fp_denorm_src 0
		.amdhsa_exception_fp_ieee_div_zero 0
		.amdhsa_exception_fp_ieee_overflow 0
		.amdhsa_exception_fp_ieee_underflow 0
		.amdhsa_exception_fp_ieee_inexact 0
		.amdhsa_exception_int_div_zero 0
	.end_amdhsa_kernel
	.section	.text._ZN9rocsparseL37gebsr2csr_block_per_row_33_128_kernelILi1024ELi128ELi32ELi32ELi32E21rocsparse_complex_numIdEEEv20rocsparse_direction_ii21rocsparse_index_base_PKT4_PKiS9_iiS4_PS5_PiSB_,"axG",@progbits,_ZN9rocsparseL37gebsr2csr_block_per_row_33_128_kernelILi1024ELi128ELi32ELi32ELi32E21rocsparse_complex_numIdEEEv20rocsparse_direction_ii21rocsparse_index_base_PKT4_PKiS9_iiS4_PS5_PiSB_,comdat
.Lfunc_end193:
	.size	_ZN9rocsparseL37gebsr2csr_block_per_row_33_128_kernelILi1024ELi128ELi32ELi32ELi32E21rocsparse_complex_numIdEEEv20rocsparse_direction_ii21rocsparse_index_base_PKT4_PKiS9_iiS4_PS5_PiSB_, .Lfunc_end193-_ZN9rocsparseL37gebsr2csr_block_per_row_33_128_kernelILi1024ELi128ELi32ELi32ELi32E21rocsparse_complex_numIdEEEv20rocsparse_direction_ii21rocsparse_index_base_PKT4_PKiS9_iiS4_PS5_PiSB_
                                        ; -- End function
	.section	.AMDGPU.csdata,"",@progbits
; Kernel info:
; codeLenInByte = 1464
; NumSgprs: 34
; NumVgprs: 21
; NumAgprs: 0
; TotalNumVgprs: 21
; ScratchSize: 0
; MemoryBound: 0
; FloatMode: 240
; IeeeMode: 1
; LDSByteSize: 0 bytes/workgroup (compile time only)
; SGPRBlocks: 4
; VGPRBlocks: 2
; NumSGPRsForWavesPerEU: 34
; NumVGPRsForWavesPerEU: 21
; AccumOffset: 24
; Occupancy: 8
; WaveLimiterHint : 0
; COMPUTE_PGM_RSRC2:SCRATCH_EN: 0
; COMPUTE_PGM_RSRC2:USER_SGPR: 6
; COMPUTE_PGM_RSRC2:TRAP_HANDLER: 0
; COMPUTE_PGM_RSRC2:TGID_X_EN: 1
; COMPUTE_PGM_RSRC2:TGID_Y_EN: 0
; COMPUTE_PGM_RSRC2:TGID_Z_EN: 0
; COMPUTE_PGM_RSRC2:TIDIG_COMP_CNT: 0
; COMPUTE_PGM_RSRC3_GFX90A:ACCUM_OFFSET: 5
; COMPUTE_PGM_RSRC3_GFX90A:TG_SPLIT: 0
	.section	.text._ZN9rocsparseL37gebsr2csr_block_per_row_33_128_kernelILi1024ELi128ELi64ELi32ELi32E21rocsparse_complex_numIdEEEv20rocsparse_direction_ii21rocsparse_index_base_PKT4_PKiS9_iiS4_PS5_PiSB_,"axG",@progbits,_ZN9rocsparseL37gebsr2csr_block_per_row_33_128_kernelILi1024ELi128ELi64ELi32ELi32E21rocsparse_complex_numIdEEEv20rocsparse_direction_ii21rocsparse_index_base_PKT4_PKiS9_iiS4_PS5_PiSB_,comdat
	.globl	_ZN9rocsparseL37gebsr2csr_block_per_row_33_128_kernelILi1024ELi128ELi64ELi32ELi32E21rocsparse_complex_numIdEEEv20rocsparse_direction_ii21rocsparse_index_base_PKT4_PKiS9_iiS4_PS5_PiSB_ ; -- Begin function _ZN9rocsparseL37gebsr2csr_block_per_row_33_128_kernelILi1024ELi128ELi64ELi32ELi32E21rocsparse_complex_numIdEEEv20rocsparse_direction_ii21rocsparse_index_base_PKT4_PKiS9_iiS4_PS5_PiSB_
	.p2align	8
	.type	_ZN9rocsparseL37gebsr2csr_block_per_row_33_128_kernelILi1024ELi128ELi64ELi32ELi32E21rocsparse_complex_numIdEEEv20rocsparse_direction_ii21rocsparse_index_base_PKT4_PKiS9_iiS4_PS5_PiSB_,@function
_ZN9rocsparseL37gebsr2csr_block_per_row_33_128_kernelILi1024ELi128ELi64ELi32ELi32E21rocsparse_complex_numIdEEEv20rocsparse_direction_ii21rocsparse_index_base_PKT4_PKiS9_iiS4_PS5_PiSB_: ; @_ZN9rocsparseL37gebsr2csr_block_per_row_33_128_kernelILi1024ELi128ELi64ELi32ELi32E21rocsparse_complex_numIdEEEv20rocsparse_direction_ii21rocsparse_index_base_PKT4_PKiS9_iiS4_PS5_PiSB_
; %bb.0:
	s_load_dwordx2 s[0:1], s[4:5], 0x18
	s_load_dwordx4 s[12:15], s[4:5], 0x28
	s_load_dwordx2 s[2:3], s[4:5], 0x40
	s_ashr_i32 s7, s6, 31
	s_lshl_b64 s[8:9], s[6:7], 2
	s_waitcnt lgkmcnt(0)
	s_add_u32 s0, s0, s8
	s_addc_u32 s1, s1, s9
	s_load_dwordx2 s[34:35], s[0:1], 0x0
	v_or_b32_e32 v1, s6, v0
	v_cmp_eq_u32_e32 vcc, 0, v1
	s_and_saveexec_b64 s[0:1], vcc
	s_cbranch_execz .LBB194_2
; %bb.1:
	v_mov_b32_e32 v1, 0
	v_mov_b32_e32 v2, s14
	global_store_dword v1, v2, s[2:3]
.LBB194_2:
	s_or_b64 exec, exec, s[0:1]
	s_load_dword s15, s[4:5], 0xc
	v_lshrrev_b32_e32 v2, 5, v0
	s_mul_i32 s18, s6, s12
	s_waitcnt lgkmcnt(0)
	s_sub_i32 s16, s34, s15
	s_sub_i32 s33, s35, s15
	s_mul_i32 s17, s16, s13
	s_sub_i32 s24, s33, s16
	s_mul_i32 s0, s17, s12
	s_mul_i32 s19, s24, s13
	s_add_i32 s20, s0, s14
	s_add_i32 s20, s20, s19
	v_cmp_gt_i32_e64 s[0:1], s12, v2
	s_and_saveexec_b64 s[6:7], s[0:1]
	s_cbranch_execz .LBB194_4
; %bb.3:
	v_add_u32_e32 v4, s18, v2
	v_ashrrev_i32_e32 v5, 31, v4
	v_lshlrev_b64 v[4:5], 2, v[4:5]
	v_mul_lo_u32 v1, v2, s19
	v_mov_b32_e32 v3, s3
	v_add_co_u32_e32 v4, vcc, s2, v4
	v_add_u32_e32 v1, s20, v1
	v_addc_co_u32_e32 v5, vcc, v3, v5, vcc
	global_store_dword v[4:5], v1, off offset:4
.LBB194_4:
	s_or_b64 exec, exec, s[6:7]
	s_add_u32 s21, s2, 4
	v_or_b32_e32 v1, 32, v2
	s_addc_u32 s22, s3, 0
	v_cmp_gt_i32_e64 s[2:3], s12, v1
	s_and_saveexec_b64 s[6:7], s[2:3]
	s_cbranch_execz .LBB194_6
; %bb.5:
	s_ashr_i32 s8, s18, 31
	v_mov_b32_e32 v3, s8
	v_add_co_u32_e32 v4, vcc, s18, v2
	v_addc_co_u32_e32 v5, vcc, 0, v3, vcc
	v_lshlrev_b64 v[4:5], 2, v[4:5]
	v_mul_lo_u32 v1, v1, s19
	v_mov_b32_e32 v3, s22
	v_add_co_u32_e32 v4, vcc, s21, v4
	v_add_u32_e32 v1, s20, v1
	v_addc_co_u32_e32 v5, vcc, v3, v5, vcc
	global_store_dword v[4:5], v1, off offset:128
.LBB194_6:
	s_or_b64 exec, exec, s[6:7]
	v_or_b32_e32 v1, 64, v2
	v_cmp_gt_i32_e64 s[6:7], s12, v1
	s_and_saveexec_b64 s[8:9], s[6:7]
	s_cbranch_execz .LBB194_8
; %bb.7:
	s_ashr_i32 s10, s18, 31
	v_mov_b32_e32 v3, s10
	v_add_co_u32_e32 v4, vcc, s18, v2
	v_addc_co_u32_e32 v5, vcc, 0, v3, vcc
	v_lshlrev_b64 v[4:5], 2, v[4:5]
	v_mul_lo_u32 v1, v1, s19
	v_mov_b32_e32 v3, s22
	v_add_co_u32_e32 v4, vcc, s21, v4
	v_add_u32_e32 v1, s20, v1
	v_addc_co_u32_e32 v5, vcc, v3, v5, vcc
	global_store_dword v[4:5], v1, off offset:256
.LBB194_8:
	s_or_b64 exec, exec, s[8:9]
	v_or_b32_e32 v1, 0x60, v2
	v_cmp_gt_i32_e64 s[8:9], s12, v1
	s_and_saveexec_b64 s[10:11], s[8:9]
	s_cbranch_execz .LBB194_10
; %bb.9:
	v_mul_lo_u32 v1, v1, s19
	s_ashr_i32 s19, s18, 31
	v_mov_b32_e32 v3, s19
	v_add_co_u32_e32 v4, vcc, s18, v2
	v_addc_co_u32_e32 v5, vcc, 0, v3, vcc
	v_lshlrev_b64 v[4:5], 2, v[4:5]
	v_mov_b32_e32 v3, s22
	v_add_co_u32_e32 v4, vcc, s21, v4
	v_add_u32_e32 v1, s20, v1
	v_addc_co_u32_e32 v5, vcc, v3, v5, vcc
	global_store_dword v[4:5], v1, off offset:384
.LBB194_10:
	s_or_b64 exec, exec, s[10:11]
	s_cmp_lt_i32 s34, s35
	s_cbranch_scc0 .LBB194_29
; %bb.11:
	s_load_dwordx2 s[38:39], s[4:5], 0x20
	s_load_dwordx2 s[18:19], s[4:5], 0x38
	;; [unrolled: 1-line block ×3, first 2 shown]
	s_load_dword s10, s[4:5], 0x0
	s_load_dwordx2 s[22:23], s[4:5], 0x48
	v_and_b32_e32 v4, 31, v0
	v_or_b32_e32 v5, 32, v4
	v_cmp_gt_i32_e64 s[4:5], s13, v4
	s_waitcnt lgkmcnt(0)
	s_cmp_eq_u32 s10, 0
	v_cmp_gt_i32_e64 s[10:11], s13, v5
	s_cselect_b64 vcc, -1, 0
	v_mul_lo_u32 v10, v2, s24
	s_and_b64 s[24:25], s[0:1], s[4:5]
	s_and_b64 s[26:27], s[0:1], s[10:11]
	;; [unrolled: 1-line block ×8, first 2 shown]
	s_mul_i32 s10, s12, s16
	v_add_u32_e32 v0, s10, v2
	v_add_u32_e32 v1, 32, v0
	v_mul_lo_u32 v6, s13, v1
	v_add_u32_e32 v1, 64, v0
	v_add_u32_e32 v3, s17, v4
	v_mul_lo_u32 v7, s13, v1
	v_add_u32_e32 v1, 0x60, v0
	v_mul_lo_u32 v9, s13, v0
	v_add_u32_e32 v0, 32, v3
	v_mul_lo_u32 v8, s13, v1
	v_mad_u64_u32 v[0:1], s[0:1], s12, v0, v[2:3]
	v_mad_u64_u32 v[2:3], s[0:1], s12, v3, v[2:3]
	v_add_u32_e32 v11, s10, v10
	v_lshl_add_u32 v1, s35, 5, v11
	s_lshl_b32 s0, s34, 5
	v_subrev_u32_e32 v1, s0, v1
	v_lshl_add_u32 v3, s35, 6, v11
	s_lshl_b32 s0, s34, 6
	v_subrev_u32_e32 v3, s0, v3
	s_mul_i32 s0, s35, 0x60
	v_add_u32_e32 v10, s0, v11
	s_mul_i32 s0, s34, 0x60
	s_ashr_i32 s17, s16, 31
	v_subrev_u32_e32 v10, s0, v10
	s_lshl_b64 s[0:1], s[16:17], 2
	s_add_u32 s10, s38, s0
	s_mul_i32 s36, s13, s12
	s_mov_b32 s37, 0
	v_mul_lo_u32 v1, s13, v1
	v_mul_lo_u32 v3, s13, v3
	v_mul_lo_u32 v10, s13, v10
	v_mul_lo_u32 v11, s13, v11
	s_addc_u32 s11, s39, s1
	s_branch .LBB194_13
.LBB194_12:                             ;   in Loop: Header=BB194_13 Depth=1
	s_or_b64 exec, exec, s[34:35]
	s_add_i32 s16, s16, 1
	s_add_i32 s37, s37, s36
	s_add_u32 s10, s10, 4
	s_addc_u32 s11, s11, 0
	v_add_u32_e32 v6, s36, v6
	v_add_u32_e32 v7, s36, v7
	;; [unrolled: 1-line block ×7, first 2 shown]
	s_cmp_ge_i32 s16, s33
	v_add_u32_e32 v11, s13, v11
	s_cbranch_scc1 .LBB194_29
.LBB194_13:                             ; =>This Inner Loop Header: Depth=1
	s_load_dword s0, s[10:11], 0x0
	v_add_u32_e32 v14, s37, v2
	s_waitcnt lgkmcnt(0)
	s_sub_i32 s0, s0, s15
	s_mul_i32 s12, s0, s13
	s_add_i32 s12, s12, s14
	v_add_u32_e32 v12, s12, v4
	s_and_saveexec_b64 s[34:35], s[24:25]
	s_cbranch_execz .LBB194_15
; %bb.14:                               ;   in Loop: Header=BB194_13 Depth=1
	v_add_u32_e32 v13, v4, v9
	v_cndmask_b32_e32 v16, v14, v13, vcc
	v_ashrrev_i32_e32 v17, 31, v16
	v_lshlrev_b64 v[16:17], 4, v[16:17]
	v_mov_b32_e32 v13, s21
	v_add_co_u32_e64 v16, s[0:1], s20, v16
	v_addc_co_u32_e64 v17, s[0:1], v13, v17, s[0:1]
	global_load_dwordx4 v[16:19], v[16:17], off
	v_add_u32_e32 v20, v4, v11
	v_ashrrev_i32_e32 v21, 31, v20
	v_lshlrev_b64 v[22:23], 2, v[20:21]
	v_mov_b32_e32 v13, s23
	v_add_co_u32_e64 v22, s[0:1], s22, v22
	v_addc_co_u32_e64 v23, s[0:1], v13, v23, s[0:1]
	v_lshlrev_b64 v[20:21], 4, v[20:21]
	v_mov_b32_e32 v13, s19
	v_add_co_u32_e64 v20, s[0:1], s18, v20
	v_addc_co_u32_e64 v21, s[0:1], v13, v21, s[0:1]
	global_store_dword v[22:23], v12, off
	s_waitcnt vmcnt(1)
	global_store_dwordx4 v[20:21], v[16:19], off
.LBB194_15:                             ;   in Loop: Header=BB194_13 Depth=1
	s_or_b64 exec, exec, s[34:35]
	v_add_u32_e32 v13, s12, v5
	v_add_u32_e32 v15, s37, v0
	s_and_saveexec_b64 s[34:35], s[26:27]
	s_cbranch_execnz .LBB194_22
; %bb.16:                               ;   in Loop: Header=BB194_13 Depth=1
	s_or_b64 exec, exec, s[34:35]
	v_add_u32_e32 v16, v4, v6
	s_and_saveexec_b64 s[34:35], s[28:29]
	s_cbranch_execnz .LBB194_23
.LBB194_17:                             ;   in Loop: Header=BB194_13 Depth=1
	s_or_b64 exec, exec, s[34:35]
	s_and_saveexec_b64 s[34:35], s[2:3]
	s_cbranch_execnz .LBB194_24
.LBB194_18:                             ;   in Loop: Header=BB194_13 Depth=1
	s_or_b64 exec, exec, s[34:35]
	s_and_saveexec_b64 s[34:35], s[30:31]
	s_cbranch_execnz .LBB194_25
.LBB194_19:                             ;   in Loop: Header=BB194_13 Depth=1
	s_or_b64 exec, exec, s[34:35]
	s_and_saveexec_b64 s[34:35], s[6:7]
	s_cbranch_execnz .LBB194_26
.LBB194_20:                             ;   in Loop: Header=BB194_13 Depth=1
	s_or_b64 exec, exec, s[34:35]
	s_and_saveexec_b64 s[34:35], s[4:5]
	s_cbranch_execnz .LBB194_27
.LBB194_21:                             ;   in Loop: Header=BB194_13 Depth=1
	s_or_b64 exec, exec, s[34:35]
	s_and_saveexec_b64 s[34:35], s[8:9]
	s_cbranch_execz .LBB194_12
	s_branch .LBB194_28
.LBB194_22:                             ;   in Loop: Header=BB194_13 Depth=1
	v_add3_u32 v16, v4, v9, 32
	v_cndmask_b32_e32 v16, v15, v16, vcc
	v_ashrrev_i32_e32 v17, 31, v16
	v_lshlrev_b64 v[16:17], 4, v[16:17]
	v_mov_b32_e32 v18, s21
	v_add_co_u32_e64 v16, s[0:1], s20, v16
	v_addc_co_u32_e64 v17, s[0:1], v18, v17, s[0:1]
	global_load_dwordx4 v[16:19], v[16:17], off
	v_add3_u32 v20, v4, v11, 32
	v_ashrrev_i32_e32 v21, 31, v20
	v_lshlrev_b64 v[22:23], 2, v[20:21]
	v_mov_b32_e32 v24, s23
	v_add_co_u32_e64 v22, s[0:1], s22, v22
	v_addc_co_u32_e64 v23, s[0:1], v24, v23, s[0:1]
	v_lshlrev_b64 v[20:21], 4, v[20:21]
	global_store_dword v[22:23], v13, off
	v_mov_b32_e32 v22, s19
	v_add_co_u32_e64 v20, s[0:1], s18, v20
	v_addc_co_u32_e64 v21, s[0:1], v22, v21, s[0:1]
	s_waitcnt vmcnt(1)
	global_store_dwordx4 v[20:21], v[16:19], off
	s_or_b64 exec, exec, s[34:35]
	v_add_u32_e32 v16, v4, v6
	s_and_saveexec_b64 s[34:35], s[28:29]
	s_cbranch_execz .LBB194_17
.LBB194_23:                             ;   in Loop: Header=BB194_13 Depth=1
	v_add3_u32 v17, v2, s37, 32
	v_cndmask_b32_e32 v18, v17, v16, vcc
	v_ashrrev_i32_e32 v19, 31, v18
	v_lshlrev_b64 v[18:19], 4, v[18:19]
	v_mov_b32_e32 v17, s21
	v_add_co_u32_e64 v18, s[0:1], s20, v18
	v_addc_co_u32_e64 v19, s[0:1], v17, v19, s[0:1]
	global_load_dwordx4 v[18:21], v[18:19], off
	v_add_u32_e32 v22, v4, v1
	v_ashrrev_i32_e32 v23, 31, v22
	v_lshlrev_b64 v[24:25], 2, v[22:23]
	v_mov_b32_e32 v17, s23
	v_add_co_u32_e64 v24, s[0:1], s22, v24
	v_addc_co_u32_e64 v25, s[0:1], v17, v25, s[0:1]
	v_lshlrev_b64 v[22:23], 4, v[22:23]
	v_mov_b32_e32 v17, s19
	v_add_co_u32_e64 v22, s[0:1], s18, v22
	v_addc_co_u32_e64 v23, s[0:1], v17, v23, s[0:1]
	global_store_dword v[24:25], v12, off
	s_waitcnt vmcnt(1)
	global_store_dwordx4 v[22:23], v[18:21], off
	s_or_b64 exec, exec, s[34:35]
	s_and_saveexec_b64 s[34:35], s[2:3]
	s_cbranch_execz .LBB194_18
.LBB194_24:                             ;   in Loop: Header=BB194_13 Depth=1
	v_cndmask_b32_e32 v16, v15, v16, vcc
	v_add_u32_e32 v16, 32, v16
	v_ashrrev_i32_e32 v17, 31, v16
	v_lshlrev_b64 v[16:17], 4, v[16:17]
	v_mov_b32_e32 v18, s21
	v_add_co_u32_e64 v16, s[0:1], s20, v16
	v_addc_co_u32_e64 v17, s[0:1], v18, v17, s[0:1]
	global_load_dwordx4 v[16:19], v[16:17], off
	v_add3_u32 v20, v4, v1, 32
	v_ashrrev_i32_e32 v21, 31, v20
	v_lshlrev_b64 v[22:23], 2, v[20:21]
	v_mov_b32_e32 v24, s23
	v_add_co_u32_e64 v22, s[0:1], s22, v22
	v_addc_co_u32_e64 v23, s[0:1], v24, v23, s[0:1]
	v_lshlrev_b64 v[20:21], 4, v[20:21]
	global_store_dword v[22:23], v13, off
	v_mov_b32_e32 v22, s19
	v_add_co_u32_e64 v20, s[0:1], s18, v20
	v_addc_co_u32_e64 v21, s[0:1], v22, v21, s[0:1]
	s_waitcnt vmcnt(1)
	global_store_dwordx4 v[20:21], v[16:19], off
	s_or_b64 exec, exec, s[34:35]
	s_and_saveexec_b64 s[34:35], s[30:31]
	s_cbranch_execz .LBB194_19
.LBB194_25:                             ;   in Loop: Header=BB194_13 Depth=1
	v_add_u32_e32 v16, v4, v7
	v_add3_u32 v17, v2, s37, 64
	v_cndmask_b32_e32 v16, v17, v16, vcc
	v_ashrrev_i32_e32 v17, 31, v16
	v_lshlrev_b64 v[16:17], 4, v[16:17]
	v_mov_b32_e32 v18, s21
	v_add_co_u32_e64 v16, s[0:1], s20, v16
	v_addc_co_u32_e64 v17, s[0:1], v18, v17, s[0:1]
	global_load_dwordx4 v[16:19], v[16:17], off
	v_add_u32_e32 v20, v4, v3
	v_ashrrev_i32_e32 v21, 31, v20
	v_lshlrev_b64 v[22:23], 2, v[20:21]
	v_mov_b32_e32 v24, s23
	v_add_co_u32_e64 v22, s[0:1], s22, v22
	v_addc_co_u32_e64 v23, s[0:1], v24, v23, s[0:1]
	v_lshlrev_b64 v[20:21], 4, v[20:21]
	global_store_dword v[22:23], v12, off
	v_mov_b32_e32 v22, s19
	v_add_co_u32_e64 v20, s[0:1], s18, v20
	v_addc_co_u32_e64 v21, s[0:1], v22, v21, s[0:1]
	s_waitcnt vmcnt(1)
	global_store_dwordx4 v[20:21], v[16:19], off
	s_or_b64 exec, exec, s[34:35]
	s_and_saveexec_b64 s[34:35], s[6:7]
	s_cbranch_execz .LBB194_20
.LBB194_26:                             ;   in Loop: Header=BB194_13 Depth=1
	v_add3_u32 v16, v4, v7, 32
	v_add3_u32 v17, v0, s37, 64
	v_cndmask_b32_e32 v16, v17, v16, vcc
	v_ashrrev_i32_e32 v17, 31, v16
	v_lshlrev_b64 v[16:17], 4, v[16:17]
	v_mov_b32_e32 v18, s21
	v_add_co_u32_e64 v16, s[0:1], s20, v16
	v_addc_co_u32_e64 v17, s[0:1], v18, v17, s[0:1]
	global_load_dwordx4 v[16:19], v[16:17], off
	v_add3_u32 v20, v4, v3, 32
	v_ashrrev_i32_e32 v21, 31, v20
	v_lshlrev_b64 v[22:23], 2, v[20:21]
	v_mov_b32_e32 v24, s23
	v_add_co_u32_e64 v22, s[0:1], s22, v22
	v_addc_co_u32_e64 v23, s[0:1], v24, v23, s[0:1]
	v_lshlrev_b64 v[20:21], 4, v[20:21]
	global_store_dword v[22:23], v13, off
	v_mov_b32_e32 v22, s19
	v_add_co_u32_e64 v20, s[0:1], s18, v20
	v_addc_co_u32_e64 v21, s[0:1], v22, v21, s[0:1]
	s_waitcnt vmcnt(1)
	global_store_dwordx4 v[20:21], v[16:19], off
	s_or_b64 exec, exec, s[34:35]
	s_and_saveexec_b64 s[34:35], s[4:5]
	s_cbranch_execz .LBB194_21
.LBB194_27:                             ;   in Loop: Header=BB194_13 Depth=1
	v_add_u32_e32 v16, v4, v8
	v_add_u32_e32 v14, 0x60, v14
	v_cndmask_b32_e32 v16, v14, v16, vcc
	v_ashrrev_i32_e32 v17, 31, v16
	v_lshlrev_b64 v[16:17], 4, v[16:17]
	v_mov_b32_e32 v14, s21
	v_add_co_u32_e64 v16, s[0:1], s20, v16
	v_addc_co_u32_e64 v17, s[0:1], v14, v17, s[0:1]
	global_load_dwordx4 v[16:19], v[16:17], off
	v_add_u32_e32 v20, v4, v10
	v_ashrrev_i32_e32 v21, 31, v20
	v_lshlrev_b64 v[22:23], 2, v[20:21]
	v_mov_b32_e32 v14, s23
	v_add_co_u32_e64 v22, s[0:1], s22, v22
	v_addc_co_u32_e64 v23, s[0:1], v14, v23, s[0:1]
	v_lshlrev_b64 v[20:21], 4, v[20:21]
	global_store_dword v[22:23], v12, off
	v_mov_b32_e32 v12, s19
	v_add_co_u32_e64 v20, s[0:1], s18, v20
	v_addc_co_u32_e64 v21, s[0:1], v12, v21, s[0:1]
	s_waitcnt vmcnt(1)
	global_store_dwordx4 v[20:21], v[16:19], off
	s_or_b64 exec, exec, s[34:35]
	s_and_saveexec_b64 s[34:35], s[8:9]
	s_cbranch_execz .LBB194_12
.LBB194_28:                             ;   in Loop: Header=BB194_13 Depth=1
	v_add3_u32 v12, v4, v8, 32
	v_add_u32_e32 v14, 0x60, v15
	v_cndmask_b32_e32 v14, v14, v12, vcc
	v_ashrrev_i32_e32 v15, 31, v14
	v_lshlrev_b64 v[14:15], 4, v[14:15]
	v_mov_b32_e32 v12, s21
	v_add_co_u32_e64 v14, s[0:1], s20, v14
	v_addc_co_u32_e64 v15, s[0:1], v12, v15, s[0:1]
	global_load_dwordx4 v[14:17], v[14:15], off
	v_add3_u32 v18, v4, v10, 32
	v_ashrrev_i32_e32 v19, 31, v18
	v_lshlrev_b64 v[20:21], 2, v[18:19]
	v_mov_b32_e32 v12, s23
	v_add_co_u32_e64 v20, s[0:1], s22, v20
	v_addc_co_u32_e64 v21, s[0:1], v12, v21, s[0:1]
	global_store_dword v[20:21], v13, off
	v_lshlrev_b64 v[12:13], 4, v[18:19]
	v_mov_b32_e32 v18, s19
	v_add_co_u32_e64 v12, s[0:1], s18, v12
	v_addc_co_u32_e64 v13, s[0:1], v18, v13, s[0:1]
	s_waitcnt vmcnt(1)
	global_store_dwordx4 v[12:13], v[14:17], off
	s_branch .LBB194_12
.LBB194_29:
	s_endpgm
	.section	.rodata,"a",@progbits
	.p2align	6, 0x0
	.amdhsa_kernel _ZN9rocsparseL37gebsr2csr_block_per_row_33_128_kernelILi1024ELi128ELi64ELi32ELi32E21rocsparse_complex_numIdEEEv20rocsparse_direction_ii21rocsparse_index_base_PKT4_PKiS9_iiS4_PS5_PiSB_
		.amdhsa_group_segment_fixed_size 0
		.amdhsa_private_segment_fixed_size 0
		.amdhsa_kernarg_size 80
		.amdhsa_user_sgpr_count 6
		.amdhsa_user_sgpr_private_segment_buffer 1
		.amdhsa_user_sgpr_dispatch_ptr 0
		.amdhsa_user_sgpr_queue_ptr 0
		.amdhsa_user_sgpr_kernarg_segment_ptr 1
		.amdhsa_user_sgpr_dispatch_id 0
		.amdhsa_user_sgpr_flat_scratch_init 0
		.amdhsa_user_sgpr_kernarg_preload_length 0
		.amdhsa_user_sgpr_kernarg_preload_offset 0
		.amdhsa_user_sgpr_private_segment_size 0
		.amdhsa_uses_dynamic_stack 0
		.amdhsa_system_sgpr_private_segment_wavefront_offset 0
		.amdhsa_system_sgpr_workgroup_id_x 1
		.amdhsa_system_sgpr_workgroup_id_y 0
		.amdhsa_system_sgpr_workgroup_id_z 0
		.amdhsa_system_sgpr_workgroup_info 0
		.amdhsa_system_vgpr_workitem_id 0
		.amdhsa_next_free_vgpr 26
		.amdhsa_next_free_sgpr 40
		.amdhsa_accum_offset 28
		.amdhsa_reserve_vcc 1
		.amdhsa_reserve_flat_scratch 0
		.amdhsa_float_round_mode_32 0
		.amdhsa_float_round_mode_16_64 0
		.amdhsa_float_denorm_mode_32 3
		.amdhsa_float_denorm_mode_16_64 3
		.amdhsa_dx10_clamp 1
		.amdhsa_ieee_mode 1
		.amdhsa_fp16_overflow 0
		.amdhsa_tg_split 0
		.amdhsa_exception_fp_ieee_invalid_op 0
		.amdhsa_exception_fp_denorm_src 0
		.amdhsa_exception_fp_ieee_div_zero 0
		.amdhsa_exception_fp_ieee_overflow 0
		.amdhsa_exception_fp_ieee_underflow 0
		.amdhsa_exception_fp_ieee_inexact 0
		.amdhsa_exception_int_div_zero 0
	.end_amdhsa_kernel
	.section	.text._ZN9rocsparseL37gebsr2csr_block_per_row_33_128_kernelILi1024ELi128ELi64ELi32ELi32E21rocsparse_complex_numIdEEEv20rocsparse_direction_ii21rocsparse_index_base_PKT4_PKiS9_iiS4_PS5_PiSB_,"axG",@progbits,_ZN9rocsparseL37gebsr2csr_block_per_row_33_128_kernelILi1024ELi128ELi64ELi32ELi32E21rocsparse_complex_numIdEEEv20rocsparse_direction_ii21rocsparse_index_base_PKT4_PKiS9_iiS4_PS5_PiSB_,comdat
.Lfunc_end194:
	.size	_ZN9rocsparseL37gebsr2csr_block_per_row_33_128_kernelILi1024ELi128ELi64ELi32ELi32E21rocsparse_complex_numIdEEEv20rocsparse_direction_ii21rocsparse_index_base_PKT4_PKiS9_iiS4_PS5_PiSB_, .Lfunc_end194-_ZN9rocsparseL37gebsr2csr_block_per_row_33_128_kernelILi1024ELi128ELi64ELi32ELi32E21rocsparse_complex_numIdEEEv20rocsparse_direction_ii21rocsparse_index_base_PKT4_PKiS9_iiS4_PS5_PiSB_
                                        ; -- End function
	.section	.AMDGPU.csdata,"",@progbits
; Kernel info:
; codeLenInByte = 2188
; NumSgprs: 44
; NumVgprs: 26
; NumAgprs: 0
; TotalNumVgprs: 26
; ScratchSize: 0
; MemoryBound: 0
; FloatMode: 240
; IeeeMode: 1
; LDSByteSize: 0 bytes/workgroup (compile time only)
; SGPRBlocks: 5
; VGPRBlocks: 3
; NumSGPRsForWavesPerEU: 44
; NumVGPRsForWavesPerEU: 26
; AccumOffset: 28
; Occupancy: 8
; WaveLimiterHint : 0
; COMPUTE_PGM_RSRC2:SCRATCH_EN: 0
; COMPUTE_PGM_RSRC2:USER_SGPR: 6
; COMPUTE_PGM_RSRC2:TRAP_HANDLER: 0
; COMPUTE_PGM_RSRC2:TGID_X_EN: 1
; COMPUTE_PGM_RSRC2:TGID_Y_EN: 0
; COMPUTE_PGM_RSRC2:TGID_Z_EN: 0
; COMPUTE_PGM_RSRC2:TIDIG_COMP_CNT: 0
; COMPUTE_PGM_RSRC3_GFX90A:ACCUM_OFFSET: 6
; COMPUTE_PGM_RSRC3_GFX90A:TG_SPLIT: 0
	.section	.text._ZN9rocsparseL37gebsr2csr_block_per_row_33_128_kernelILi1024ELi128ELi128ELi32ELi32E21rocsparse_complex_numIdEEEv20rocsparse_direction_ii21rocsparse_index_base_PKT4_PKiS9_iiS4_PS5_PiSB_,"axG",@progbits,_ZN9rocsparseL37gebsr2csr_block_per_row_33_128_kernelILi1024ELi128ELi128ELi32ELi32E21rocsparse_complex_numIdEEEv20rocsparse_direction_ii21rocsparse_index_base_PKT4_PKiS9_iiS4_PS5_PiSB_,comdat
	.globl	_ZN9rocsparseL37gebsr2csr_block_per_row_33_128_kernelILi1024ELi128ELi128ELi32ELi32E21rocsparse_complex_numIdEEEv20rocsparse_direction_ii21rocsparse_index_base_PKT4_PKiS9_iiS4_PS5_PiSB_ ; -- Begin function _ZN9rocsparseL37gebsr2csr_block_per_row_33_128_kernelILi1024ELi128ELi128ELi32ELi32E21rocsparse_complex_numIdEEEv20rocsparse_direction_ii21rocsparse_index_base_PKT4_PKiS9_iiS4_PS5_PiSB_
	.p2align	8
	.type	_ZN9rocsparseL37gebsr2csr_block_per_row_33_128_kernelILi1024ELi128ELi128ELi32ELi32E21rocsparse_complex_numIdEEEv20rocsparse_direction_ii21rocsparse_index_base_PKT4_PKiS9_iiS4_PS5_PiSB_,@function
_ZN9rocsparseL37gebsr2csr_block_per_row_33_128_kernelILi1024ELi128ELi128ELi32ELi32E21rocsparse_complex_numIdEEEv20rocsparse_direction_ii21rocsparse_index_base_PKT4_PKiS9_iiS4_PS5_PiSB_: ; @_ZN9rocsparseL37gebsr2csr_block_per_row_33_128_kernelILi1024ELi128ELi128ELi32ELi32E21rocsparse_complex_numIdEEEv20rocsparse_direction_ii21rocsparse_index_base_PKT4_PKiS9_iiS4_PS5_PiSB_
; %bb.0:
	s_load_dwordx2 s[0:1], s[4:5], 0x18
	s_load_dwordx4 s[16:19], s[4:5], 0x28
	s_load_dwordx2 s[2:3], s[4:5], 0x40
	s_ashr_i32 s7, s6, 31
	s_lshl_b64 s[8:9], s[6:7], 2
	s_waitcnt lgkmcnt(0)
	s_add_u32 s0, s0, s8
	s_addc_u32 s1, s1, s9
	s_load_dwordx2 s[50:51], s[0:1], 0x0
	v_or_b32_e32 v1, s6, v0
	v_cmp_eq_u32_e32 vcc, 0, v1
	s_and_saveexec_b64 s[0:1], vcc
	s_cbranch_execz .LBB195_2
; %bb.1:
	v_mov_b32_e32 v1, 0
	v_mov_b32_e32 v2, s18
	global_store_dword v1, v2, s[2:3]
.LBB195_2:
	s_or_b64 exec, exec, s[0:1]
	s_load_dword s19, s[4:5], 0xc
	v_lshrrev_b32_e32 v6, 5, v0
	s_mul_i32 s13, s6, s16
	s_waitcnt lgkmcnt(0)
	s_sub_i32 s20, s50, s19
	s_sub_i32 s33, s51, s19
	s_mul_i32 s21, s20, s17
	s_sub_i32 s12, s33, s20
	s_mul_i32 s0, s21, s16
	s_mul_i32 s14, s12, s17
	s_add_i32 s15, s0, s18
	s_add_i32 s15, s15, s14
	v_cmp_gt_i32_e64 s[0:1], s16, v6
	s_and_saveexec_b64 s[6:7], s[0:1]
	s_cbranch_execz .LBB195_4
; %bb.3:
	v_add_u32_e32 v2, s13, v6
	v_ashrrev_i32_e32 v3, 31, v2
	v_lshlrev_b64 v[2:3], 2, v[2:3]
	v_mul_lo_u32 v1, v6, s14
	v_mov_b32_e32 v4, s3
	v_add_co_u32_e32 v2, vcc, s2, v2
	v_add_u32_e32 v1, s15, v1
	v_addc_co_u32_e32 v3, vcc, v4, v3, vcc
	global_store_dword v[2:3], v1, off offset:4
.LBB195_4:
	s_or_b64 exec, exec, s[6:7]
	s_add_u32 s22, s2, 4
	v_or_b32_e32 v1, 32, v6
	s_addc_u32 s23, s3, 0
	v_cmp_gt_i32_e64 s[2:3], s16, v1
	s_and_saveexec_b64 s[6:7], s[2:3]
	s_cbranch_execz .LBB195_6
; %bb.5:
	s_ashr_i32 s8, s13, 31
	v_mov_b32_e32 v3, s8
	v_add_co_u32_e32 v2, vcc, s13, v6
	v_addc_co_u32_e32 v3, vcc, 0, v3, vcc
	v_lshlrev_b64 v[2:3], 2, v[2:3]
	v_mul_lo_u32 v1, v1, s14
	v_mov_b32_e32 v4, s23
	v_add_co_u32_e32 v2, vcc, s22, v2
	v_add_u32_e32 v1, s15, v1
	v_addc_co_u32_e32 v3, vcc, v4, v3, vcc
	global_store_dword v[2:3], v1, off offset:128
.LBB195_6:
	s_or_b64 exec, exec, s[6:7]
	v_or_b32_e32 v1, 64, v6
	v_cmp_gt_i32_e64 s[6:7], s16, v1
	s_and_saveexec_b64 s[8:9], s[6:7]
	s_cbranch_execz .LBB195_8
; %bb.7:
	s_ashr_i32 s10, s13, 31
	v_mov_b32_e32 v3, s10
	v_add_co_u32_e32 v2, vcc, s13, v6
	v_addc_co_u32_e32 v3, vcc, 0, v3, vcc
	v_lshlrev_b64 v[2:3], 2, v[2:3]
	v_mul_lo_u32 v1, v1, s14
	v_mov_b32_e32 v4, s23
	v_add_co_u32_e32 v2, vcc, s22, v2
	v_add_u32_e32 v1, s15, v1
	v_addc_co_u32_e32 v3, vcc, v4, v3, vcc
	global_store_dword v[2:3], v1, off offset:256
.LBB195_8:
	s_or_b64 exec, exec, s[8:9]
	v_or_b32_e32 v1, 0x60, v6
	v_cmp_gt_i32_e64 s[8:9], s16, v1
	s_and_saveexec_b64 s[10:11], s[8:9]
	s_cbranch_execz .LBB195_10
; %bb.9:
	v_mul_lo_u32 v1, v1, s14
	s_ashr_i32 s14, s13, 31
	v_mov_b32_e32 v3, s14
	v_add_co_u32_e32 v2, vcc, s13, v6
	v_addc_co_u32_e32 v3, vcc, 0, v3, vcc
	v_lshlrev_b64 v[2:3], 2, v[2:3]
	v_mov_b32_e32 v4, s23
	v_add_co_u32_e32 v2, vcc, s22, v2
	v_add_u32_e32 v1, s15, v1
	v_addc_co_u32_e32 v3, vcc, v4, v3, vcc
	global_store_dword v[2:3], v1, off offset:384
.LBB195_10:
	s_or_b64 exec, exec, s[10:11]
	s_cmp_lt_i32 s50, s51
	s_cbranch_scc0 .LBB195_45
; %bb.11:
	s_load_dwordx2 s[56:57], s[4:5], 0x20
	s_load_dwordx2 s[22:23], s[4:5], 0x38
	;; [unrolled: 1-line block ×3, first 2 shown]
	s_load_dword s10, s[4:5], 0x0
	s_load_dwordx2 s[26:27], s[4:5], 0x48
	v_and_b32_e32 v8, 31, v0
	v_or_b32_e32 v9, 32, v8
	v_or_b32_e32 v10, 64, v8
	v_or_b32_e32 v11, 0x60, v8
	s_waitcnt lgkmcnt(0)
	s_cmp_eq_u32 s10, 0
	v_mul_lo_u32 v16, v6, s12
	v_cmp_gt_i32_e64 s[4:5], s17, v8
	v_cmp_gt_i32_e64 s[10:11], s17, v9
	;; [unrolled: 1-line block ×4, first 2 shown]
	s_cselect_b64 vcc, -1, 0
	s_and_b64 s[28:29], s[0:1], s[4:5]
	s_and_b64 s[30:31], s[0:1], s[10:11]
	;; [unrolled: 1-line block ×16, first 2 shown]
	s_mul_i32 s14, s16, s20
	v_add_u32_e32 v0, s14, v6
	v_add_u32_e32 v1, 32, v0
	v_mul_lo_u32 v12, s17, v1
	v_add_u32_e32 v1, 64, v0
	v_add_u32_e32 v7, s21, v8
	v_mul_lo_u32 v13, s17, v1
	v_add_u32_e32 v1, 0x60, v0
	v_mul_lo_u32 v15, s17, v0
	;; [unrolled: 2-line block ×3, first 2 shown]
	v_mad_u64_u32 v[0:1], s[0:1], s16, v0, v[6:7]
	v_add_u32_e32 v1, 64, v7
	v_mad_u64_u32 v[2:3], s[0:1], s16, v1, v[6:7]
	v_add_u32_e32 v1, 32, v7
	v_mad_u64_u32 v[4:5], s[0:1], s16, v1, v[6:7]
	v_mad_u64_u32 v[6:7], s[0:1], s16, v7, v[6:7]
	v_add_u32_e32 v7, s14, v16
	v_lshl_add_u32 v1, s51, 5, v7
	s_lshl_b32 s0, s50, 5
	v_subrev_u32_e32 v1, s0, v1
	v_lshl_add_u32 v3, s51, 6, v7
	s_lshl_b32 s0, s50, 6
	v_subrev_u32_e32 v3, s0, v3
	s_mul_i32 s0, s51, 0x60
	v_add_u32_e32 v5, s0, v7
	s_mul_i32 s0, s50, 0x60
	s_ashr_i32 s21, s20, 31
	v_subrev_u32_e32 v5, s0, v5
	s_lshl_b64 s[0:1], s[20:21], 2
	s_add_u32 s14, s56, s0
	s_mul_i32 s52, s17, s16
	s_mov_b32 s53, 0
	s_movk_i32 s54, 0x60
	v_mul_lo_u32 v1, s17, v1
	v_mul_lo_u32 v3, s17, v3
	;; [unrolled: 1-line block ×4, first 2 shown]
	s_addc_u32 s15, s57, s1
	s_branch .LBB195_13
.LBB195_12:                             ;   in Loop: Header=BB195_13 Depth=1
	s_or_b64 exec, exec, s[50:51]
	s_add_i32 s20, s20, 1
	s_add_i32 s53, s53, s52
	s_add_u32 s14, s14, 4
	s_addc_u32 s15, s15, 0
	v_add_u32_e32 v12, s52, v12
	v_add_u32_e32 v13, s52, v13
	;; [unrolled: 1-line block ×7, first 2 shown]
	s_cmp_ge_i32 s20, s33
	v_add_u32_e32 v7, s17, v7
	s_cbranch_scc1 .LBB195_45
.LBB195_13:                             ; =>This Inner Loop Header: Depth=1
	s_load_dword s0, s[14:15], 0x0
	v_add_u32_e32 v20, s53, v6
	s_waitcnt lgkmcnt(0)
	s_sub_i32 s0, s0, s19
	s_mul_i32 s16, s0, s17
	s_add_i32 s16, s16, s18
	v_add_u32_e32 v16, s16, v8
	s_and_saveexec_b64 s[50:51], s[28:29]
	s_cbranch_execz .LBB195_15
; %bb.14:                               ;   in Loop: Header=BB195_13 Depth=1
	v_add_u32_e32 v17, v8, v15
	v_cndmask_b32_e32 v18, v20, v17, vcc
	v_ashrrev_i32_e32 v19, 31, v18
	v_lshlrev_b64 v[18:19], 4, v[18:19]
	v_mov_b32_e32 v17, s25
	v_add_co_u32_e64 v18, s[0:1], s24, v18
	v_addc_co_u32_e64 v19, s[0:1], v17, v19, s[0:1]
	global_load_dwordx4 v[22:25], v[18:19], off
	v_add_u32_e32 v18, v8, v7
	v_ashrrev_i32_e32 v19, 31, v18
	v_lshlrev_b64 v[26:27], 2, v[18:19]
	v_mov_b32_e32 v17, s27
	v_add_co_u32_e64 v26, s[0:1], s26, v26
	v_addc_co_u32_e64 v27, s[0:1], v17, v27, s[0:1]
	v_lshlrev_b64 v[18:19], 4, v[18:19]
	v_mov_b32_e32 v17, s23
	v_add_co_u32_e64 v18, s[0:1], s22, v18
	v_addc_co_u32_e64 v19, s[0:1], v17, v19, s[0:1]
	global_store_dword v[26:27], v16, off
	s_waitcnt vmcnt(1)
	global_store_dwordx4 v[18:19], v[22:25], off
.LBB195_15:                             ;   in Loop: Header=BB195_13 Depth=1
	s_or_b64 exec, exec, s[50:51]
	v_add_u32_e32 v17, s16, v9
	v_add_u32_e32 v21, s53, v4
	s_and_saveexec_b64 s[50:51], s[30:31]
	s_cbranch_execz .LBB195_17
; %bb.16:                               ;   in Loop: Header=BB195_13 Depth=1
	v_add3_u32 v18, v8, v15, 32
	v_cndmask_b32_e32 v18, v21, v18, vcc
	v_ashrrev_i32_e32 v19, 31, v18
	v_lshlrev_b64 v[18:19], 4, v[18:19]
	v_mov_b32_e32 v22, s25
	v_add_co_u32_e64 v18, s[0:1], s24, v18
	v_addc_co_u32_e64 v19, s[0:1], v22, v19, s[0:1]
	global_load_dwordx4 v[22:25], v[18:19], off
	v_add3_u32 v18, v8, v7, 32
	v_ashrrev_i32_e32 v19, 31, v18
	v_lshlrev_b64 v[26:27], 2, v[18:19]
	v_mov_b32_e32 v28, s27
	v_add_co_u32_e64 v26, s[0:1], s26, v26
	v_addc_co_u32_e64 v27, s[0:1], v28, v27, s[0:1]
	v_lshlrev_b64 v[18:19], 4, v[18:19]
	global_store_dword v[26:27], v17, off
	v_mov_b32_e32 v26, s23
	v_add_co_u32_e64 v18, s[0:1], s22, v18
	v_addc_co_u32_e64 v19, s[0:1], v26, v19, s[0:1]
	s_waitcnt vmcnt(1)
	global_store_dwordx4 v[18:19], v[22:25], off
.LBB195_17:                             ;   in Loop: Header=BB195_13 Depth=1
	s_or_b64 exec, exec, s[50:51]
	v_add_u32_e32 v18, s16, v10
	v_add_u32_e32 v22, s53, v2
	s_and_saveexec_b64 s[50:51], s[34:35]
	s_cbranch_execz .LBB195_19
; %bb.18:                               ;   in Loop: Header=BB195_13 Depth=1
	v_add3_u32 v19, v8, v15, 64
	v_cndmask_b32_e32 v24, v22, v19, vcc
	v_ashrrev_i32_e32 v25, 31, v24
	v_lshlrev_b64 v[24:25], 4, v[24:25]
	v_mov_b32_e32 v19, s25
	v_add_co_u32_e64 v24, s[0:1], s24, v24
	v_addc_co_u32_e64 v25, s[0:1], v19, v25, s[0:1]
	global_load_dwordx4 v[24:27], v[24:25], off
	v_add3_u32 v28, v8, v7, 64
	v_ashrrev_i32_e32 v29, 31, v28
	v_lshlrev_b64 v[30:31], 2, v[28:29]
	v_mov_b32_e32 v19, s27
	v_add_co_u32_e64 v30, s[0:1], s26, v30
	v_addc_co_u32_e64 v31, s[0:1], v19, v31, s[0:1]
	v_lshlrev_b64 v[28:29], 4, v[28:29]
	v_mov_b32_e32 v19, s23
	v_add_co_u32_e64 v28, s[0:1], s22, v28
	v_addc_co_u32_e64 v29, s[0:1], v19, v29, s[0:1]
	global_store_dword v[30:31], v18, off
	s_waitcnt vmcnt(1)
	global_store_dwordx4 v[28:29], v[24:27], off
.LBB195_19:                             ;   in Loop: Header=BB195_13 Depth=1
	s_or_b64 exec, exec, s[50:51]
	v_add_u32_e32 v19, s16, v11
	v_add_u32_e32 v23, s53, v0
	s_and_saveexec_b64 s[50:51], s[36:37]
	s_cbranch_execnz .LBB195_32
; %bb.20:                               ;   in Loop: Header=BB195_13 Depth=1
	s_or_b64 exec, exec, s[50:51]
	v_add_u32_e32 v24, v8, v12
	s_and_saveexec_b64 s[50:51], s[38:39]
	s_cbranch_execnz .LBB195_33
.LBB195_21:                             ;   in Loop: Header=BB195_13 Depth=1
	s_or_b64 exec, exec, s[50:51]
	s_and_saveexec_b64 s[50:51], s[40:41]
	s_cbranch_execnz .LBB195_34
.LBB195_22:                             ;   in Loop: Header=BB195_13 Depth=1
	s_or_b64 exec, exec, s[50:51]
	s_and_saveexec_b64 s[50:51], s[42:43]
	s_cbranch_execnz .LBB195_35
.LBB195_23:                             ;   in Loop: Header=BB195_13 Depth=1
	s_or_b64 exec, exec, s[50:51]
	s_and_saveexec_b64 s[50:51], s[2:3]
	s_cbranch_execnz .LBB195_36
.LBB195_24:                             ;   in Loop: Header=BB195_13 Depth=1
	s_or_b64 exec, exec, s[50:51]
	v_add_u32_e32 v24, v8, v13
	s_and_saveexec_b64 s[50:51], s[44:45]
	s_cbranch_execnz .LBB195_37
.LBB195_25:                             ;   in Loop: Header=BB195_13 Depth=1
	s_or_b64 exec, exec, s[50:51]
	s_and_saveexec_b64 s[50:51], s[46:47]
	s_cbranch_execnz .LBB195_38
.LBB195_26:                             ;   in Loop: Header=BB195_13 Depth=1
	s_or_b64 exec, exec, s[50:51]
	s_and_saveexec_b64 s[50:51], s[48:49]
	s_cbranch_execnz .LBB195_39
.LBB195_27:                             ;   in Loop: Header=BB195_13 Depth=1
	s_or_b64 exec, exec, s[50:51]
	s_and_saveexec_b64 s[50:51], s[6:7]
	s_cbranch_execnz .LBB195_40
.LBB195_28:                             ;   in Loop: Header=BB195_13 Depth=1
	s_or_b64 exec, exec, s[50:51]
	v_add_u32_e32 v24, v8, v14
	s_and_saveexec_b64 s[50:51], s[4:5]
	s_cbranch_execnz .LBB195_41
.LBB195_29:                             ;   in Loop: Header=BB195_13 Depth=1
	s_or_b64 exec, exec, s[50:51]
	s_and_saveexec_b64 s[50:51], s[10:11]
	s_cbranch_execnz .LBB195_42
.LBB195_30:                             ;   in Loop: Header=BB195_13 Depth=1
	s_or_b64 exec, exec, s[50:51]
	s_and_saveexec_b64 s[50:51], s[12:13]
	s_cbranch_execnz .LBB195_43
.LBB195_31:                             ;   in Loop: Header=BB195_13 Depth=1
	s_or_b64 exec, exec, s[50:51]
	s_and_saveexec_b64 s[50:51], s[8:9]
	s_cbranch_execz .LBB195_12
	s_branch .LBB195_44
.LBB195_32:                             ;   in Loop: Header=BB195_13 Depth=1
	v_add3_u32 v24, v8, v15, s54
	v_cndmask_b32_e32 v24, v23, v24, vcc
	v_ashrrev_i32_e32 v25, 31, v24
	v_lshlrev_b64 v[24:25], 4, v[24:25]
	v_mov_b32_e32 v26, s25
	v_add_co_u32_e64 v24, s[0:1], s24, v24
	v_addc_co_u32_e64 v25, s[0:1], v26, v25, s[0:1]
	global_load_dwordx4 v[24:27], v[24:25], off
	v_add3_u32 v28, v8, v7, s54
	v_ashrrev_i32_e32 v29, 31, v28
	v_lshlrev_b64 v[30:31], 2, v[28:29]
	v_mov_b32_e32 v32, s27
	v_add_co_u32_e64 v30, s[0:1], s26, v30
	v_addc_co_u32_e64 v31, s[0:1], v32, v31, s[0:1]
	v_lshlrev_b64 v[28:29], 4, v[28:29]
	global_store_dword v[30:31], v19, off
	v_mov_b32_e32 v30, s23
	v_add_co_u32_e64 v28, s[0:1], s22, v28
	v_addc_co_u32_e64 v29, s[0:1], v30, v29, s[0:1]
	s_waitcnt vmcnt(1)
	global_store_dwordx4 v[28:29], v[24:27], off
	s_or_b64 exec, exec, s[50:51]
	v_add_u32_e32 v24, v8, v12
	s_and_saveexec_b64 s[50:51], s[38:39]
	s_cbranch_execz .LBB195_21
.LBB195_33:                             ;   in Loop: Header=BB195_13 Depth=1
	v_add3_u32 v25, v6, s53, 32
	v_cndmask_b32_e32 v26, v25, v24, vcc
	v_ashrrev_i32_e32 v27, 31, v26
	v_lshlrev_b64 v[26:27], 4, v[26:27]
	v_mov_b32_e32 v25, s25
	v_add_co_u32_e64 v26, s[0:1], s24, v26
	v_addc_co_u32_e64 v27, s[0:1], v25, v27, s[0:1]
	global_load_dwordx4 v[26:29], v[26:27], off
	v_add_u32_e32 v30, v8, v1
	v_ashrrev_i32_e32 v31, 31, v30
	v_lshlrev_b64 v[32:33], 2, v[30:31]
	v_mov_b32_e32 v25, s27
	v_add_co_u32_e64 v32, s[0:1], s26, v32
	v_addc_co_u32_e64 v33, s[0:1], v25, v33, s[0:1]
	v_lshlrev_b64 v[30:31], 4, v[30:31]
	v_mov_b32_e32 v25, s23
	v_add_co_u32_e64 v30, s[0:1], s22, v30
	v_addc_co_u32_e64 v31, s[0:1], v25, v31, s[0:1]
	global_store_dword v[32:33], v16, off
	s_waitcnt vmcnt(1)
	global_store_dwordx4 v[30:31], v[26:29], off
	s_or_b64 exec, exec, s[50:51]
	s_and_saveexec_b64 s[50:51], s[40:41]
	s_cbranch_execz .LBB195_22
.LBB195_34:                             ;   in Loop: Header=BB195_13 Depth=1
	v_cndmask_b32_e32 v24, v21, v24, vcc
	v_add_u32_e32 v24, 32, v24
	v_ashrrev_i32_e32 v25, 31, v24
	v_lshlrev_b64 v[24:25], 4, v[24:25]
	v_mov_b32_e32 v26, s25
	v_add_co_u32_e64 v24, s[0:1], s24, v24
	v_addc_co_u32_e64 v25, s[0:1], v26, v25, s[0:1]
	global_load_dwordx4 v[24:27], v[24:25], off
	v_add3_u32 v28, v8, v1, 32
	v_ashrrev_i32_e32 v29, 31, v28
	v_lshlrev_b64 v[30:31], 2, v[28:29]
	v_mov_b32_e32 v32, s27
	v_add_co_u32_e64 v30, s[0:1], s26, v30
	v_addc_co_u32_e64 v31, s[0:1], v32, v31, s[0:1]
	v_lshlrev_b64 v[28:29], 4, v[28:29]
	global_store_dword v[30:31], v17, off
	v_mov_b32_e32 v30, s23
	v_add_co_u32_e64 v28, s[0:1], s22, v28
	v_addc_co_u32_e64 v29, s[0:1], v30, v29, s[0:1]
	s_waitcnt vmcnt(1)
	global_store_dwordx4 v[28:29], v[24:27], off
	s_or_b64 exec, exec, s[50:51]
	s_and_saveexec_b64 s[50:51], s[42:43]
	s_cbranch_execz .LBB195_23
.LBB195_35:                             ;   in Loop: Header=BB195_13 Depth=1
	v_add3_u32 v24, v8, v12, 64
	v_add3_u32 v25, v2, s53, 32
	v_cndmask_b32_e32 v24, v25, v24, vcc
	v_ashrrev_i32_e32 v25, 31, v24
	v_lshlrev_b64 v[24:25], 4, v[24:25]
	v_mov_b32_e32 v26, s25
	v_add_co_u32_e64 v24, s[0:1], s24, v24
	v_addc_co_u32_e64 v25, s[0:1], v26, v25, s[0:1]
	global_load_dwordx4 v[24:27], v[24:25], off
	v_add3_u32 v28, v8, v1, 64
	v_ashrrev_i32_e32 v29, 31, v28
	v_lshlrev_b64 v[30:31], 2, v[28:29]
	v_mov_b32_e32 v32, s27
	v_add_co_u32_e64 v30, s[0:1], s26, v30
	v_addc_co_u32_e64 v31, s[0:1], v32, v31, s[0:1]
	v_lshlrev_b64 v[28:29], 4, v[28:29]
	global_store_dword v[30:31], v18, off
	v_mov_b32_e32 v30, s23
	v_add_co_u32_e64 v28, s[0:1], s22, v28
	v_addc_co_u32_e64 v29, s[0:1], v30, v29, s[0:1]
	s_waitcnt vmcnt(1)
	global_store_dwordx4 v[28:29], v[24:27], off
	s_or_b64 exec, exec, s[50:51]
	s_and_saveexec_b64 s[50:51], s[2:3]
	s_cbranch_execz .LBB195_24
.LBB195_36:                             ;   in Loop: Header=BB195_13 Depth=1
	v_add3_u32 v24, v8, v12, s54
	v_add3_u32 v25, v0, s53, 32
	v_cndmask_b32_e32 v24, v25, v24, vcc
	v_ashrrev_i32_e32 v25, 31, v24
	v_lshlrev_b64 v[24:25], 4, v[24:25]
	v_mov_b32_e32 v26, s25
	v_add_co_u32_e64 v24, s[0:1], s24, v24
	v_addc_co_u32_e64 v25, s[0:1], v26, v25, s[0:1]
	global_load_dwordx4 v[24:27], v[24:25], off
	v_add3_u32 v28, v8, v1, s54
	v_ashrrev_i32_e32 v29, 31, v28
	v_lshlrev_b64 v[30:31], 2, v[28:29]
	v_mov_b32_e32 v32, s27
	v_add_co_u32_e64 v30, s[0:1], s26, v30
	v_addc_co_u32_e64 v31, s[0:1], v32, v31, s[0:1]
	v_lshlrev_b64 v[28:29], 4, v[28:29]
	global_store_dword v[30:31], v19, off
	v_mov_b32_e32 v30, s23
	v_add_co_u32_e64 v28, s[0:1], s22, v28
	v_addc_co_u32_e64 v29, s[0:1], v30, v29, s[0:1]
	s_waitcnt vmcnt(1)
	global_store_dwordx4 v[28:29], v[24:27], off
	s_or_b64 exec, exec, s[50:51]
	v_add_u32_e32 v24, v8, v13
	s_and_saveexec_b64 s[50:51], s[44:45]
	s_cbranch_execz .LBB195_25
.LBB195_37:                             ;   in Loop: Header=BB195_13 Depth=1
	v_add3_u32 v25, v6, s53, 64
	v_cndmask_b32_e32 v26, v25, v24, vcc
	v_ashrrev_i32_e32 v27, 31, v26
	v_lshlrev_b64 v[26:27], 4, v[26:27]
	v_mov_b32_e32 v25, s25
	v_add_co_u32_e64 v26, s[0:1], s24, v26
	v_addc_co_u32_e64 v27, s[0:1], v25, v27, s[0:1]
	global_load_dwordx4 v[26:29], v[26:27], off
	v_add_u32_e32 v30, v8, v3
	v_ashrrev_i32_e32 v31, 31, v30
	v_lshlrev_b64 v[32:33], 2, v[30:31]
	v_mov_b32_e32 v25, s27
	v_add_co_u32_e64 v32, s[0:1], s26, v32
	v_addc_co_u32_e64 v33, s[0:1], v25, v33, s[0:1]
	v_lshlrev_b64 v[30:31], 4, v[30:31]
	v_mov_b32_e32 v25, s23
	v_add_co_u32_e64 v30, s[0:1], s22, v30
	v_addc_co_u32_e64 v31, s[0:1], v25, v31, s[0:1]
	global_store_dword v[32:33], v16, off
	s_waitcnt vmcnt(1)
	global_store_dwordx4 v[30:31], v[26:29], off
	s_or_b64 exec, exec, s[50:51]
	s_and_saveexec_b64 s[50:51], s[46:47]
	s_cbranch_execz .LBB195_26
.LBB195_38:                             ;   in Loop: Header=BB195_13 Depth=1
	v_add3_u32 v25, v8, v13, 32
	v_add3_u32 v26, v4, s53, 64
	v_cndmask_b32_e32 v26, v26, v25, vcc
	v_ashrrev_i32_e32 v27, 31, v26
	v_lshlrev_b64 v[26:27], 4, v[26:27]
	v_mov_b32_e32 v25, s25
	v_add_co_u32_e64 v26, s[0:1], s24, v26
	v_addc_co_u32_e64 v27, s[0:1], v25, v27, s[0:1]
	global_load_dwordx4 v[26:29], v[26:27], off
	v_add3_u32 v30, v8, v3, 32
	v_ashrrev_i32_e32 v31, 31, v30
	v_lshlrev_b64 v[32:33], 2, v[30:31]
	v_mov_b32_e32 v25, s27
	v_add_co_u32_e64 v32, s[0:1], s26, v32
	v_addc_co_u32_e64 v33, s[0:1], v25, v33, s[0:1]
	v_lshlrev_b64 v[30:31], 4, v[30:31]
	v_mov_b32_e32 v25, s23
	v_add_co_u32_e64 v30, s[0:1], s22, v30
	v_addc_co_u32_e64 v31, s[0:1], v25, v31, s[0:1]
	global_store_dword v[32:33], v17, off
	s_waitcnt vmcnt(1)
	global_store_dwordx4 v[30:31], v[26:29], off
	s_or_b64 exec, exec, s[50:51]
	s_and_saveexec_b64 s[50:51], s[48:49]
	s_cbranch_execz .LBB195_27
.LBB195_39:                             ;   in Loop: Header=BB195_13 Depth=1
	v_cndmask_b32_e32 v24, v22, v24, vcc
	v_add_u32_e32 v24, 64, v24
	v_ashrrev_i32_e32 v25, 31, v24
	v_lshlrev_b64 v[24:25], 4, v[24:25]
	v_mov_b32_e32 v26, s25
	v_add_co_u32_e64 v24, s[0:1], s24, v24
	v_addc_co_u32_e64 v25, s[0:1], v26, v25, s[0:1]
	global_load_dwordx4 v[24:27], v[24:25], off
	v_add3_u32 v28, v8, v3, 64
	v_ashrrev_i32_e32 v29, 31, v28
	v_lshlrev_b64 v[30:31], 2, v[28:29]
	v_mov_b32_e32 v32, s27
	v_add_co_u32_e64 v30, s[0:1], s26, v30
	v_addc_co_u32_e64 v31, s[0:1], v32, v31, s[0:1]
	v_lshlrev_b64 v[28:29], 4, v[28:29]
	global_store_dword v[30:31], v18, off
	v_mov_b32_e32 v30, s23
	v_add_co_u32_e64 v28, s[0:1], s22, v28
	v_addc_co_u32_e64 v29, s[0:1], v30, v29, s[0:1]
	s_waitcnt vmcnt(1)
	global_store_dwordx4 v[28:29], v[24:27], off
	s_or_b64 exec, exec, s[50:51]
	s_and_saveexec_b64 s[50:51], s[6:7]
	s_cbranch_execz .LBB195_28
.LBB195_40:                             ;   in Loop: Header=BB195_13 Depth=1
	v_add3_u32 v24, v8, v13, s54
	v_add3_u32 v25, v0, s53, 64
	v_cndmask_b32_e32 v24, v25, v24, vcc
	v_ashrrev_i32_e32 v25, 31, v24
	v_lshlrev_b64 v[24:25], 4, v[24:25]
	v_mov_b32_e32 v26, s25
	v_add_co_u32_e64 v24, s[0:1], s24, v24
	v_addc_co_u32_e64 v25, s[0:1], v26, v25, s[0:1]
	global_load_dwordx4 v[24:27], v[24:25], off
	v_add3_u32 v28, v8, v3, s54
	v_ashrrev_i32_e32 v29, 31, v28
	v_lshlrev_b64 v[30:31], 2, v[28:29]
	v_mov_b32_e32 v32, s27
	v_add_co_u32_e64 v30, s[0:1], s26, v30
	v_addc_co_u32_e64 v31, s[0:1], v32, v31, s[0:1]
	v_lshlrev_b64 v[28:29], 4, v[28:29]
	global_store_dword v[30:31], v19, off
	v_mov_b32_e32 v30, s23
	v_add_co_u32_e64 v28, s[0:1], s22, v28
	v_addc_co_u32_e64 v29, s[0:1], v30, v29, s[0:1]
	s_waitcnt vmcnt(1)
	global_store_dwordx4 v[28:29], v[24:27], off
	s_or_b64 exec, exec, s[50:51]
	v_add_u32_e32 v24, v8, v14
	s_and_saveexec_b64 s[50:51], s[4:5]
	s_cbranch_execz .LBB195_29
.LBB195_41:                             ;   in Loop: Header=BB195_13 Depth=1
	v_add_u32_e32 v20, 0x60, v20
	v_cndmask_b32_e32 v26, v20, v24, vcc
	v_ashrrev_i32_e32 v27, 31, v26
	v_lshlrev_b64 v[26:27], 4, v[26:27]
	v_mov_b32_e32 v20, s25
	v_add_co_u32_e64 v26, s[0:1], s24, v26
	v_addc_co_u32_e64 v27, s[0:1], v20, v27, s[0:1]
	global_load_dwordx4 v[26:29], v[26:27], off
	v_add_u32_e32 v30, v8, v5
	v_ashrrev_i32_e32 v31, 31, v30
	v_lshlrev_b64 v[32:33], 2, v[30:31]
	v_mov_b32_e32 v20, s27
	v_add_co_u32_e64 v32, s[0:1], s26, v32
	v_addc_co_u32_e64 v33, s[0:1], v20, v33, s[0:1]
	v_lshlrev_b64 v[30:31], 4, v[30:31]
	global_store_dword v[32:33], v16, off
	v_mov_b32_e32 v16, s23
	v_add_co_u32_e64 v30, s[0:1], s22, v30
	v_addc_co_u32_e64 v31, s[0:1], v16, v31, s[0:1]
	s_waitcnt vmcnt(1)
	global_store_dwordx4 v[30:31], v[26:29], off
	s_or_b64 exec, exec, s[50:51]
	s_and_saveexec_b64 s[50:51], s[10:11]
	s_cbranch_execz .LBB195_30
.LBB195_42:                             ;   in Loop: Header=BB195_13 Depth=1
	v_add3_u32 v16, v8, v14, 32
	v_add_u32_e32 v20, 0x60, v21
	v_cndmask_b32_e32 v20, v20, v16, vcc
	v_ashrrev_i32_e32 v21, 31, v20
	v_lshlrev_b64 v[20:21], 4, v[20:21]
	v_mov_b32_e32 v16, s25
	v_add_co_u32_e64 v20, s[0:1], s24, v20
	v_addc_co_u32_e64 v21, s[0:1], v16, v21, s[0:1]
	global_load_dwordx4 v[26:29], v[20:21], off
	v_add3_u32 v20, v8, v5, 32
	v_ashrrev_i32_e32 v21, 31, v20
	v_lshlrev_b64 v[30:31], 2, v[20:21]
	v_mov_b32_e32 v16, s27
	v_add_co_u32_e64 v30, s[0:1], s26, v30
	v_addc_co_u32_e64 v31, s[0:1], v16, v31, s[0:1]
	global_store_dword v[30:31], v17, off
	v_lshlrev_b64 v[16:17], 4, v[20:21]
	v_mov_b32_e32 v20, s23
	v_add_co_u32_e64 v16, s[0:1], s22, v16
	v_addc_co_u32_e64 v17, s[0:1], v20, v17, s[0:1]
	s_waitcnt vmcnt(1)
	global_store_dwordx4 v[16:17], v[26:29], off
	s_or_b64 exec, exec, s[50:51]
	s_and_saveexec_b64 s[50:51], s[12:13]
	s_cbranch_execz .LBB195_31
.LBB195_43:                             ;   in Loop: Header=BB195_13 Depth=1
	v_add3_u32 v16, v8, v14, 64
	v_add_u32_e32 v17, 0x60, v22
	v_cndmask_b32_e32 v16, v17, v16, vcc
	v_ashrrev_i32_e32 v17, 31, v16
	v_lshlrev_b64 v[16:17], 4, v[16:17]
	v_mov_b32_e32 v20, s25
	v_add_co_u32_e64 v16, s[0:1], s24, v16
	v_addc_co_u32_e64 v17, s[0:1], v20, v17, s[0:1]
	global_load_dwordx4 v[26:29], v[16:17], off
	v_add3_u32 v16, v8, v5, 64
	v_ashrrev_i32_e32 v17, 31, v16
	v_lshlrev_b64 v[20:21], 2, v[16:17]
	v_mov_b32_e32 v22, s27
	v_add_co_u32_e64 v20, s[0:1], s26, v20
	v_addc_co_u32_e64 v21, s[0:1], v22, v21, s[0:1]
	v_lshlrev_b64 v[16:17], 4, v[16:17]
	global_store_dword v[20:21], v18, off
	v_mov_b32_e32 v18, s23
	v_add_co_u32_e64 v16, s[0:1], s22, v16
	v_addc_co_u32_e64 v17, s[0:1], v18, v17, s[0:1]
	s_waitcnt vmcnt(1)
	global_store_dwordx4 v[16:17], v[26:29], off
	s_or_b64 exec, exec, s[50:51]
	s_and_saveexec_b64 s[50:51], s[8:9]
	s_cbranch_execz .LBB195_12
.LBB195_44:                             ;   in Loop: Header=BB195_13 Depth=1
	v_cndmask_b32_e32 v16, v23, v24, vcc
	v_add_u32_e32 v16, 0x60, v16
	v_ashrrev_i32_e32 v17, 31, v16
	v_lshlrev_b64 v[16:17], 4, v[16:17]
	v_mov_b32_e32 v18, s25
	v_add_co_u32_e64 v16, s[0:1], s24, v16
	v_addc_co_u32_e64 v17, s[0:1], v18, v17, s[0:1]
	global_load_dwordx4 v[20:23], v[16:17], off
	v_add3_u32 v16, v8, v5, s54
	v_ashrrev_i32_e32 v17, 31, v16
	v_lshlrev_b64 v[24:25], 2, v[16:17]
	v_mov_b32_e32 v18, s27
	v_add_co_u32_e64 v24, s[0:1], s26, v24
	v_addc_co_u32_e64 v25, s[0:1], v18, v25, s[0:1]
	v_lshlrev_b64 v[16:17], 4, v[16:17]
	v_mov_b32_e32 v18, s23
	v_add_co_u32_e64 v16, s[0:1], s22, v16
	v_addc_co_u32_e64 v17, s[0:1], v18, v17, s[0:1]
	global_store_dword v[24:25], v19, off
	s_waitcnt vmcnt(1)
	global_store_dwordx4 v[16:17], v[20:23], off
	s_branch .LBB195_12
.LBB195_45:
	s_endpgm
	.section	.rodata,"a",@progbits
	.p2align	6, 0x0
	.amdhsa_kernel _ZN9rocsparseL37gebsr2csr_block_per_row_33_128_kernelILi1024ELi128ELi128ELi32ELi32E21rocsparse_complex_numIdEEEv20rocsparse_direction_ii21rocsparse_index_base_PKT4_PKiS9_iiS4_PS5_PiSB_
		.amdhsa_group_segment_fixed_size 0
		.amdhsa_private_segment_fixed_size 0
		.amdhsa_kernarg_size 80
		.amdhsa_user_sgpr_count 6
		.amdhsa_user_sgpr_private_segment_buffer 1
		.amdhsa_user_sgpr_dispatch_ptr 0
		.amdhsa_user_sgpr_queue_ptr 0
		.amdhsa_user_sgpr_kernarg_segment_ptr 1
		.amdhsa_user_sgpr_dispatch_id 0
		.amdhsa_user_sgpr_flat_scratch_init 0
		.amdhsa_user_sgpr_kernarg_preload_length 0
		.amdhsa_user_sgpr_kernarg_preload_offset 0
		.amdhsa_user_sgpr_private_segment_size 0
		.amdhsa_uses_dynamic_stack 0
		.amdhsa_system_sgpr_private_segment_wavefront_offset 0
		.amdhsa_system_sgpr_workgroup_id_x 1
		.amdhsa_system_sgpr_workgroup_id_y 0
		.amdhsa_system_sgpr_workgroup_id_z 0
		.amdhsa_system_sgpr_workgroup_info 0
		.amdhsa_system_vgpr_workitem_id 0
		.amdhsa_next_free_vgpr 34
		.amdhsa_next_free_sgpr 58
		.amdhsa_accum_offset 36
		.amdhsa_reserve_vcc 1
		.amdhsa_reserve_flat_scratch 0
		.amdhsa_float_round_mode_32 0
		.amdhsa_float_round_mode_16_64 0
		.amdhsa_float_denorm_mode_32 3
		.amdhsa_float_denorm_mode_16_64 3
		.amdhsa_dx10_clamp 1
		.amdhsa_ieee_mode 1
		.amdhsa_fp16_overflow 0
		.amdhsa_tg_split 0
		.amdhsa_exception_fp_ieee_invalid_op 0
		.amdhsa_exception_fp_denorm_src 0
		.amdhsa_exception_fp_ieee_div_zero 0
		.amdhsa_exception_fp_ieee_overflow 0
		.amdhsa_exception_fp_ieee_underflow 0
		.amdhsa_exception_fp_ieee_inexact 0
		.amdhsa_exception_int_div_zero 0
	.end_amdhsa_kernel
	.section	.text._ZN9rocsparseL37gebsr2csr_block_per_row_33_128_kernelILi1024ELi128ELi128ELi32ELi32E21rocsparse_complex_numIdEEEv20rocsparse_direction_ii21rocsparse_index_base_PKT4_PKiS9_iiS4_PS5_PiSB_,"axG",@progbits,_ZN9rocsparseL37gebsr2csr_block_per_row_33_128_kernelILi1024ELi128ELi128ELi32ELi32E21rocsparse_complex_numIdEEEv20rocsparse_direction_ii21rocsparse_index_base_PKT4_PKiS9_iiS4_PS5_PiSB_,comdat
.Lfunc_end195:
	.size	_ZN9rocsparseL37gebsr2csr_block_per_row_33_128_kernelILi1024ELi128ELi128ELi32ELi32E21rocsparse_complex_numIdEEEv20rocsparse_direction_ii21rocsparse_index_base_PKT4_PKiS9_iiS4_PS5_PiSB_, .Lfunc_end195-_ZN9rocsparseL37gebsr2csr_block_per_row_33_128_kernelILi1024ELi128ELi128ELi32ELi32E21rocsparse_complex_numIdEEEv20rocsparse_direction_ii21rocsparse_index_base_PKT4_PKiS9_iiS4_PS5_PiSB_
                                        ; -- End function
	.section	.AMDGPU.csdata,"",@progbits
; Kernel info:
; codeLenInByte = 3620
; NumSgprs: 62
; NumVgprs: 34
; NumAgprs: 0
; TotalNumVgprs: 34
; ScratchSize: 0
; MemoryBound: 0
; FloatMode: 240
; IeeeMode: 1
; LDSByteSize: 0 bytes/workgroup (compile time only)
; SGPRBlocks: 7
; VGPRBlocks: 4
; NumSGPRsForWavesPerEU: 62
; NumVGPRsForWavesPerEU: 34
; AccumOffset: 36
; Occupancy: 8
; WaveLimiterHint : 0
; COMPUTE_PGM_RSRC2:SCRATCH_EN: 0
; COMPUTE_PGM_RSRC2:USER_SGPR: 6
; COMPUTE_PGM_RSRC2:TRAP_HANDLER: 0
; COMPUTE_PGM_RSRC2:TGID_X_EN: 1
; COMPUTE_PGM_RSRC2:TGID_Y_EN: 0
; COMPUTE_PGM_RSRC2:TGID_Z_EN: 0
; COMPUTE_PGM_RSRC2:TIDIG_COMP_CNT: 0
; COMPUTE_PGM_RSRC3_GFX90A:ACCUM_OFFSET: 8
; COMPUTE_PGM_RSRC3_GFX90A:TG_SPLIT: 0
	.text
	.p2alignl 6, 3212836864
	.fill 256, 4, 3212836864
	.type	__hip_cuid_fe989442c82e73fc,@object ; @__hip_cuid_fe989442c82e73fc
	.section	.bss,"aw",@nobits
	.globl	__hip_cuid_fe989442c82e73fc
__hip_cuid_fe989442c82e73fc:
	.byte	0                               ; 0x0
	.size	__hip_cuid_fe989442c82e73fc, 1

	.ident	"AMD clang version 19.0.0git (https://github.com/RadeonOpenCompute/llvm-project roc-6.4.0 25133 c7fe45cf4b819c5991fe208aaa96edf142730f1d)"
	.section	".note.GNU-stack","",@progbits
	.addrsig
	.addrsig_sym __hip_cuid_fe989442c82e73fc
	.amdgpu_metadata
---
amdhsa.kernels:
  - .agpr_count:     0
    .args:
      - .offset:         0
        .size:           4
        .value_kind:     by_value
      - .offset:         4
        .size:           4
        .value_kind:     by_value
      - .offset:         8
        .size:           4
        .value_kind:     by_value
      - .offset:         12
        .size:           4
        .value_kind:     by_value
      - .actual_access:  read_only
        .address_space:  global
        .offset:         16
        .size:           8
        .value_kind:     global_buffer
      - .actual_access:  read_only
        .address_space:  global
        .offset:         24
        .size:           8
        .value_kind:     global_buffer
      - .actual_access:  read_only
        .address_space:  global
        .offset:         32
        .size:           8
        .value_kind:     global_buffer
      - .offset:         40
        .size:           4
        .value_kind:     by_value
      - .offset:         44
        .size:           4
        .value_kind:     by_value
      - .offset:         48
        .size:           4
        .value_kind:     by_value
      - .actual_access:  write_only
        .address_space:  global
        .offset:         56
        .size:           8
        .value_kind:     global_buffer
      - .actual_access:  write_only
        .address_space:  global
        .offset:         64
        .size:           8
        .value_kind:     global_buffer
      - .actual_access:  write_only
        .address_space:  global
        .offset:         72
        .size:           8
        .value_kind:     global_buffer
    .group_segment_fixed_size: 0
    .kernarg_segment_align: 8
    .kernarg_segment_size: 80
    .language:       OpenCL C
    .language_version:
      - 2
      - 0
    .max_flat_workgroup_size: 256
    .name:           _ZN9rocsparseL35gebsr2csr_block_per_row_1_32_kernelILi256ELi2ELi2EfEEv20rocsparse_direction_ii21rocsparse_index_base_PKT2_PKiS7_iiS2_PS3_PiS9_
    .private_segment_fixed_size: 0
    .sgpr_count:     34
    .sgpr_spill_count: 0
    .symbol:         _ZN9rocsparseL35gebsr2csr_block_per_row_1_32_kernelILi256ELi2ELi2EfEEv20rocsparse_direction_ii21rocsparse_index_base_PKT2_PKiS7_iiS2_PS3_PiS9_.kd
    .uniform_work_group_size: 1
    .uses_dynamic_stack: false
    .vgpr_count:     36
    .vgpr_spill_count: 0
    .wavefront_size: 64
  - .agpr_count:     0
    .args:
      - .offset:         0
        .size:           4
        .value_kind:     by_value
      - .offset:         4
        .size:           4
        .value_kind:     by_value
      - .offset:         8
        .size:           4
        .value_kind:     by_value
      - .offset:         12
        .size:           4
        .value_kind:     by_value
      - .actual_access:  read_only
        .address_space:  global
        .offset:         16
        .size:           8
        .value_kind:     global_buffer
      - .actual_access:  read_only
        .address_space:  global
        .offset:         24
        .size:           8
        .value_kind:     global_buffer
      - .actual_access:  read_only
        .address_space:  global
        .offset:         32
        .size:           8
        .value_kind:     global_buffer
      - .offset:         40
        .size:           4
        .value_kind:     by_value
      - .offset:         44
        .size:           4
        .value_kind:     by_value
      - .offset:         48
        .size:           4
        .value_kind:     by_value
      - .actual_access:  write_only
        .address_space:  global
        .offset:         56
        .size:           8
        .value_kind:     global_buffer
      - .actual_access:  write_only
        .address_space:  global
        .offset:         64
        .size:           8
        .value_kind:     global_buffer
      - .actual_access:  write_only
        .address_space:  global
        .offset:         72
        .size:           8
        .value_kind:     global_buffer
    .group_segment_fixed_size: 0
    .kernarg_segment_align: 8
    .kernarg_segment_size: 80
    .language:       OpenCL C
    .language_version:
      - 2
      - 0
    .max_flat_workgroup_size: 256
    .name:           _ZN9rocsparseL35gebsr2csr_block_per_row_1_32_kernelILi256ELi2ELi4EfEEv20rocsparse_direction_ii21rocsparse_index_base_PKT2_PKiS7_iiS2_PS3_PiS9_
    .private_segment_fixed_size: 0
    .sgpr_count:     34
    .sgpr_spill_count: 0
    .symbol:         _ZN9rocsparseL35gebsr2csr_block_per_row_1_32_kernelILi256ELi2ELi4EfEEv20rocsparse_direction_ii21rocsparse_index_base_PKT2_PKiS7_iiS2_PS3_PiS9_.kd
    .uniform_work_group_size: 1
    .uses_dynamic_stack: false
    .vgpr_count:     36
    .vgpr_spill_count: 0
    .wavefront_size: 64
  - .agpr_count:     0
    .args:
      - .offset:         0
        .size:           4
        .value_kind:     by_value
      - .offset:         4
        .size:           4
        .value_kind:     by_value
      - .offset:         8
        .size:           4
        .value_kind:     by_value
      - .offset:         12
        .size:           4
        .value_kind:     by_value
      - .actual_access:  read_only
        .address_space:  global
        .offset:         16
        .size:           8
        .value_kind:     global_buffer
      - .actual_access:  read_only
        .address_space:  global
        .offset:         24
        .size:           8
        .value_kind:     global_buffer
      - .actual_access:  read_only
        .address_space:  global
        .offset:         32
        .size:           8
        .value_kind:     global_buffer
      - .offset:         40
        .size:           4
        .value_kind:     by_value
      - .offset:         44
        .size:           4
        .value_kind:     by_value
      - .offset:         48
        .size:           4
        .value_kind:     by_value
      - .actual_access:  write_only
        .address_space:  global
        .offset:         56
        .size:           8
        .value_kind:     global_buffer
      - .actual_access:  write_only
        .address_space:  global
        .offset:         64
        .size:           8
        .value_kind:     global_buffer
      - .actual_access:  write_only
        .address_space:  global
        .offset:         72
        .size:           8
        .value_kind:     global_buffer
    .group_segment_fixed_size: 0
    .kernarg_segment_align: 8
    .kernarg_segment_size: 80
    .language:       OpenCL C
    .language_version:
      - 2
      - 0
    .max_flat_workgroup_size: 256
    .name:           _ZN9rocsparseL35gebsr2csr_block_per_row_1_32_kernelILi256ELi2ELi8EfEEv20rocsparse_direction_ii21rocsparse_index_base_PKT2_PKiS7_iiS2_PS3_PiS9_
    .private_segment_fixed_size: 0
    .sgpr_count:     34
    .sgpr_spill_count: 0
    .symbol:         _ZN9rocsparseL35gebsr2csr_block_per_row_1_32_kernelILi256ELi2ELi8EfEEv20rocsparse_direction_ii21rocsparse_index_base_PKT2_PKiS7_iiS2_PS3_PiS9_.kd
    .uniform_work_group_size: 1
    .uses_dynamic_stack: false
    .vgpr_count:     36
    .vgpr_spill_count: 0
    .wavefront_size: 64
  - .agpr_count:     0
    .args:
      - .offset:         0
        .size:           4
        .value_kind:     by_value
      - .offset:         4
        .size:           4
        .value_kind:     by_value
      - .offset:         8
        .size:           4
        .value_kind:     by_value
      - .offset:         12
        .size:           4
        .value_kind:     by_value
      - .actual_access:  read_only
        .address_space:  global
        .offset:         16
        .size:           8
        .value_kind:     global_buffer
      - .actual_access:  read_only
        .address_space:  global
        .offset:         24
        .size:           8
        .value_kind:     global_buffer
      - .actual_access:  read_only
        .address_space:  global
        .offset:         32
        .size:           8
        .value_kind:     global_buffer
      - .offset:         40
        .size:           4
        .value_kind:     by_value
      - .offset:         44
        .size:           4
        .value_kind:     by_value
      - .offset:         48
        .size:           4
        .value_kind:     by_value
      - .actual_access:  write_only
        .address_space:  global
        .offset:         56
        .size:           8
        .value_kind:     global_buffer
      - .actual_access:  write_only
        .address_space:  global
        .offset:         64
        .size:           8
        .value_kind:     global_buffer
      - .actual_access:  write_only
        .address_space:  global
        .offset:         72
        .size:           8
        .value_kind:     global_buffer
    .group_segment_fixed_size: 0
    .kernarg_segment_align: 8
    .kernarg_segment_size: 80
    .language:       OpenCL C
    .language_version:
      - 2
      - 0
    .max_flat_workgroup_size: 256
    .name:           _ZN9rocsparseL35gebsr2csr_block_per_row_1_32_kernelILi256ELi2ELi16EfEEv20rocsparse_direction_ii21rocsparse_index_base_PKT2_PKiS7_iiS2_PS3_PiS9_
    .private_segment_fixed_size: 0
    .sgpr_count:     34
    .sgpr_spill_count: 0
    .symbol:         _ZN9rocsparseL35gebsr2csr_block_per_row_1_32_kernelILi256ELi2ELi16EfEEv20rocsparse_direction_ii21rocsparse_index_base_PKT2_PKiS7_iiS2_PS3_PiS9_.kd
    .uniform_work_group_size: 1
    .uses_dynamic_stack: false
    .vgpr_count:     36
    .vgpr_spill_count: 0
    .wavefront_size: 64
  - .agpr_count:     0
    .args:
      - .offset:         0
        .size:           4
        .value_kind:     by_value
      - .offset:         4
        .size:           4
        .value_kind:     by_value
      - .offset:         8
        .size:           4
        .value_kind:     by_value
      - .offset:         12
        .size:           4
        .value_kind:     by_value
      - .actual_access:  read_only
        .address_space:  global
        .offset:         16
        .size:           8
        .value_kind:     global_buffer
      - .actual_access:  read_only
        .address_space:  global
        .offset:         24
        .size:           8
        .value_kind:     global_buffer
      - .actual_access:  read_only
        .address_space:  global
        .offset:         32
        .size:           8
        .value_kind:     global_buffer
      - .offset:         40
        .size:           4
        .value_kind:     by_value
      - .offset:         44
        .size:           4
        .value_kind:     by_value
      - .offset:         48
        .size:           4
        .value_kind:     by_value
      - .actual_access:  write_only
        .address_space:  global
        .offset:         56
        .size:           8
        .value_kind:     global_buffer
      - .actual_access:  write_only
        .address_space:  global
        .offset:         64
        .size:           8
        .value_kind:     global_buffer
      - .actual_access:  write_only
        .address_space:  global
        .offset:         72
        .size:           8
        .value_kind:     global_buffer
    .group_segment_fixed_size: 0
    .kernarg_segment_align: 8
    .kernarg_segment_size: 80
    .language:       OpenCL C
    .language_version:
      - 2
      - 0
    .max_flat_workgroup_size: 256
    .name:           _ZN9rocsparseL35gebsr2csr_block_per_row_1_32_kernelILi256ELi2ELi32EfEEv20rocsparse_direction_ii21rocsparse_index_base_PKT2_PKiS7_iiS2_PS3_PiS9_
    .private_segment_fixed_size: 0
    .sgpr_count:     34
    .sgpr_spill_count: 0
    .symbol:         _ZN9rocsparseL35gebsr2csr_block_per_row_1_32_kernelILi256ELi2ELi32EfEEv20rocsparse_direction_ii21rocsparse_index_base_PKT2_PKiS7_iiS2_PS3_PiS9_.kd
    .uniform_work_group_size: 1
    .uses_dynamic_stack: false
    .vgpr_count:     36
    .vgpr_spill_count: 0
    .wavefront_size: 64
  - .agpr_count:     0
    .args:
      - .offset:         0
        .size:           4
        .value_kind:     by_value
      - .offset:         4
        .size:           4
        .value_kind:     by_value
      - .offset:         8
        .size:           4
        .value_kind:     by_value
      - .offset:         12
        .size:           4
        .value_kind:     by_value
      - .actual_access:  read_only
        .address_space:  global
        .offset:         16
        .size:           8
        .value_kind:     global_buffer
      - .actual_access:  read_only
        .address_space:  global
        .offset:         24
        .size:           8
        .value_kind:     global_buffer
      - .actual_access:  read_only
        .address_space:  global
        .offset:         32
        .size:           8
        .value_kind:     global_buffer
      - .offset:         40
        .size:           4
        .value_kind:     by_value
      - .offset:         44
        .size:           4
        .value_kind:     by_value
      - .offset:         48
        .size:           4
        .value_kind:     by_value
      - .actual_access:  write_only
        .address_space:  global
        .offset:         56
        .size:           8
        .value_kind:     global_buffer
      - .actual_access:  write_only
        .address_space:  global
        .offset:         64
        .size:           8
        .value_kind:     global_buffer
      - .actual_access:  write_only
        .address_space:  global
        .offset:         72
        .size:           8
        .value_kind:     global_buffer
    .group_segment_fixed_size: 0
    .kernarg_segment_align: 8
    .kernarg_segment_size: 80
    .language:       OpenCL C
    .language_version:
      - 2
      - 0
    .max_flat_workgroup_size: 256
    .name:           _ZN9rocsparseL37gebsr2csr_block_per_row_33_128_kernelILi256ELi2ELi64ELi2ELi32EfEEv20rocsparse_direction_ii21rocsparse_index_base_PKT4_PKiS7_iiS2_PS3_PiS9_
    .private_segment_fixed_size: 0
    .sgpr_count:     29
    .sgpr_spill_count: 0
    .symbol:         _ZN9rocsparseL37gebsr2csr_block_per_row_33_128_kernelILi256ELi2ELi64ELi2ELi32EfEEv20rocsparse_direction_ii21rocsparse_index_base_PKT4_PKiS7_iiS2_PS3_PiS9_.kd
    .uniform_work_group_size: 1
    .uses_dynamic_stack: false
    .vgpr_count:     13
    .vgpr_spill_count: 0
    .wavefront_size: 64
  - .agpr_count:     0
    .args:
      - .offset:         0
        .size:           4
        .value_kind:     by_value
      - .offset:         4
        .size:           4
        .value_kind:     by_value
      - .offset:         8
        .size:           4
        .value_kind:     by_value
      - .offset:         12
        .size:           4
        .value_kind:     by_value
      - .actual_access:  read_only
        .address_space:  global
        .offset:         16
        .size:           8
        .value_kind:     global_buffer
      - .actual_access:  read_only
        .address_space:  global
        .offset:         24
        .size:           8
        .value_kind:     global_buffer
      - .actual_access:  read_only
        .address_space:  global
        .offset:         32
        .size:           8
        .value_kind:     global_buffer
      - .offset:         40
        .size:           4
        .value_kind:     by_value
      - .offset:         44
        .size:           4
        .value_kind:     by_value
      - .offset:         48
        .size:           4
        .value_kind:     by_value
      - .actual_access:  write_only
        .address_space:  global
        .offset:         56
        .size:           8
        .value_kind:     global_buffer
      - .actual_access:  write_only
        .address_space:  global
        .offset:         64
        .size:           8
        .value_kind:     global_buffer
      - .actual_access:  write_only
        .address_space:  global
        .offset:         72
        .size:           8
        .value_kind:     global_buffer
    .group_segment_fixed_size: 0
    .kernarg_segment_align: 8
    .kernarg_segment_size: 80
    .language:       OpenCL C
    .language_version:
      - 2
      - 0
    .max_flat_workgroup_size: 256
    .name:           _ZN9rocsparseL37gebsr2csr_block_per_row_33_128_kernelILi256ELi2ELi128ELi2ELi32EfEEv20rocsparse_direction_ii21rocsparse_index_base_PKT4_PKiS7_iiS2_PS3_PiS9_
    .private_segment_fixed_size: 0
    .sgpr_count:     33
    .sgpr_spill_count: 0
    .symbol:         _ZN9rocsparseL37gebsr2csr_block_per_row_33_128_kernelILi256ELi2ELi128ELi2ELi32EfEEv20rocsparse_direction_ii21rocsparse_index_base_PKT4_PKiS7_iiS2_PS3_PiS9_.kd
    .uniform_work_group_size: 1
    .uses_dynamic_stack: false
    .vgpr_count:     17
    .vgpr_spill_count: 0
    .wavefront_size: 64
  - .agpr_count:     0
    .args:
      - .offset:         0
        .size:           4
        .value_kind:     by_value
      - .offset:         4
        .size:           4
        .value_kind:     by_value
      - .offset:         8
        .size:           4
        .value_kind:     by_value
      - .offset:         12
        .size:           4
        .value_kind:     by_value
      - .actual_access:  read_only
        .address_space:  global
        .offset:         16
        .size:           8
        .value_kind:     global_buffer
      - .actual_access:  read_only
        .address_space:  global
        .offset:         24
        .size:           8
        .value_kind:     global_buffer
      - .actual_access:  read_only
        .address_space:  global
        .offset:         32
        .size:           8
        .value_kind:     global_buffer
      - .offset:         40
        .size:           4
        .value_kind:     by_value
      - .offset:         44
        .size:           4
        .value_kind:     by_value
      - .offset:         48
        .size:           4
        .value_kind:     by_value
      - .actual_access:  write_only
        .address_space:  global
        .offset:         56
        .size:           8
        .value_kind:     global_buffer
      - .actual_access:  write_only
        .address_space:  global
        .offset:         64
        .size:           8
        .value_kind:     global_buffer
      - .actual_access:  write_only
        .address_space:  global
        .offset:         72
        .size:           8
        .value_kind:     global_buffer
    .group_segment_fixed_size: 0
    .kernarg_segment_align: 8
    .kernarg_segment_size: 80
    .language:       OpenCL C
    .language_version:
      - 2
      - 0
    .max_flat_workgroup_size: 256
    .name:           _ZN9rocsparseL35gebsr2csr_block_per_row_1_32_kernelILi256ELi4ELi2EfEEv20rocsparse_direction_ii21rocsparse_index_base_PKT2_PKiS7_iiS2_PS3_PiS9_
    .private_segment_fixed_size: 0
    .sgpr_count:     34
    .sgpr_spill_count: 0
    .symbol:         _ZN9rocsparseL35gebsr2csr_block_per_row_1_32_kernelILi256ELi4ELi2EfEEv20rocsparse_direction_ii21rocsparse_index_base_PKT2_PKiS7_iiS2_PS3_PiS9_.kd
    .uniform_work_group_size: 1
    .uses_dynamic_stack: false
    .vgpr_count:     36
    .vgpr_spill_count: 0
    .wavefront_size: 64
  - .agpr_count:     0
    .args:
      - .offset:         0
        .size:           4
        .value_kind:     by_value
      - .offset:         4
        .size:           4
        .value_kind:     by_value
      - .offset:         8
        .size:           4
        .value_kind:     by_value
      - .offset:         12
        .size:           4
        .value_kind:     by_value
      - .actual_access:  read_only
        .address_space:  global
        .offset:         16
        .size:           8
        .value_kind:     global_buffer
      - .actual_access:  read_only
        .address_space:  global
        .offset:         24
        .size:           8
        .value_kind:     global_buffer
      - .actual_access:  read_only
        .address_space:  global
        .offset:         32
        .size:           8
        .value_kind:     global_buffer
      - .offset:         40
        .size:           4
        .value_kind:     by_value
      - .offset:         44
        .size:           4
        .value_kind:     by_value
      - .offset:         48
        .size:           4
        .value_kind:     by_value
      - .actual_access:  write_only
        .address_space:  global
        .offset:         56
        .size:           8
        .value_kind:     global_buffer
      - .actual_access:  write_only
        .address_space:  global
        .offset:         64
        .size:           8
        .value_kind:     global_buffer
      - .actual_access:  write_only
        .address_space:  global
        .offset:         72
        .size:           8
        .value_kind:     global_buffer
    .group_segment_fixed_size: 0
    .kernarg_segment_align: 8
    .kernarg_segment_size: 80
    .language:       OpenCL C
    .language_version:
      - 2
      - 0
    .max_flat_workgroup_size: 256
    .name:           _ZN9rocsparseL35gebsr2csr_block_per_row_1_32_kernelILi256ELi4ELi4EfEEv20rocsparse_direction_ii21rocsparse_index_base_PKT2_PKiS7_iiS2_PS3_PiS9_
    .private_segment_fixed_size: 0
    .sgpr_count:     34
    .sgpr_spill_count: 0
    .symbol:         _ZN9rocsparseL35gebsr2csr_block_per_row_1_32_kernelILi256ELi4ELi4EfEEv20rocsparse_direction_ii21rocsparse_index_base_PKT2_PKiS7_iiS2_PS3_PiS9_.kd
    .uniform_work_group_size: 1
    .uses_dynamic_stack: false
    .vgpr_count:     36
    .vgpr_spill_count: 0
    .wavefront_size: 64
  - .agpr_count:     0
    .args:
      - .offset:         0
        .size:           4
        .value_kind:     by_value
      - .offset:         4
        .size:           4
        .value_kind:     by_value
      - .offset:         8
        .size:           4
        .value_kind:     by_value
      - .offset:         12
        .size:           4
        .value_kind:     by_value
      - .actual_access:  read_only
        .address_space:  global
        .offset:         16
        .size:           8
        .value_kind:     global_buffer
      - .actual_access:  read_only
        .address_space:  global
        .offset:         24
        .size:           8
        .value_kind:     global_buffer
      - .actual_access:  read_only
        .address_space:  global
        .offset:         32
        .size:           8
        .value_kind:     global_buffer
      - .offset:         40
        .size:           4
        .value_kind:     by_value
      - .offset:         44
        .size:           4
        .value_kind:     by_value
      - .offset:         48
        .size:           4
        .value_kind:     by_value
      - .actual_access:  write_only
        .address_space:  global
        .offset:         56
        .size:           8
        .value_kind:     global_buffer
      - .actual_access:  write_only
        .address_space:  global
        .offset:         64
        .size:           8
        .value_kind:     global_buffer
      - .actual_access:  write_only
        .address_space:  global
        .offset:         72
        .size:           8
        .value_kind:     global_buffer
    .group_segment_fixed_size: 0
    .kernarg_segment_align: 8
    .kernarg_segment_size: 80
    .language:       OpenCL C
    .language_version:
      - 2
      - 0
    .max_flat_workgroup_size: 256
    .name:           _ZN9rocsparseL35gebsr2csr_block_per_row_1_32_kernelILi256ELi4ELi8EfEEv20rocsparse_direction_ii21rocsparse_index_base_PKT2_PKiS7_iiS2_PS3_PiS9_
    .private_segment_fixed_size: 0
    .sgpr_count:     34
    .sgpr_spill_count: 0
    .symbol:         _ZN9rocsparseL35gebsr2csr_block_per_row_1_32_kernelILi256ELi4ELi8EfEEv20rocsparse_direction_ii21rocsparse_index_base_PKT2_PKiS7_iiS2_PS3_PiS9_.kd
    .uniform_work_group_size: 1
    .uses_dynamic_stack: false
    .vgpr_count:     36
    .vgpr_spill_count: 0
    .wavefront_size: 64
  - .agpr_count:     0
    .args:
      - .offset:         0
        .size:           4
        .value_kind:     by_value
      - .offset:         4
        .size:           4
        .value_kind:     by_value
      - .offset:         8
        .size:           4
        .value_kind:     by_value
      - .offset:         12
        .size:           4
        .value_kind:     by_value
      - .actual_access:  read_only
        .address_space:  global
        .offset:         16
        .size:           8
        .value_kind:     global_buffer
      - .actual_access:  read_only
        .address_space:  global
        .offset:         24
        .size:           8
        .value_kind:     global_buffer
      - .actual_access:  read_only
        .address_space:  global
        .offset:         32
        .size:           8
        .value_kind:     global_buffer
      - .offset:         40
        .size:           4
        .value_kind:     by_value
      - .offset:         44
        .size:           4
        .value_kind:     by_value
      - .offset:         48
        .size:           4
        .value_kind:     by_value
      - .actual_access:  write_only
        .address_space:  global
        .offset:         56
        .size:           8
        .value_kind:     global_buffer
      - .actual_access:  write_only
        .address_space:  global
        .offset:         64
        .size:           8
        .value_kind:     global_buffer
      - .actual_access:  write_only
        .address_space:  global
        .offset:         72
        .size:           8
        .value_kind:     global_buffer
    .group_segment_fixed_size: 0
    .kernarg_segment_align: 8
    .kernarg_segment_size: 80
    .language:       OpenCL C
    .language_version:
      - 2
      - 0
    .max_flat_workgroup_size: 1024
    .name:           _ZN9rocsparseL35gebsr2csr_block_per_row_1_32_kernelILi1024ELi4ELi16EfEEv20rocsparse_direction_ii21rocsparse_index_base_PKT2_PKiS7_iiS2_PS3_PiS9_
    .private_segment_fixed_size: 0
    .sgpr_count:     34
    .sgpr_spill_count: 0
    .symbol:         _ZN9rocsparseL35gebsr2csr_block_per_row_1_32_kernelILi1024ELi4ELi16EfEEv20rocsparse_direction_ii21rocsparse_index_base_PKT2_PKiS7_iiS2_PS3_PiS9_.kd
    .uniform_work_group_size: 1
    .uses_dynamic_stack: false
    .vgpr_count:     36
    .vgpr_spill_count: 0
    .wavefront_size: 64
  - .agpr_count:     0
    .args:
      - .offset:         0
        .size:           4
        .value_kind:     by_value
      - .offset:         4
        .size:           4
        .value_kind:     by_value
      - .offset:         8
        .size:           4
        .value_kind:     by_value
      - .offset:         12
        .size:           4
        .value_kind:     by_value
      - .actual_access:  read_only
        .address_space:  global
        .offset:         16
        .size:           8
        .value_kind:     global_buffer
      - .actual_access:  read_only
        .address_space:  global
        .offset:         24
        .size:           8
        .value_kind:     global_buffer
      - .actual_access:  read_only
        .address_space:  global
        .offset:         32
        .size:           8
        .value_kind:     global_buffer
      - .offset:         40
        .size:           4
        .value_kind:     by_value
      - .offset:         44
        .size:           4
        .value_kind:     by_value
      - .offset:         48
        .size:           4
        .value_kind:     by_value
      - .actual_access:  write_only
        .address_space:  global
        .offset:         56
        .size:           8
        .value_kind:     global_buffer
      - .actual_access:  write_only
        .address_space:  global
        .offset:         64
        .size:           8
        .value_kind:     global_buffer
      - .actual_access:  write_only
        .address_space:  global
        .offset:         72
        .size:           8
        .value_kind:     global_buffer
    .group_segment_fixed_size: 0
    .kernarg_segment_align: 8
    .kernarg_segment_size: 80
    .language:       OpenCL C
    .language_version:
      - 2
      - 0
    .max_flat_workgroup_size: 1024
    .name:           _ZN9rocsparseL35gebsr2csr_block_per_row_1_32_kernelILi1024ELi4ELi32EfEEv20rocsparse_direction_ii21rocsparse_index_base_PKT2_PKiS7_iiS2_PS3_PiS9_
    .private_segment_fixed_size: 0
    .sgpr_count:     34
    .sgpr_spill_count: 0
    .symbol:         _ZN9rocsparseL35gebsr2csr_block_per_row_1_32_kernelILi1024ELi4ELi32EfEEv20rocsparse_direction_ii21rocsparse_index_base_PKT2_PKiS7_iiS2_PS3_PiS9_.kd
    .uniform_work_group_size: 1
    .uses_dynamic_stack: false
    .vgpr_count:     36
    .vgpr_spill_count: 0
    .wavefront_size: 64
  - .agpr_count:     0
    .args:
      - .offset:         0
        .size:           4
        .value_kind:     by_value
      - .offset:         4
        .size:           4
        .value_kind:     by_value
      - .offset:         8
        .size:           4
        .value_kind:     by_value
      - .offset:         12
        .size:           4
        .value_kind:     by_value
      - .actual_access:  read_only
        .address_space:  global
        .offset:         16
        .size:           8
        .value_kind:     global_buffer
      - .actual_access:  read_only
        .address_space:  global
        .offset:         24
        .size:           8
        .value_kind:     global_buffer
      - .actual_access:  read_only
        .address_space:  global
        .offset:         32
        .size:           8
        .value_kind:     global_buffer
      - .offset:         40
        .size:           4
        .value_kind:     by_value
      - .offset:         44
        .size:           4
        .value_kind:     by_value
      - .offset:         48
        .size:           4
        .value_kind:     by_value
      - .actual_access:  write_only
        .address_space:  global
        .offset:         56
        .size:           8
        .value_kind:     global_buffer
      - .actual_access:  write_only
        .address_space:  global
        .offset:         64
        .size:           8
        .value_kind:     global_buffer
      - .actual_access:  write_only
        .address_space:  global
        .offset:         72
        .size:           8
        .value_kind:     global_buffer
    .group_segment_fixed_size: 0
    .kernarg_segment_align: 8
    .kernarg_segment_size: 80
    .language:       OpenCL C
    .language_version:
      - 2
      - 0
    .max_flat_workgroup_size: 1024
    .name:           _ZN9rocsparseL37gebsr2csr_block_per_row_33_128_kernelILi1024ELi4ELi64ELi4ELi32EfEEv20rocsparse_direction_ii21rocsparse_index_base_PKT4_PKiS7_iiS2_PS3_PiS9_
    .private_segment_fixed_size: 0
    .sgpr_count:     29
    .sgpr_spill_count: 0
    .symbol:         _ZN9rocsparseL37gebsr2csr_block_per_row_33_128_kernelILi1024ELi4ELi64ELi4ELi32EfEEv20rocsparse_direction_ii21rocsparse_index_base_PKT4_PKiS7_iiS2_PS3_PiS9_.kd
    .uniform_work_group_size: 1
    .uses_dynamic_stack: false
    .vgpr_count:     13
    .vgpr_spill_count: 0
    .wavefront_size: 64
  - .agpr_count:     0
    .args:
      - .offset:         0
        .size:           4
        .value_kind:     by_value
      - .offset:         4
        .size:           4
        .value_kind:     by_value
      - .offset:         8
        .size:           4
        .value_kind:     by_value
      - .offset:         12
        .size:           4
        .value_kind:     by_value
      - .actual_access:  read_only
        .address_space:  global
        .offset:         16
        .size:           8
        .value_kind:     global_buffer
      - .actual_access:  read_only
        .address_space:  global
        .offset:         24
        .size:           8
        .value_kind:     global_buffer
      - .actual_access:  read_only
        .address_space:  global
        .offset:         32
        .size:           8
        .value_kind:     global_buffer
      - .offset:         40
        .size:           4
        .value_kind:     by_value
      - .offset:         44
        .size:           4
        .value_kind:     by_value
      - .offset:         48
        .size:           4
        .value_kind:     by_value
      - .actual_access:  write_only
        .address_space:  global
        .offset:         56
        .size:           8
        .value_kind:     global_buffer
      - .actual_access:  write_only
        .address_space:  global
        .offset:         64
        .size:           8
        .value_kind:     global_buffer
      - .actual_access:  write_only
        .address_space:  global
        .offset:         72
        .size:           8
        .value_kind:     global_buffer
    .group_segment_fixed_size: 0
    .kernarg_segment_align: 8
    .kernarg_segment_size: 80
    .language:       OpenCL C
    .language_version:
      - 2
      - 0
    .max_flat_workgroup_size: 1024
    .name:           _ZN9rocsparseL37gebsr2csr_block_per_row_33_128_kernelILi1024ELi4ELi128ELi4ELi32EfEEv20rocsparse_direction_ii21rocsparse_index_base_PKT4_PKiS7_iiS2_PS3_PiS9_
    .private_segment_fixed_size: 0
    .sgpr_count:     33
    .sgpr_spill_count: 0
    .symbol:         _ZN9rocsparseL37gebsr2csr_block_per_row_33_128_kernelILi1024ELi4ELi128ELi4ELi32EfEEv20rocsparse_direction_ii21rocsparse_index_base_PKT4_PKiS7_iiS2_PS3_PiS9_.kd
    .uniform_work_group_size: 1
    .uses_dynamic_stack: false
    .vgpr_count:     17
    .vgpr_spill_count: 0
    .wavefront_size: 64
  - .agpr_count:     0
    .args:
      - .offset:         0
        .size:           4
        .value_kind:     by_value
      - .offset:         4
        .size:           4
        .value_kind:     by_value
      - .offset:         8
        .size:           4
        .value_kind:     by_value
      - .offset:         12
        .size:           4
        .value_kind:     by_value
      - .actual_access:  read_only
        .address_space:  global
        .offset:         16
        .size:           8
        .value_kind:     global_buffer
      - .actual_access:  read_only
        .address_space:  global
        .offset:         24
        .size:           8
        .value_kind:     global_buffer
      - .actual_access:  read_only
        .address_space:  global
        .offset:         32
        .size:           8
        .value_kind:     global_buffer
      - .offset:         40
        .size:           4
        .value_kind:     by_value
      - .offset:         44
        .size:           4
        .value_kind:     by_value
      - .offset:         48
        .size:           4
        .value_kind:     by_value
      - .actual_access:  write_only
        .address_space:  global
        .offset:         56
        .size:           8
        .value_kind:     global_buffer
      - .actual_access:  write_only
        .address_space:  global
        .offset:         64
        .size:           8
        .value_kind:     global_buffer
      - .actual_access:  write_only
        .address_space:  global
        .offset:         72
        .size:           8
        .value_kind:     global_buffer
    .group_segment_fixed_size: 0
    .kernarg_segment_align: 8
    .kernarg_segment_size: 80
    .language:       OpenCL C
    .language_version:
      - 2
      - 0
    .max_flat_workgroup_size: 1024
    .name:           _ZN9rocsparseL35gebsr2csr_block_per_row_1_32_kernelILi1024ELi8ELi2EfEEv20rocsparse_direction_ii21rocsparse_index_base_PKT2_PKiS7_iiS2_PS3_PiS9_
    .private_segment_fixed_size: 0
    .sgpr_count:     34
    .sgpr_spill_count: 0
    .symbol:         _ZN9rocsparseL35gebsr2csr_block_per_row_1_32_kernelILi1024ELi8ELi2EfEEv20rocsparse_direction_ii21rocsparse_index_base_PKT2_PKiS7_iiS2_PS3_PiS9_.kd
    .uniform_work_group_size: 1
    .uses_dynamic_stack: false
    .vgpr_count:     36
    .vgpr_spill_count: 0
    .wavefront_size: 64
  - .agpr_count:     0
    .args:
      - .offset:         0
        .size:           4
        .value_kind:     by_value
      - .offset:         4
        .size:           4
        .value_kind:     by_value
      - .offset:         8
        .size:           4
        .value_kind:     by_value
      - .offset:         12
        .size:           4
        .value_kind:     by_value
      - .actual_access:  read_only
        .address_space:  global
        .offset:         16
        .size:           8
        .value_kind:     global_buffer
      - .actual_access:  read_only
        .address_space:  global
        .offset:         24
        .size:           8
        .value_kind:     global_buffer
      - .actual_access:  read_only
        .address_space:  global
        .offset:         32
        .size:           8
        .value_kind:     global_buffer
      - .offset:         40
        .size:           4
        .value_kind:     by_value
      - .offset:         44
        .size:           4
        .value_kind:     by_value
      - .offset:         48
        .size:           4
        .value_kind:     by_value
      - .actual_access:  write_only
        .address_space:  global
        .offset:         56
        .size:           8
        .value_kind:     global_buffer
      - .actual_access:  write_only
        .address_space:  global
        .offset:         64
        .size:           8
        .value_kind:     global_buffer
      - .actual_access:  write_only
        .address_space:  global
        .offset:         72
        .size:           8
        .value_kind:     global_buffer
    .group_segment_fixed_size: 0
    .kernarg_segment_align: 8
    .kernarg_segment_size: 80
    .language:       OpenCL C
    .language_version:
      - 2
      - 0
    .max_flat_workgroup_size: 1024
    .name:           _ZN9rocsparseL35gebsr2csr_block_per_row_1_32_kernelILi1024ELi8ELi4EfEEv20rocsparse_direction_ii21rocsparse_index_base_PKT2_PKiS7_iiS2_PS3_PiS9_
    .private_segment_fixed_size: 0
    .sgpr_count:     34
    .sgpr_spill_count: 0
    .symbol:         _ZN9rocsparseL35gebsr2csr_block_per_row_1_32_kernelILi1024ELi8ELi4EfEEv20rocsparse_direction_ii21rocsparse_index_base_PKT2_PKiS7_iiS2_PS3_PiS9_.kd
    .uniform_work_group_size: 1
    .uses_dynamic_stack: false
    .vgpr_count:     36
    .vgpr_spill_count: 0
    .wavefront_size: 64
  - .agpr_count:     0
    .args:
      - .offset:         0
        .size:           4
        .value_kind:     by_value
      - .offset:         4
        .size:           4
        .value_kind:     by_value
      - .offset:         8
        .size:           4
        .value_kind:     by_value
      - .offset:         12
        .size:           4
        .value_kind:     by_value
      - .actual_access:  read_only
        .address_space:  global
        .offset:         16
        .size:           8
        .value_kind:     global_buffer
      - .actual_access:  read_only
        .address_space:  global
        .offset:         24
        .size:           8
        .value_kind:     global_buffer
      - .actual_access:  read_only
        .address_space:  global
        .offset:         32
        .size:           8
        .value_kind:     global_buffer
      - .offset:         40
        .size:           4
        .value_kind:     by_value
      - .offset:         44
        .size:           4
        .value_kind:     by_value
      - .offset:         48
        .size:           4
        .value_kind:     by_value
      - .actual_access:  write_only
        .address_space:  global
        .offset:         56
        .size:           8
        .value_kind:     global_buffer
      - .actual_access:  write_only
        .address_space:  global
        .offset:         64
        .size:           8
        .value_kind:     global_buffer
      - .actual_access:  write_only
        .address_space:  global
        .offset:         72
        .size:           8
        .value_kind:     global_buffer
    .group_segment_fixed_size: 0
    .kernarg_segment_align: 8
    .kernarg_segment_size: 80
    .language:       OpenCL C
    .language_version:
      - 2
      - 0
    .max_flat_workgroup_size: 1024
    .name:           _ZN9rocsparseL35gebsr2csr_block_per_row_1_32_kernelILi1024ELi8ELi8EfEEv20rocsparse_direction_ii21rocsparse_index_base_PKT2_PKiS7_iiS2_PS3_PiS9_
    .private_segment_fixed_size: 0
    .sgpr_count:     34
    .sgpr_spill_count: 0
    .symbol:         _ZN9rocsparseL35gebsr2csr_block_per_row_1_32_kernelILi1024ELi8ELi8EfEEv20rocsparse_direction_ii21rocsparse_index_base_PKT2_PKiS7_iiS2_PS3_PiS9_.kd
    .uniform_work_group_size: 1
    .uses_dynamic_stack: false
    .vgpr_count:     36
    .vgpr_spill_count: 0
    .wavefront_size: 64
  - .agpr_count:     0
    .args:
      - .offset:         0
        .size:           4
        .value_kind:     by_value
      - .offset:         4
        .size:           4
        .value_kind:     by_value
      - .offset:         8
        .size:           4
        .value_kind:     by_value
      - .offset:         12
        .size:           4
        .value_kind:     by_value
      - .actual_access:  read_only
        .address_space:  global
        .offset:         16
        .size:           8
        .value_kind:     global_buffer
      - .actual_access:  read_only
        .address_space:  global
        .offset:         24
        .size:           8
        .value_kind:     global_buffer
      - .actual_access:  read_only
        .address_space:  global
        .offset:         32
        .size:           8
        .value_kind:     global_buffer
      - .offset:         40
        .size:           4
        .value_kind:     by_value
      - .offset:         44
        .size:           4
        .value_kind:     by_value
      - .offset:         48
        .size:           4
        .value_kind:     by_value
      - .actual_access:  write_only
        .address_space:  global
        .offset:         56
        .size:           8
        .value_kind:     global_buffer
      - .actual_access:  write_only
        .address_space:  global
        .offset:         64
        .size:           8
        .value_kind:     global_buffer
      - .actual_access:  write_only
        .address_space:  global
        .offset:         72
        .size:           8
        .value_kind:     global_buffer
    .group_segment_fixed_size: 0
    .kernarg_segment_align: 8
    .kernarg_segment_size: 80
    .language:       OpenCL C
    .language_version:
      - 2
      - 0
    .max_flat_workgroup_size: 1024
    .name:           _ZN9rocsparseL35gebsr2csr_block_per_row_1_32_kernelILi1024ELi8ELi16EfEEv20rocsparse_direction_ii21rocsparse_index_base_PKT2_PKiS7_iiS2_PS3_PiS9_
    .private_segment_fixed_size: 0
    .sgpr_count:     34
    .sgpr_spill_count: 0
    .symbol:         _ZN9rocsparseL35gebsr2csr_block_per_row_1_32_kernelILi1024ELi8ELi16EfEEv20rocsparse_direction_ii21rocsparse_index_base_PKT2_PKiS7_iiS2_PS3_PiS9_.kd
    .uniform_work_group_size: 1
    .uses_dynamic_stack: false
    .vgpr_count:     36
    .vgpr_spill_count: 0
    .wavefront_size: 64
  - .agpr_count:     0
    .args:
      - .offset:         0
        .size:           4
        .value_kind:     by_value
      - .offset:         4
        .size:           4
        .value_kind:     by_value
      - .offset:         8
        .size:           4
        .value_kind:     by_value
      - .offset:         12
        .size:           4
        .value_kind:     by_value
      - .actual_access:  read_only
        .address_space:  global
        .offset:         16
        .size:           8
        .value_kind:     global_buffer
      - .actual_access:  read_only
        .address_space:  global
        .offset:         24
        .size:           8
        .value_kind:     global_buffer
      - .actual_access:  read_only
        .address_space:  global
        .offset:         32
        .size:           8
        .value_kind:     global_buffer
      - .offset:         40
        .size:           4
        .value_kind:     by_value
      - .offset:         44
        .size:           4
        .value_kind:     by_value
      - .offset:         48
        .size:           4
        .value_kind:     by_value
      - .actual_access:  write_only
        .address_space:  global
        .offset:         56
        .size:           8
        .value_kind:     global_buffer
      - .actual_access:  write_only
        .address_space:  global
        .offset:         64
        .size:           8
        .value_kind:     global_buffer
      - .actual_access:  write_only
        .address_space:  global
        .offset:         72
        .size:           8
        .value_kind:     global_buffer
    .group_segment_fixed_size: 0
    .kernarg_segment_align: 8
    .kernarg_segment_size: 80
    .language:       OpenCL C
    .language_version:
      - 2
      - 0
    .max_flat_workgroup_size: 1024
    .name:           _ZN9rocsparseL35gebsr2csr_block_per_row_1_32_kernelILi1024ELi8ELi32EfEEv20rocsparse_direction_ii21rocsparse_index_base_PKT2_PKiS7_iiS2_PS3_PiS9_
    .private_segment_fixed_size: 0
    .sgpr_count:     34
    .sgpr_spill_count: 0
    .symbol:         _ZN9rocsparseL35gebsr2csr_block_per_row_1_32_kernelILi1024ELi8ELi32EfEEv20rocsparse_direction_ii21rocsparse_index_base_PKT2_PKiS7_iiS2_PS3_PiS9_.kd
    .uniform_work_group_size: 1
    .uses_dynamic_stack: false
    .vgpr_count:     36
    .vgpr_spill_count: 0
    .wavefront_size: 64
  - .agpr_count:     0
    .args:
      - .offset:         0
        .size:           4
        .value_kind:     by_value
      - .offset:         4
        .size:           4
        .value_kind:     by_value
      - .offset:         8
        .size:           4
        .value_kind:     by_value
      - .offset:         12
        .size:           4
        .value_kind:     by_value
      - .actual_access:  read_only
        .address_space:  global
        .offset:         16
        .size:           8
        .value_kind:     global_buffer
      - .actual_access:  read_only
        .address_space:  global
        .offset:         24
        .size:           8
        .value_kind:     global_buffer
      - .actual_access:  read_only
        .address_space:  global
        .offset:         32
        .size:           8
        .value_kind:     global_buffer
      - .offset:         40
        .size:           4
        .value_kind:     by_value
      - .offset:         44
        .size:           4
        .value_kind:     by_value
      - .offset:         48
        .size:           4
        .value_kind:     by_value
      - .actual_access:  write_only
        .address_space:  global
        .offset:         56
        .size:           8
        .value_kind:     global_buffer
      - .actual_access:  write_only
        .address_space:  global
        .offset:         64
        .size:           8
        .value_kind:     global_buffer
      - .actual_access:  write_only
        .address_space:  global
        .offset:         72
        .size:           8
        .value_kind:     global_buffer
    .group_segment_fixed_size: 0
    .kernarg_segment_align: 8
    .kernarg_segment_size: 80
    .language:       OpenCL C
    .language_version:
      - 2
      - 0
    .max_flat_workgroup_size: 1024
    .name:           _ZN9rocsparseL37gebsr2csr_block_per_row_33_128_kernelILi1024ELi8ELi64ELi8ELi32EfEEv20rocsparse_direction_ii21rocsparse_index_base_PKT4_PKiS7_iiS2_PS3_PiS9_
    .private_segment_fixed_size: 0
    .sgpr_count:     29
    .sgpr_spill_count: 0
    .symbol:         _ZN9rocsparseL37gebsr2csr_block_per_row_33_128_kernelILi1024ELi8ELi64ELi8ELi32EfEEv20rocsparse_direction_ii21rocsparse_index_base_PKT4_PKiS7_iiS2_PS3_PiS9_.kd
    .uniform_work_group_size: 1
    .uses_dynamic_stack: false
    .vgpr_count:     13
    .vgpr_spill_count: 0
    .wavefront_size: 64
  - .agpr_count:     0
    .args:
      - .offset:         0
        .size:           4
        .value_kind:     by_value
      - .offset:         4
        .size:           4
        .value_kind:     by_value
      - .offset:         8
        .size:           4
        .value_kind:     by_value
      - .offset:         12
        .size:           4
        .value_kind:     by_value
      - .actual_access:  read_only
        .address_space:  global
        .offset:         16
        .size:           8
        .value_kind:     global_buffer
      - .actual_access:  read_only
        .address_space:  global
        .offset:         24
        .size:           8
        .value_kind:     global_buffer
      - .actual_access:  read_only
        .address_space:  global
        .offset:         32
        .size:           8
        .value_kind:     global_buffer
      - .offset:         40
        .size:           4
        .value_kind:     by_value
      - .offset:         44
        .size:           4
        .value_kind:     by_value
      - .offset:         48
        .size:           4
        .value_kind:     by_value
      - .actual_access:  write_only
        .address_space:  global
        .offset:         56
        .size:           8
        .value_kind:     global_buffer
      - .actual_access:  write_only
        .address_space:  global
        .offset:         64
        .size:           8
        .value_kind:     global_buffer
      - .actual_access:  write_only
        .address_space:  global
        .offset:         72
        .size:           8
        .value_kind:     global_buffer
    .group_segment_fixed_size: 0
    .kernarg_segment_align: 8
    .kernarg_segment_size: 80
    .language:       OpenCL C
    .language_version:
      - 2
      - 0
    .max_flat_workgroup_size: 1024
    .name:           _ZN9rocsparseL37gebsr2csr_block_per_row_33_128_kernelILi1024ELi8ELi128ELi8ELi32EfEEv20rocsparse_direction_ii21rocsparse_index_base_PKT4_PKiS7_iiS2_PS3_PiS9_
    .private_segment_fixed_size: 0
    .sgpr_count:     33
    .sgpr_spill_count: 0
    .symbol:         _ZN9rocsparseL37gebsr2csr_block_per_row_33_128_kernelILi1024ELi8ELi128ELi8ELi32EfEEv20rocsparse_direction_ii21rocsparse_index_base_PKT4_PKiS7_iiS2_PS3_PiS9_.kd
    .uniform_work_group_size: 1
    .uses_dynamic_stack: false
    .vgpr_count:     17
    .vgpr_spill_count: 0
    .wavefront_size: 64
  - .agpr_count:     0
    .args:
      - .offset:         0
        .size:           4
        .value_kind:     by_value
      - .offset:         4
        .size:           4
        .value_kind:     by_value
      - .offset:         8
        .size:           4
        .value_kind:     by_value
      - .offset:         12
        .size:           4
        .value_kind:     by_value
      - .actual_access:  read_only
        .address_space:  global
        .offset:         16
        .size:           8
        .value_kind:     global_buffer
      - .actual_access:  read_only
        .address_space:  global
        .offset:         24
        .size:           8
        .value_kind:     global_buffer
      - .actual_access:  read_only
        .address_space:  global
        .offset:         32
        .size:           8
        .value_kind:     global_buffer
      - .offset:         40
        .size:           4
        .value_kind:     by_value
      - .offset:         44
        .size:           4
        .value_kind:     by_value
      - .offset:         48
        .size:           4
        .value_kind:     by_value
      - .actual_access:  write_only
        .address_space:  global
        .offset:         56
        .size:           8
        .value_kind:     global_buffer
      - .actual_access:  write_only
        .address_space:  global
        .offset:         64
        .size:           8
        .value_kind:     global_buffer
      - .actual_access:  write_only
        .address_space:  global
        .offset:         72
        .size:           8
        .value_kind:     global_buffer
    .group_segment_fixed_size: 0
    .kernarg_segment_align: 8
    .kernarg_segment_size: 80
    .language:       OpenCL C
    .language_version:
      - 2
      - 0
    .max_flat_workgroup_size: 1024
    .name:           _ZN9rocsparseL35gebsr2csr_block_per_row_1_32_kernelILi1024ELi16ELi2EfEEv20rocsparse_direction_ii21rocsparse_index_base_PKT2_PKiS7_iiS2_PS3_PiS9_
    .private_segment_fixed_size: 0
    .sgpr_count:     34
    .sgpr_spill_count: 0
    .symbol:         _ZN9rocsparseL35gebsr2csr_block_per_row_1_32_kernelILi1024ELi16ELi2EfEEv20rocsparse_direction_ii21rocsparse_index_base_PKT2_PKiS7_iiS2_PS3_PiS9_.kd
    .uniform_work_group_size: 1
    .uses_dynamic_stack: false
    .vgpr_count:     36
    .vgpr_spill_count: 0
    .wavefront_size: 64
  - .agpr_count:     0
    .args:
      - .offset:         0
        .size:           4
        .value_kind:     by_value
      - .offset:         4
        .size:           4
        .value_kind:     by_value
      - .offset:         8
        .size:           4
        .value_kind:     by_value
      - .offset:         12
        .size:           4
        .value_kind:     by_value
      - .actual_access:  read_only
        .address_space:  global
        .offset:         16
        .size:           8
        .value_kind:     global_buffer
      - .actual_access:  read_only
        .address_space:  global
        .offset:         24
        .size:           8
        .value_kind:     global_buffer
      - .actual_access:  read_only
        .address_space:  global
        .offset:         32
        .size:           8
        .value_kind:     global_buffer
      - .offset:         40
        .size:           4
        .value_kind:     by_value
      - .offset:         44
        .size:           4
        .value_kind:     by_value
      - .offset:         48
        .size:           4
        .value_kind:     by_value
      - .actual_access:  write_only
        .address_space:  global
        .offset:         56
        .size:           8
        .value_kind:     global_buffer
      - .actual_access:  write_only
        .address_space:  global
        .offset:         64
        .size:           8
        .value_kind:     global_buffer
      - .actual_access:  write_only
        .address_space:  global
        .offset:         72
        .size:           8
        .value_kind:     global_buffer
    .group_segment_fixed_size: 0
    .kernarg_segment_align: 8
    .kernarg_segment_size: 80
    .language:       OpenCL C
    .language_version:
      - 2
      - 0
    .max_flat_workgroup_size: 1024
    .name:           _ZN9rocsparseL35gebsr2csr_block_per_row_1_32_kernelILi1024ELi16ELi4EfEEv20rocsparse_direction_ii21rocsparse_index_base_PKT2_PKiS7_iiS2_PS3_PiS9_
    .private_segment_fixed_size: 0
    .sgpr_count:     34
    .sgpr_spill_count: 0
    .symbol:         _ZN9rocsparseL35gebsr2csr_block_per_row_1_32_kernelILi1024ELi16ELi4EfEEv20rocsparse_direction_ii21rocsparse_index_base_PKT2_PKiS7_iiS2_PS3_PiS9_.kd
    .uniform_work_group_size: 1
    .uses_dynamic_stack: false
    .vgpr_count:     36
    .vgpr_spill_count: 0
    .wavefront_size: 64
  - .agpr_count:     0
    .args:
      - .offset:         0
        .size:           4
        .value_kind:     by_value
      - .offset:         4
        .size:           4
        .value_kind:     by_value
      - .offset:         8
        .size:           4
        .value_kind:     by_value
      - .offset:         12
        .size:           4
        .value_kind:     by_value
      - .actual_access:  read_only
        .address_space:  global
        .offset:         16
        .size:           8
        .value_kind:     global_buffer
      - .actual_access:  read_only
        .address_space:  global
        .offset:         24
        .size:           8
        .value_kind:     global_buffer
      - .actual_access:  read_only
        .address_space:  global
        .offset:         32
        .size:           8
        .value_kind:     global_buffer
      - .offset:         40
        .size:           4
        .value_kind:     by_value
      - .offset:         44
        .size:           4
        .value_kind:     by_value
      - .offset:         48
        .size:           4
        .value_kind:     by_value
      - .actual_access:  write_only
        .address_space:  global
        .offset:         56
        .size:           8
        .value_kind:     global_buffer
      - .actual_access:  write_only
        .address_space:  global
        .offset:         64
        .size:           8
        .value_kind:     global_buffer
      - .actual_access:  write_only
        .address_space:  global
        .offset:         72
        .size:           8
        .value_kind:     global_buffer
    .group_segment_fixed_size: 0
    .kernarg_segment_align: 8
    .kernarg_segment_size: 80
    .language:       OpenCL C
    .language_version:
      - 2
      - 0
    .max_flat_workgroup_size: 1024
    .name:           _ZN9rocsparseL35gebsr2csr_block_per_row_1_32_kernelILi1024ELi16ELi8EfEEv20rocsparse_direction_ii21rocsparse_index_base_PKT2_PKiS7_iiS2_PS3_PiS9_
    .private_segment_fixed_size: 0
    .sgpr_count:     34
    .sgpr_spill_count: 0
    .symbol:         _ZN9rocsparseL35gebsr2csr_block_per_row_1_32_kernelILi1024ELi16ELi8EfEEv20rocsparse_direction_ii21rocsparse_index_base_PKT2_PKiS7_iiS2_PS3_PiS9_.kd
    .uniform_work_group_size: 1
    .uses_dynamic_stack: false
    .vgpr_count:     36
    .vgpr_spill_count: 0
    .wavefront_size: 64
  - .agpr_count:     0
    .args:
      - .offset:         0
        .size:           4
        .value_kind:     by_value
      - .offset:         4
        .size:           4
        .value_kind:     by_value
      - .offset:         8
        .size:           4
        .value_kind:     by_value
      - .offset:         12
        .size:           4
        .value_kind:     by_value
      - .actual_access:  read_only
        .address_space:  global
        .offset:         16
        .size:           8
        .value_kind:     global_buffer
      - .actual_access:  read_only
        .address_space:  global
        .offset:         24
        .size:           8
        .value_kind:     global_buffer
      - .actual_access:  read_only
        .address_space:  global
        .offset:         32
        .size:           8
        .value_kind:     global_buffer
      - .offset:         40
        .size:           4
        .value_kind:     by_value
      - .offset:         44
        .size:           4
        .value_kind:     by_value
      - .offset:         48
        .size:           4
        .value_kind:     by_value
      - .actual_access:  write_only
        .address_space:  global
        .offset:         56
        .size:           8
        .value_kind:     global_buffer
      - .actual_access:  write_only
        .address_space:  global
        .offset:         64
        .size:           8
        .value_kind:     global_buffer
      - .actual_access:  write_only
        .address_space:  global
        .offset:         72
        .size:           8
        .value_kind:     global_buffer
    .group_segment_fixed_size: 0
    .kernarg_segment_align: 8
    .kernarg_segment_size: 80
    .language:       OpenCL C
    .language_version:
      - 2
      - 0
    .max_flat_workgroup_size: 1024
    .name:           _ZN9rocsparseL35gebsr2csr_block_per_row_1_32_kernelILi1024ELi16ELi16EfEEv20rocsparse_direction_ii21rocsparse_index_base_PKT2_PKiS7_iiS2_PS3_PiS9_
    .private_segment_fixed_size: 0
    .sgpr_count:     34
    .sgpr_spill_count: 0
    .symbol:         _ZN9rocsparseL35gebsr2csr_block_per_row_1_32_kernelILi1024ELi16ELi16EfEEv20rocsparse_direction_ii21rocsparse_index_base_PKT2_PKiS7_iiS2_PS3_PiS9_.kd
    .uniform_work_group_size: 1
    .uses_dynamic_stack: false
    .vgpr_count:     36
    .vgpr_spill_count: 0
    .wavefront_size: 64
  - .agpr_count:     0
    .args:
      - .offset:         0
        .size:           4
        .value_kind:     by_value
      - .offset:         4
        .size:           4
        .value_kind:     by_value
      - .offset:         8
        .size:           4
        .value_kind:     by_value
      - .offset:         12
        .size:           4
        .value_kind:     by_value
      - .actual_access:  read_only
        .address_space:  global
        .offset:         16
        .size:           8
        .value_kind:     global_buffer
      - .actual_access:  read_only
        .address_space:  global
        .offset:         24
        .size:           8
        .value_kind:     global_buffer
      - .actual_access:  read_only
        .address_space:  global
        .offset:         32
        .size:           8
        .value_kind:     global_buffer
      - .offset:         40
        .size:           4
        .value_kind:     by_value
      - .offset:         44
        .size:           4
        .value_kind:     by_value
      - .offset:         48
        .size:           4
        .value_kind:     by_value
      - .actual_access:  write_only
        .address_space:  global
        .offset:         56
        .size:           8
        .value_kind:     global_buffer
      - .actual_access:  write_only
        .address_space:  global
        .offset:         64
        .size:           8
        .value_kind:     global_buffer
      - .actual_access:  write_only
        .address_space:  global
        .offset:         72
        .size:           8
        .value_kind:     global_buffer
    .group_segment_fixed_size: 0
    .kernarg_segment_align: 8
    .kernarg_segment_size: 80
    .language:       OpenCL C
    .language_version:
      - 2
      - 0
    .max_flat_workgroup_size: 1024
    .name:           _ZN9rocsparseL35gebsr2csr_block_per_row_1_32_kernelILi1024ELi16ELi32EfEEv20rocsparse_direction_ii21rocsparse_index_base_PKT2_PKiS7_iiS2_PS3_PiS9_
    .private_segment_fixed_size: 0
    .sgpr_count:     34
    .sgpr_spill_count: 0
    .symbol:         _ZN9rocsparseL35gebsr2csr_block_per_row_1_32_kernelILi1024ELi16ELi32EfEEv20rocsparse_direction_ii21rocsparse_index_base_PKT2_PKiS7_iiS2_PS3_PiS9_.kd
    .uniform_work_group_size: 1
    .uses_dynamic_stack: false
    .vgpr_count:     36
    .vgpr_spill_count: 0
    .wavefront_size: 64
  - .agpr_count:     0
    .args:
      - .offset:         0
        .size:           4
        .value_kind:     by_value
      - .offset:         4
        .size:           4
        .value_kind:     by_value
      - .offset:         8
        .size:           4
        .value_kind:     by_value
      - .offset:         12
        .size:           4
        .value_kind:     by_value
      - .actual_access:  read_only
        .address_space:  global
        .offset:         16
        .size:           8
        .value_kind:     global_buffer
      - .actual_access:  read_only
        .address_space:  global
        .offset:         24
        .size:           8
        .value_kind:     global_buffer
      - .actual_access:  read_only
        .address_space:  global
        .offset:         32
        .size:           8
        .value_kind:     global_buffer
      - .offset:         40
        .size:           4
        .value_kind:     by_value
      - .offset:         44
        .size:           4
        .value_kind:     by_value
      - .offset:         48
        .size:           4
        .value_kind:     by_value
      - .actual_access:  write_only
        .address_space:  global
        .offset:         56
        .size:           8
        .value_kind:     global_buffer
      - .actual_access:  write_only
        .address_space:  global
        .offset:         64
        .size:           8
        .value_kind:     global_buffer
      - .actual_access:  write_only
        .address_space:  global
        .offset:         72
        .size:           8
        .value_kind:     global_buffer
    .group_segment_fixed_size: 0
    .kernarg_segment_align: 8
    .kernarg_segment_size: 80
    .language:       OpenCL C
    .language_version:
      - 2
      - 0
    .max_flat_workgroup_size: 1024
    .name:           _ZN9rocsparseL37gebsr2csr_block_per_row_33_128_kernelILi1024ELi16ELi64ELi16ELi32EfEEv20rocsparse_direction_ii21rocsparse_index_base_PKT4_PKiS7_iiS2_PS3_PiS9_
    .private_segment_fixed_size: 0
    .sgpr_count:     29
    .sgpr_spill_count: 0
    .symbol:         _ZN9rocsparseL37gebsr2csr_block_per_row_33_128_kernelILi1024ELi16ELi64ELi16ELi32EfEEv20rocsparse_direction_ii21rocsparse_index_base_PKT4_PKiS7_iiS2_PS3_PiS9_.kd
    .uniform_work_group_size: 1
    .uses_dynamic_stack: false
    .vgpr_count:     13
    .vgpr_spill_count: 0
    .wavefront_size: 64
  - .agpr_count:     0
    .args:
      - .offset:         0
        .size:           4
        .value_kind:     by_value
      - .offset:         4
        .size:           4
        .value_kind:     by_value
      - .offset:         8
        .size:           4
        .value_kind:     by_value
      - .offset:         12
        .size:           4
        .value_kind:     by_value
      - .actual_access:  read_only
        .address_space:  global
        .offset:         16
        .size:           8
        .value_kind:     global_buffer
      - .actual_access:  read_only
        .address_space:  global
        .offset:         24
        .size:           8
        .value_kind:     global_buffer
      - .actual_access:  read_only
        .address_space:  global
        .offset:         32
        .size:           8
        .value_kind:     global_buffer
      - .offset:         40
        .size:           4
        .value_kind:     by_value
      - .offset:         44
        .size:           4
        .value_kind:     by_value
      - .offset:         48
        .size:           4
        .value_kind:     by_value
      - .actual_access:  write_only
        .address_space:  global
        .offset:         56
        .size:           8
        .value_kind:     global_buffer
      - .actual_access:  write_only
        .address_space:  global
        .offset:         64
        .size:           8
        .value_kind:     global_buffer
      - .actual_access:  write_only
        .address_space:  global
        .offset:         72
        .size:           8
        .value_kind:     global_buffer
    .group_segment_fixed_size: 0
    .kernarg_segment_align: 8
    .kernarg_segment_size: 80
    .language:       OpenCL C
    .language_version:
      - 2
      - 0
    .max_flat_workgroup_size: 1024
    .name:           _ZN9rocsparseL37gebsr2csr_block_per_row_33_128_kernelILi1024ELi16ELi128ELi16ELi32EfEEv20rocsparse_direction_ii21rocsparse_index_base_PKT4_PKiS7_iiS2_PS3_PiS9_
    .private_segment_fixed_size: 0
    .sgpr_count:     33
    .sgpr_spill_count: 0
    .symbol:         _ZN9rocsparseL37gebsr2csr_block_per_row_33_128_kernelILi1024ELi16ELi128ELi16ELi32EfEEv20rocsparse_direction_ii21rocsparse_index_base_PKT4_PKiS7_iiS2_PS3_PiS9_.kd
    .uniform_work_group_size: 1
    .uses_dynamic_stack: false
    .vgpr_count:     17
    .vgpr_spill_count: 0
    .wavefront_size: 64
  - .agpr_count:     0
    .args:
      - .offset:         0
        .size:           4
        .value_kind:     by_value
      - .offset:         4
        .size:           4
        .value_kind:     by_value
      - .offset:         8
        .size:           4
        .value_kind:     by_value
      - .offset:         12
        .size:           4
        .value_kind:     by_value
      - .actual_access:  read_only
        .address_space:  global
        .offset:         16
        .size:           8
        .value_kind:     global_buffer
      - .actual_access:  read_only
        .address_space:  global
        .offset:         24
        .size:           8
        .value_kind:     global_buffer
      - .actual_access:  read_only
        .address_space:  global
        .offset:         32
        .size:           8
        .value_kind:     global_buffer
      - .offset:         40
        .size:           4
        .value_kind:     by_value
      - .offset:         44
        .size:           4
        .value_kind:     by_value
      - .offset:         48
        .size:           4
        .value_kind:     by_value
      - .actual_access:  write_only
        .address_space:  global
        .offset:         56
        .size:           8
        .value_kind:     global_buffer
      - .actual_access:  write_only
        .address_space:  global
        .offset:         64
        .size:           8
        .value_kind:     global_buffer
      - .actual_access:  write_only
        .address_space:  global
        .offset:         72
        .size:           8
        .value_kind:     global_buffer
    .group_segment_fixed_size: 0
    .kernarg_segment_align: 8
    .kernarg_segment_size: 80
    .language:       OpenCL C
    .language_version:
      - 2
      - 0
    .max_flat_workgroup_size: 1024
    .name:           _ZN9rocsparseL35gebsr2csr_block_per_row_1_32_kernelILi1024ELi32ELi2EfEEv20rocsparse_direction_ii21rocsparse_index_base_PKT2_PKiS7_iiS2_PS3_PiS9_
    .private_segment_fixed_size: 0
    .sgpr_count:     34
    .sgpr_spill_count: 0
    .symbol:         _ZN9rocsparseL35gebsr2csr_block_per_row_1_32_kernelILi1024ELi32ELi2EfEEv20rocsparse_direction_ii21rocsparse_index_base_PKT2_PKiS7_iiS2_PS3_PiS9_.kd
    .uniform_work_group_size: 1
    .uses_dynamic_stack: false
    .vgpr_count:     36
    .vgpr_spill_count: 0
    .wavefront_size: 64
  - .agpr_count:     0
    .args:
      - .offset:         0
        .size:           4
        .value_kind:     by_value
      - .offset:         4
        .size:           4
        .value_kind:     by_value
      - .offset:         8
        .size:           4
        .value_kind:     by_value
      - .offset:         12
        .size:           4
        .value_kind:     by_value
      - .actual_access:  read_only
        .address_space:  global
        .offset:         16
        .size:           8
        .value_kind:     global_buffer
      - .actual_access:  read_only
        .address_space:  global
        .offset:         24
        .size:           8
        .value_kind:     global_buffer
      - .actual_access:  read_only
        .address_space:  global
        .offset:         32
        .size:           8
        .value_kind:     global_buffer
      - .offset:         40
        .size:           4
        .value_kind:     by_value
      - .offset:         44
        .size:           4
        .value_kind:     by_value
      - .offset:         48
        .size:           4
        .value_kind:     by_value
      - .actual_access:  write_only
        .address_space:  global
        .offset:         56
        .size:           8
        .value_kind:     global_buffer
      - .actual_access:  write_only
        .address_space:  global
        .offset:         64
        .size:           8
        .value_kind:     global_buffer
      - .actual_access:  write_only
        .address_space:  global
        .offset:         72
        .size:           8
        .value_kind:     global_buffer
    .group_segment_fixed_size: 0
    .kernarg_segment_align: 8
    .kernarg_segment_size: 80
    .language:       OpenCL C
    .language_version:
      - 2
      - 0
    .max_flat_workgroup_size: 1024
    .name:           _ZN9rocsparseL35gebsr2csr_block_per_row_1_32_kernelILi1024ELi32ELi4EfEEv20rocsparse_direction_ii21rocsparse_index_base_PKT2_PKiS7_iiS2_PS3_PiS9_
    .private_segment_fixed_size: 0
    .sgpr_count:     34
    .sgpr_spill_count: 0
    .symbol:         _ZN9rocsparseL35gebsr2csr_block_per_row_1_32_kernelILi1024ELi32ELi4EfEEv20rocsparse_direction_ii21rocsparse_index_base_PKT2_PKiS7_iiS2_PS3_PiS9_.kd
    .uniform_work_group_size: 1
    .uses_dynamic_stack: false
    .vgpr_count:     36
    .vgpr_spill_count: 0
    .wavefront_size: 64
  - .agpr_count:     0
    .args:
      - .offset:         0
        .size:           4
        .value_kind:     by_value
      - .offset:         4
        .size:           4
        .value_kind:     by_value
      - .offset:         8
        .size:           4
        .value_kind:     by_value
      - .offset:         12
        .size:           4
        .value_kind:     by_value
      - .actual_access:  read_only
        .address_space:  global
        .offset:         16
        .size:           8
        .value_kind:     global_buffer
      - .actual_access:  read_only
        .address_space:  global
        .offset:         24
        .size:           8
        .value_kind:     global_buffer
      - .actual_access:  read_only
        .address_space:  global
        .offset:         32
        .size:           8
        .value_kind:     global_buffer
      - .offset:         40
        .size:           4
        .value_kind:     by_value
      - .offset:         44
        .size:           4
        .value_kind:     by_value
      - .offset:         48
        .size:           4
        .value_kind:     by_value
      - .actual_access:  write_only
        .address_space:  global
        .offset:         56
        .size:           8
        .value_kind:     global_buffer
      - .actual_access:  write_only
        .address_space:  global
        .offset:         64
        .size:           8
        .value_kind:     global_buffer
      - .actual_access:  write_only
        .address_space:  global
        .offset:         72
        .size:           8
        .value_kind:     global_buffer
    .group_segment_fixed_size: 0
    .kernarg_segment_align: 8
    .kernarg_segment_size: 80
    .language:       OpenCL C
    .language_version:
      - 2
      - 0
    .max_flat_workgroup_size: 1024
    .name:           _ZN9rocsparseL35gebsr2csr_block_per_row_1_32_kernelILi1024ELi32ELi8EfEEv20rocsparse_direction_ii21rocsparse_index_base_PKT2_PKiS7_iiS2_PS3_PiS9_
    .private_segment_fixed_size: 0
    .sgpr_count:     34
    .sgpr_spill_count: 0
    .symbol:         _ZN9rocsparseL35gebsr2csr_block_per_row_1_32_kernelILi1024ELi32ELi8EfEEv20rocsparse_direction_ii21rocsparse_index_base_PKT2_PKiS7_iiS2_PS3_PiS9_.kd
    .uniform_work_group_size: 1
    .uses_dynamic_stack: false
    .vgpr_count:     36
    .vgpr_spill_count: 0
    .wavefront_size: 64
  - .agpr_count:     0
    .args:
      - .offset:         0
        .size:           4
        .value_kind:     by_value
      - .offset:         4
        .size:           4
        .value_kind:     by_value
      - .offset:         8
        .size:           4
        .value_kind:     by_value
      - .offset:         12
        .size:           4
        .value_kind:     by_value
      - .actual_access:  read_only
        .address_space:  global
        .offset:         16
        .size:           8
        .value_kind:     global_buffer
      - .actual_access:  read_only
        .address_space:  global
        .offset:         24
        .size:           8
        .value_kind:     global_buffer
      - .actual_access:  read_only
        .address_space:  global
        .offset:         32
        .size:           8
        .value_kind:     global_buffer
      - .offset:         40
        .size:           4
        .value_kind:     by_value
      - .offset:         44
        .size:           4
        .value_kind:     by_value
      - .offset:         48
        .size:           4
        .value_kind:     by_value
      - .actual_access:  write_only
        .address_space:  global
        .offset:         56
        .size:           8
        .value_kind:     global_buffer
      - .actual_access:  write_only
        .address_space:  global
        .offset:         64
        .size:           8
        .value_kind:     global_buffer
      - .actual_access:  write_only
        .address_space:  global
        .offset:         72
        .size:           8
        .value_kind:     global_buffer
    .group_segment_fixed_size: 0
    .kernarg_segment_align: 8
    .kernarg_segment_size: 80
    .language:       OpenCL C
    .language_version:
      - 2
      - 0
    .max_flat_workgroup_size: 1024
    .name:           _ZN9rocsparseL35gebsr2csr_block_per_row_1_32_kernelILi1024ELi32ELi16EfEEv20rocsparse_direction_ii21rocsparse_index_base_PKT2_PKiS7_iiS2_PS3_PiS9_
    .private_segment_fixed_size: 0
    .sgpr_count:     34
    .sgpr_spill_count: 0
    .symbol:         _ZN9rocsparseL35gebsr2csr_block_per_row_1_32_kernelILi1024ELi32ELi16EfEEv20rocsparse_direction_ii21rocsparse_index_base_PKT2_PKiS7_iiS2_PS3_PiS9_.kd
    .uniform_work_group_size: 1
    .uses_dynamic_stack: false
    .vgpr_count:     36
    .vgpr_spill_count: 0
    .wavefront_size: 64
  - .agpr_count:     0
    .args:
      - .offset:         0
        .size:           4
        .value_kind:     by_value
      - .offset:         4
        .size:           4
        .value_kind:     by_value
      - .offset:         8
        .size:           4
        .value_kind:     by_value
      - .offset:         12
        .size:           4
        .value_kind:     by_value
      - .actual_access:  read_only
        .address_space:  global
        .offset:         16
        .size:           8
        .value_kind:     global_buffer
      - .actual_access:  read_only
        .address_space:  global
        .offset:         24
        .size:           8
        .value_kind:     global_buffer
      - .actual_access:  read_only
        .address_space:  global
        .offset:         32
        .size:           8
        .value_kind:     global_buffer
      - .offset:         40
        .size:           4
        .value_kind:     by_value
      - .offset:         44
        .size:           4
        .value_kind:     by_value
      - .offset:         48
        .size:           4
        .value_kind:     by_value
      - .actual_access:  write_only
        .address_space:  global
        .offset:         56
        .size:           8
        .value_kind:     global_buffer
      - .actual_access:  write_only
        .address_space:  global
        .offset:         64
        .size:           8
        .value_kind:     global_buffer
      - .actual_access:  write_only
        .address_space:  global
        .offset:         72
        .size:           8
        .value_kind:     global_buffer
    .group_segment_fixed_size: 0
    .kernarg_segment_align: 8
    .kernarg_segment_size: 80
    .language:       OpenCL C
    .language_version:
      - 2
      - 0
    .max_flat_workgroup_size: 1024
    .name:           _ZN9rocsparseL35gebsr2csr_block_per_row_1_32_kernelILi1024ELi32ELi32EfEEv20rocsparse_direction_ii21rocsparse_index_base_PKT2_PKiS7_iiS2_PS3_PiS9_
    .private_segment_fixed_size: 0
    .sgpr_count:     36
    .sgpr_spill_count: 0
    .symbol:         _ZN9rocsparseL35gebsr2csr_block_per_row_1_32_kernelILi1024ELi32ELi32EfEEv20rocsparse_direction_ii21rocsparse_index_base_PKT2_PKiS7_iiS2_PS3_PiS9_.kd
    .uniform_work_group_size: 1
    .uses_dynamic_stack: false
    .vgpr_count:     22
    .vgpr_spill_count: 0
    .wavefront_size: 64
  - .agpr_count:     0
    .args:
      - .offset:         0
        .size:           4
        .value_kind:     by_value
      - .offset:         4
        .size:           4
        .value_kind:     by_value
      - .offset:         8
        .size:           4
        .value_kind:     by_value
      - .offset:         12
        .size:           4
        .value_kind:     by_value
      - .actual_access:  read_only
        .address_space:  global
        .offset:         16
        .size:           8
        .value_kind:     global_buffer
      - .actual_access:  read_only
        .address_space:  global
        .offset:         24
        .size:           8
        .value_kind:     global_buffer
      - .actual_access:  read_only
        .address_space:  global
        .offset:         32
        .size:           8
        .value_kind:     global_buffer
      - .offset:         40
        .size:           4
        .value_kind:     by_value
      - .offset:         44
        .size:           4
        .value_kind:     by_value
      - .offset:         48
        .size:           4
        .value_kind:     by_value
      - .actual_access:  write_only
        .address_space:  global
        .offset:         56
        .size:           8
        .value_kind:     global_buffer
      - .actual_access:  write_only
        .address_space:  global
        .offset:         64
        .size:           8
        .value_kind:     global_buffer
      - .actual_access:  write_only
        .address_space:  global
        .offset:         72
        .size:           8
        .value_kind:     global_buffer
    .group_segment_fixed_size: 0
    .kernarg_segment_align: 8
    .kernarg_segment_size: 80
    .language:       OpenCL C
    .language_version:
      - 2
      - 0
    .max_flat_workgroup_size: 1024
    .name:           _ZN9rocsparseL37gebsr2csr_block_per_row_33_128_kernelILi1024ELi32ELi64ELi32ELi32EfEEv20rocsparse_direction_ii21rocsparse_index_base_PKT4_PKiS7_iiS2_PS3_PiS9_
    .private_segment_fixed_size: 0
    .sgpr_count:     29
    .sgpr_spill_count: 0
    .symbol:         _ZN9rocsparseL37gebsr2csr_block_per_row_33_128_kernelILi1024ELi32ELi64ELi32ELi32EfEEv20rocsparse_direction_ii21rocsparse_index_base_PKT4_PKiS7_iiS2_PS3_PiS9_.kd
    .uniform_work_group_size: 1
    .uses_dynamic_stack: false
    .vgpr_count:     13
    .vgpr_spill_count: 0
    .wavefront_size: 64
  - .agpr_count:     0
    .args:
      - .offset:         0
        .size:           4
        .value_kind:     by_value
      - .offset:         4
        .size:           4
        .value_kind:     by_value
      - .offset:         8
        .size:           4
        .value_kind:     by_value
      - .offset:         12
        .size:           4
        .value_kind:     by_value
      - .actual_access:  read_only
        .address_space:  global
        .offset:         16
        .size:           8
        .value_kind:     global_buffer
      - .actual_access:  read_only
        .address_space:  global
        .offset:         24
        .size:           8
        .value_kind:     global_buffer
      - .actual_access:  read_only
        .address_space:  global
        .offset:         32
        .size:           8
        .value_kind:     global_buffer
      - .offset:         40
        .size:           4
        .value_kind:     by_value
      - .offset:         44
        .size:           4
        .value_kind:     by_value
      - .offset:         48
        .size:           4
        .value_kind:     by_value
      - .actual_access:  write_only
        .address_space:  global
        .offset:         56
        .size:           8
        .value_kind:     global_buffer
      - .actual_access:  write_only
        .address_space:  global
        .offset:         64
        .size:           8
        .value_kind:     global_buffer
      - .actual_access:  write_only
        .address_space:  global
        .offset:         72
        .size:           8
        .value_kind:     global_buffer
    .group_segment_fixed_size: 0
    .kernarg_segment_align: 8
    .kernarg_segment_size: 80
    .language:       OpenCL C
    .language_version:
      - 2
      - 0
    .max_flat_workgroup_size: 1024
    .name:           _ZN9rocsparseL37gebsr2csr_block_per_row_33_128_kernelILi1024ELi32ELi128ELi32ELi32EfEEv20rocsparse_direction_ii21rocsparse_index_base_PKT4_PKiS7_iiS2_PS3_PiS9_
    .private_segment_fixed_size: 0
    .sgpr_count:     33
    .sgpr_spill_count: 0
    .symbol:         _ZN9rocsparseL37gebsr2csr_block_per_row_33_128_kernelILi1024ELi32ELi128ELi32ELi32EfEEv20rocsparse_direction_ii21rocsparse_index_base_PKT4_PKiS7_iiS2_PS3_PiS9_.kd
    .uniform_work_group_size: 1
    .uses_dynamic_stack: false
    .vgpr_count:     17
    .vgpr_spill_count: 0
    .wavefront_size: 64
  - .agpr_count:     0
    .args:
      - .offset:         0
        .size:           4
        .value_kind:     by_value
      - .offset:         4
        .size:           4
        .value_kind:     by_value
      - .offset:         8
        .size:           4
        .value_kind:     by_value
      - .offset:         12
        .size:           4
        .value_kind:     by_value
      - .actual_access:  read_only
        .address_space:  global
        .offset:         16
        .size:           8
        .value_kind:     global_buffer
      - .actual_access:  read_only
        .address_space:  global
        .offset:         24
        .size:           8
        .value_kind:     global_buffer
      - .actual_access:  read_only
        .address_space:  global
        .offset:         32
        .size:           8
        .value_kind:     global_buffer
      - .offset:         40
        .size:           4
        .value_kind:     by_value
      - .offset:         44
        .size:           4
        .value_kind:     by_value
      - .offset:         48
        .size:           4
        .value_kind:     by_value
      - .actual_access:  write_only
        .address_space:  global
        .offset:         56
        .size:           8
        .value_kind:     global_buffer
      - .actual_access:  write_only
        .address_space:  global
        .offset:         64
        .size:           8
        .value_kind:     global_buffer
      - .actual_access:  write_only
        .address_space:  global
        .offset:         72
        .size:           8
        .value_kind:     global_buffer
    .group_segment_fixed_size: 0
    .kernarg_segment_align: 8
    .kernarg_segment_size: 80
    .language:       OpenCL C
    .language_version:
      - 2
      - 0
    .max_flat_workgroup_size: 1024
    .name:           _ZN9rocsparseL37gebsr2csr_block_per_row_33_128_kernelILi1024ELi64ELi2ELi32ELi2EfEEv20rocsparse_direction_ii21rocsparse_index_base_PKT4_PKiS7_iiS2_PS3_PiS9_
    .private_segment_fixed_size: 0
    .sgpr_count:     33
    .sgpr_spill_count: 0
    .symbol:         _ZN9rocsparseL37gebsr2csr_block_per_row_33_128_kernelILi1024ELi64ELi2ELi32ELi2EfEEv20rocsparse_direction_ii21rocsparse_index_base_PKT4_PKiS7_iiS2_PS3_PiS9_.kd
    .uniform_work_group_size: 1
    .uses_dynamic_stack: false
    .vgpr_count:     13
    .vgpr_spill_count: 0
    .wavefront_size: 64
  - .agpr_count:     0
    .args:
      - .offset:         0
        .size:           4
        .value_kind:     by_value
      - .offset:         4
        .size:           4
        .value_kind:     by_value
      - .offset:         8
        .size:           4
        .value_kind:     by_value
      - .offset:         12
        .size:           4
        .value_kind:     by_value
      - .actual_access:  read_only
        .address_space:  global
        .offset:         16
        .size:           8
        .value_kind:     global_buffer
      - .actual_access:  read_only
        .address_space:  global
        .offset:         24
        .size:           8
        .value_kind:     global_buffer
      - .actual_access:  read_only
        .address_space:  global
        .offset:         32
        .size:           8
        .value_kind:     global_buffer
      - .offset:         40
        .size:           4
        .value_kind:     by_value
      - .offset:         44
        .size:           4
        .value_kind:     by_value
      - .offset:         48
        .size:           4
        .value_kind:     by_value
      - .actual_access:  write_only
        .address_space:  global
        .offset:         56
        .size:           8
        .value_kind:     global_buffer
      - .actual_access:  write_only
        .address_space:  global
        .offset:         64
        .size:           8
        .value_kind:     global_buffer
      - .actual_access:  write_only
        .address_space:  global
        .offset:         72
        .size:           8
        .value_kind:     global_buffer
    .group_segment_fixed_size: 0
    .kernarg_segment_align: 8
    .kernarg_segment_size: 80
    .language:       OpenCL C
    .language_version:
      - 2
      - 0
    .max_flat_workgroup_size: 1024
    .name:           _ZN9rocsparseL37gebsr2csr_block_per_row_33_128_kernelILi1024ELi64ELi4ELi32ELi4EfEEv20rocsparse_direction_ii21rocsparse_index_base_PKT4_PKiS7_iiS2_PS3_PiS9_
    .private_segment_fixed_size: 0
    .sgpr_count:     33
    .sgpr_spill_count: 0
    .symbol:         _ZN9rocsparseL37gebsr2csr_block_per_row_33_128_kernelILi1024ELi64ELi4ELi32ELi4EfEEv20rocsparse_direction_ii21rocsparse_index_base_PKT4_PKiS7_iiS2_PS3_PiS9_.kd
    .uniform_work_group_size: 1
    .uses_dynamic_stack: false
    .vgpr_count:     13
    .vgpr_spill_count: 0
    .wavefront_size: 64
  - .agpr_count:     0
    .args:
      - .offset:         0
        .size:           4
        .value_kind:     by_value
      - .offset:         4
        .size:           4
        .value_kind:     by_value
      - .offset:         8
        .size:           4
        .value_kind:     by_value
      - .offset:         12
        .size:           4
        .value_kind:     by_value
      - .actual_access:  read_only
        .address_space:  global
        .offset:         16
        .size:           8
        .value_kind:     global_buffer
      - .actual_access:  read_only
        .address_space:  global
        .offset:         24
        .size:           8
        .value_kind:     global_buffer
      - .actual_access:  read_only
        .address_space:  global
        .offset:         32
        .size:           8
        .value_kind:     global_buffer
      - .offset:         40
        .size:           4
        .value_kind:     by_value
      - .offset:         44
        .size:           4
        .value_kind:     by_value
      - .offset:         48
        .size:           4
        .value_kind:     by_value
      - .actual_access:  write_only
        .address_space:  global
        .offset:         56
        .size:           8
        .value_kind:     global_buffer
      - .actual_access:  write_only
        .address_space:  global
        .offset:         64
        .size:           8
        .value_kind:     global_buffer
      - .actual_access:  write_only
        .address_space:  global
        .offset:         72
        .size:           8
        .value_kind:     global_buffer
    .group_segment_fixed_size: 0
    .kernarg_segment_align: 8
    .kernarg_segment_size: 80
    .language:       OpenCL C
    .language_version:
      - 2
      - 0
    .max_flat_workgroup_size: 1024
    .name:           _ZN9rocsparseL37gebsr2csr_block_per_row_33_128_kernelILi1024ELi64ELi8ELi32ELi8EfEEv20rocsparse_direction_ii21rocsparse_index_base_PKT4_PKiS7_iiS2_PS3_PiS9_
    .private_segment_fixed_size: 0
    .sgpr_count:     33
    .sgpr_spill_count: 0
    .symbol:         _ZN9rocsparseL37gebsr2csr_block_per_row_33_128_kernelILi1024ELi64ELi8ELi32ELi8EfEEv20rocsparse_direction_ii21rocsparse_index_base_PKT4_PKiS7_iiS2_PS3_PiS9_.kd
    .uniform_work_group_size: 1
    .uses_dynamic_stack: false
    .vgpr_count:     13
    .vgpr_spill_count: 0
    .wavefront_size: 64
  - .agpr_count:     0
    .args:
      - .offset:         0
        .size:           4
        .value_kind:     by_value
      - .offset:         4
        .size:           4
        .value_kind:     by_value
      - .offset:         8
        .size:           4
        .value_kind:     by_value
      - .offset:         12
        .size:           4
        .value_kind:     by_value
      - .actual_access:  read_only
        .address_space:  global
        .offset:         16
        .size:           8
        .value_kind:     global_buffer
      - .actual_access:  read_only
        .address_space:  global
        .offset:         24
        .size:           8
        .value_kind:     global_buffer
      - .actual_access:  read_only
        .address_space:  global
        .offset:         32
        .size:           8
        .value_kind:     global_buffer
      - .offset:         40
        .size:           4
        .value_kind:     by_value
      - .offset:         44
        .size:           4
        .value_kind:     by_value
      - .offset:         48
        .size:           4
        .value_kind:     by_value
      - .actual_access:  write_only
        .address_space:  global
        .offset:         56
        .size:           8
        .value_kind:     global_buffer
      - .actual_access:  write_only
        .address_space:  global
        .offset:         64
        .size:           8
        .value_kind:     global_buffer
      - .actual_access:  write_only
        .address_space:  global
        .offset:         72
        .size:           8
        .value_kind:     global_buffer
    .group_segment_fixed_size: 0
    .kernarg_segment_align: 8
    .kernarg_segment_size: 80
    .language:       OpenCL C
    .language_version:
      - 2
      - 0
    .max_flat_workgroup_size: 1024
    .name:           _ZN9rocsparseL37gebsr2csr_block_per_row_33_128_kernelILi1024ELi64ELi16ELi32ELi16EfEEv20rocsparse_direction_ii21rocsparse_index_base_PKT4_PKiS7_iiS2_PS3_PiS9_
    .private_segment_fixed_size: 0
    .sgpr_count:     33
    .sgpr_spill_count: 0
    .symbol:         _ZN9rocsparseL37gebsr2csr_block_per_row_33_128_kernelILi1024ELi64ELi16ELi32ELi16EfEEv20rocsparse_direction_ii21rocsparse_index_base_PKT4_PKiS7_iiS2_PS3_PiS9_.kd
    .uniform_work_group_size: 1
    .uses_dynamic_stack: false
    .vgpr_count:     13
    .vgpr_spill_count: 0
    .wavefront_size: 64
  - .agpr_count:     0
    .args:
      - .offset:         0
        .size:           4
        .value_kind:     by_value
      - .offset:         4
        .size:           4
        .value_kind:     by_value
      - .offset:         8
        .size:           4
        .value_kind:     by_value
      - .offset:         12
        .size:           4
        .value_kind:     by_value
      - .actual_access:  read_only
        .address_space:  global
        .offset:         16
        .size:           8
        .value_kind:     global_buffer
      - .actual_access:  read_only
        .address_space:  global
        .offset:         24
        .size:           8
        .value_kind:     global_buffer
      - .actual_access:  read_only
        .address_space:  global
        .offset:         32
        .size:           8
        .value_kind:     global_buffer
      - .offset:         40
        .size:           4
        .value_kind:     by_value
      - .offset:         44
        .size:           4
        .value_kind:     by_value
      - .offset:         48
        .size:           4
        .value_kind:     by_value
      - .actual_access:  write_only
        .address_space:  global
        .offset:         56
        .size:           8
        .value_kind:     global_buffer
      - .actual_access:  write_only
        .address_space:  global
        .offset:         64
        .size:           8
        .value_kind:     global_buffer
      - .actual_access:  write_only
        .address_space:  global
        .offset:         72
        .size:           8
        .value_kind:     global_buffer
    .group_segment_fixed_size: 0
    .kernarg_segment_align: 8
    .kernarg_segment_size: 80
    .language:       OpenCL C
    .language_version:
      - 2
      - 0
    .max_flat_workgroup_size: 1024
    .name:           _ZN9rocsparseL37gebsr2csr_block_per_row_33_128_kernelILi1024ELi64ELi32ELi32ELi32EfEEv20rocsparse_direction_ii21rocsparse_index_base_PKT4_PKiS7_iiS2_PS3_PiS9_
    .private_segment_fixed_size: 0
    .sgpr_count:     33
    .sgpr_spill_count: 0
    .symbol:         _ZN9rocsparseL37gebsr2csr_block_per_row_33_128_kernelILi1024ELi64ELi32ELi32ELi32EfEEv20rocsparse_direction_ii21rocsparse_index_base_PKT4_PKiS7_iiS2_PS3_PiS9_.kd
    .uniform_work_group_size: 1
    .uses_dynamic_stack: false
    .vgpr_count:     13
    .vgpr_spill_count: 0
    .wavefront_size: 64
  - .agpr_count:     0
    .args:
      - .offset:         0
        .size:           4
        .value_kind:     by_value
      - .offset:         4
        .size:           4
        .value_kind:     by_value
      - .offset:         8
        .size:           4
        .value_kind:     by_value
      - .offset:         12
        .size:           4
        .value_kind:     by_value
      - .actual_access:  read_only
        .address_space:  global
        .offset:         16
        .size:           8
        .value_kind:     global_buffer
      - .actual_access:  read_only
        .address_space:  global
        .offset:         24
        .size:           8
        .value_kind:     global_buffer
      - .actual_access:  read_only
        .address_space:  global
        .offset:         32
        .size:           8
        .value_kind:     global_buffer
      - .offset:         40
        .size:           4
        .value_kind:     by_value
      - .offset:         44
        .size:           4
        .value_kind:     by_value
      - .offset:         48
        .size:           4
        .value_kind:     by_value
      - .actual_access:  write_only
        .address_space:  global
        .offset:         56
        .size:           8
        .value_kind:     global_buffer
      - .actual_access:  write_only
        .address_space:  global
        .offset:         64
        .size:           8
        .value_kind:     global_buffer
      - .actual_access:  write_only
        .address_space:  global
        .offset:         72
        .size:           8
        .value_kind:     global_buffer
    .group_segment_fixed_size: 0
    .kernarg_segment_align: 8
    .kernarg_segment_size: 80
    .language:       OpenCL C
    .language_version:
      - 2
      - 0
    .max_flat_workgroup_size: 1024
    .name:           _ZN9rocsparseL37gebsr2csr_block_per_row_33_128_kernelILi1024ELi64ELi64ELi32ELi32EfEEv20rocsparse_direction_ii21rocsparse_index_base_PKT4_PKiS7_iiS2_PS3_PiS9_
    .private_segment_fixed_size: 0
    .sgpr_count:     34
    .sgpr_spill_count: 0
    .symbol:         _ZN9rocsparseL37gebsr2csr_block_per_row_33_128_kernelILi1024ELi64ELi64ELi32ELi32EfEEv20rocsparse_direction_ii21rocsparse_index_base_PKT4_PKiS7_iiS2_PS3_PiS9_.kd
    .uniform_work_group_size: 1
    .uses_dynamic_stack: false
    .vgpr_count:     18
    .vgpr_spill_count: 0
    .wavefront_size: 64
  - .agpr_count:     0
    .args:
      - .offset:         0
        .size:           4
        .value_kind:     by_value
      - .offset:         4
        .size:           4
        .value_kind:     by_value
      - .offset:         8
        .size:           4
        .value_kind:     by_value
      - .offset:         12
        .size:           4
        .value_kind:     by_value
      - .actual_access:  read_only
        .address_space:  global
        .offset:         16
        .size:           8
        .value_kind:     global_buffer
      - .actual_access:  read_only
        .address_space:  global
        .offset:         24
        .size:           8
        .value_kind:     global_buffer
      - .actual_access:  read_only
        .address_space:  global
        .offset:         32
        .size:           8
        .value_kind:     global_buffer
      - .offset:         40
        .size:           4
        .value_kind:     by_value
      - .offset:         44
        .size:           4
        .value_kind:     by_value
      - .offset:         48
        .size:           4
        .value_kind:     by_value
      - .actual_access:  write_only
        .address_space:  global
        .offset:         56
        .size:           8
        .value_kind:     global_buffer
      - .actual_access:  write_only
        .address_space:  global
        .offset:         64
        .size:           8
        .value_kind:     global_buffer
      - .actual_access:  write_only
        .address_space:  global
        .offset:         72
        .size:           8
        .value_kind:     global_buffer
    .group_segment_fixed_size: 0
    .kernarg_segment_align: 8
    .kernarg_segment_size: 80
    .language:       OpenCL C
    .language_version:
      - 2
      - 0
    .max_flat_workgroup_size: 1024
    .name:           _ZN9rocsparseL37gebsr2csr_block_per_row_33_128_kernelILi1024ELi64ELi128ELi32ELi32EfEEv20rocsparse_direction_ii21rocsparse_index_base_PKT4_PKiS7_iiS2_PS3_PiS9_
    .private_segment_fixed_size: 0
    .sgpr_count:     46
    .sgpr_spill_count: 0
    .symbol:         _ZN9rocsparseL37gebsr2csr_block_per_row_33_128_kernelILi1024ELi64ELi128ELi32ELi32EfEEv20rocsparse_direction_ii21rocsparse_index_base_PKT4_PKiS7_iiS2_PS3_PiS9_.kd
    .uniform_work_group_size: 1
    .uses_dynamic_stack: false
    .vgpr_count:     23
    .vgpr_spill_count: 0
    .wavefront_size: 64
  - .agpr_count:     0
    .args:
      - .offset:         0
        .size:           4
        .value_kind:     by_value
      - .offset:         4
        .size:           4
        .value_kind:     by_value
      - .offset:         8
        .size:           4
        .value_kind:     by_value
      - .offset:         12
        .size:           4
        .value_kind:     by_value
      - .actual_access:  read_only
        .address_space:  global
        .offset:         16
        .size:           8
        .value_kind:     global_buffer
      - .actual_access:  read_only
        .address_space:  global
        .offset:         24
        .size:           8
        .value_kind:     global_buffer
      - .actual_access:  read_only
        .address_space:  global
        .offset:         32
        .size:           8
        .value_kind:     global_buffer
      - .offset:         40
        .size:           4
        .value_kind:     by_value
      - .offset:         44
        .size:           4
        .value_kind:     by_value
      - .offset:         48
        .size:           4
        .value_kind:     by_value
      - .actual_access:  write_only
        .address_space:  global
        .offset:         56
        .size:           8
        .value_kind:     global_buffer
      - .actual_access:  write_only
        .address_space:  global
        .offset:         64
        .size:           8
        .value_kind:     global_buffer
      - .actual_access:  write_only
        .address_space:  global
        .offset:         72
        .size:           8
        .value_kind:     global_buffer
    .group_segment_fixed_size: 0
    .kernarg_segment_align: 8
    .kernarg_segment_size: 80
    .language:       OpenCL C
    .language_version:
      - 2
      - 0
    .max_flat_workgroup_size: 1024
    .name:           _ZN9rocsparseL37gebsr2csr_block_per_row_33_128_kernelILi1024ELi128ELi2ELi32ELi2EfEEv20rocsparse_direction_ii21rocsparse_index_base_PKT4_PKiS7_iiS2_PS3_PiS9_
    .private_segment_fixed_size: 0
    .sgpr_count:     34
    .sgpr_spill_count: 0
    .symbol:         _ZN9rocsparseL37gebsr2csr_block_per_row_33_128_kernelILi1024ELi128ELi2ELi32ELi2EfEEv20rocsparse_direction_ii21rocsparse_index_base_PKT4_PKiS7_iiS2_PS3_PiS9_.kd
    .uniform_work_group_size: 1
    .uses_dynamic_stack: false
    .vgpr_count:     17
    .vgpr_spill_count: 0
    .wavefront_size: 64
  - .agpr_count:     0
    .args:
      - .offset:         0
        .size:           4
        .value_kind:     by_value
      - .offset:         4
        .size:           4
        .value_kind:     by_value
      - .offset:         8
        .size:           4
        .value_kind:     by_value
      - .offset:         12
        .size:           4
        .value_kind:     by_value
      - .actual_access:  read_only
        .address_space:  global
        .offset:         16
        .size:           8
        .value_kind:     global_buffer
      - .actual_access:  read_only
        .address_space:  global
        .offset:         24
        .size:           8
        .value_kind:     global_buffer
      - .actual_access:  read_only
        .address_space:  global
        .offset:         32
        .size:           8
        .value_kind:     global_buffer
      - .offset:         40
        .size:           4
        .value_kind:     by_value
      - .offset:         44
        .size:           4
        .value_kind:     by_value
      - .offset:         48
        .size:           4
        .value_kind:     by_value
      - .actual_access:  write_only
        .address_space:  global
        .offset:         56
        .size:           8
        .value_kind:     global_buffer
      - .actual_access:  write_only
        .address_space:  global
        .offset:         64
        .size:           8
        .value_kind:     global_buffer
      - .actual_access:  write_only
        .address_space:  global
        .offset:         72
        .size:           8
        .value_kind:     global_buffer
    .group_segment_fixed_size: 0
    .kernarg_segment_align: 8
    .kernarg_segment_size: 80
    .language:       OpenCL C
    .language_version:
      - 2
      - 0
    .max_flat_workgroup_size: 1024
    .name:           _ZN9rocsparseL37gebsr2csr_block_per_row_33_128_kernelILi1024ELi128ELi4ELi32ELi4EfEEv20rocsparse_direction_ii21rocsparse_index_base_PKT4_PKiS7_iiS2_PS3_PiS9_
    .private_segment_fixed_size: 0
    .sgpr_count:     34
    .sgpr_spill_count: 0
    .symbol:         _ZN9rocsparseL37gebsr2csr_block_per_row_33_128_kernelILi1024ELi128ELi4ELi32ELi4EfEEv20rocsparse_direction_ii21rocsparse_index_base_PKT4_PKiS7_iiS2_PS3_PiS9_.kd
    .uniform_work_group_size: 1
    .uses_dynamic_stack: false
    .vgpr_count:     17
    .vgpr_spill_count: 0
    .wavefront_size: 64
  - .agpr_count:     0
    .args:
      - .offset:         0
        .size:           4
        .value_kind:     by_value
      - .offset:         4
        .size:           4
        .value_kind:     by_value
      - .offset:         8
        .size:           4
        .value_kind:     by_value
      - .offset:         12
        .size:           4
        .value_kind:     by_value
      - .actual_access:  read_only
        .address_space:  global
        .offset:         16
        .size:           8
        .value_kind:     global_buffer
      - .actual_access:  read_only
        .address_space:  global
        .offset:         24
        .size:           8
        .value_kind:     global_buffer
      - .actual_access:  read_only
        .address_space:  global
        .offset:         32
        .size:           8
        .value_kind:     global_buffer
      - .offset:         40
        .size:           4
        .value_kind:     by_value
      - .offset:         44
        .size:           4
        .value_kind:     by_value
      - .offset:         48
        .size:           4
        .value_kind:     by_value
      - .actual_access:  write_only
        .address_space:  global
        .offset:         56
        .size:           8
        .value_kind:     global_buffer
      - .actual_access:  write_only
        .address_space:  global
        .offset:         64
        .size:           8
        .value_kind:     global_buffer
      - .actual_access:  write_only
        .address_space:  global
        .offset:         72
        .size:           8
        .value_kind:     global_buffer
    .group_segment_fixed_size: 0
    .kernarg_segment_align: 8
    .kernarg_segment_size: 80
    .language:       OpenCL C
    .language_version:
      - 2
      - 0
    .max_flat_workgroup_size: 1024
    .name:           _ZN9rocsparseL37gebsr2csr_block_per_row_33_128_kernelILi1024ELi128ELi8ELi32ELi8EfEEv20rocsparse_direction_ii21rocsparse_index_base_PKT4_PKiS7_iiS2_PS3_PiS9_
    .private_segment_fixed_size: 0
    .sgpr_count:     34
    .sgpr_spill_count: 0
    .symbol:         _ZN9rocsparseL37gebsr2csr_block_per_row_33_128_kernelILi1024ELi128ELi8ELi32ELi8EfEEv20rocsparse_direction_ii21rocsparse_index_base_PKT4_PKiS7_iiS2_PS3_PiS9_.kd
    .uniform_work_group_size: 1
    .uses_dynamic_stack: false
    .vgpr_count:     17
    .vgpr_spill_count: 0
    .wavefront_size: 64
  - .agpr_count:     0
    .args:
      - .offset:         0
        .size:           4
        .value_kind:     by_value
      - .offset:         4
        .size:           4
        .value_kind:     by_value
      - .offset:         8
        .size:           4
        .value_kind:     by_value
      - .offset:         12
        .size:           4
        .value_kind:     by_value
      - .actual_access:  read_only
        .address_space:  global
        .offset:         16
        .size:           8
        .value_kind:     global_buffer
      - .actual_access:  read_only
        .address_space:  global
        .offset:         24
        .size:           8
        .value_kind:     global_buffer
      - .actual_access:  read_only
        .address_space:  global
        .offset:         32
        .size:           8
        .value_kind:     global_buffer
      - .offset:         40
        .size:           4
        .value_kind:     by_value
      - .offset:         44
        .size:           4
        .value_kind:     by_value
      - .offset:         48
        .size:           4
        .value_kind:     by_value
      - .actual_access:  write_only
        .address_space:  global
        .offset:         56
        .size:           8
        .value_kind:     global_buffer
      - .actual_access:  write_only
        .address_space:  global
        .offset:         64
        .size:           8
        .value_kind:     global_buffer
      - .actual_access:  write_only
        .address_space:  global
        .offset:         72
        .size:           8
        .value_kind:     global_buffer
    .group_segment_fixed_size: 0
    .kernarg_segment_align: 8
    .kernarg_segment_size: 80
    .language:       OpenCL C
    .language_version:
      - 2
      - 0
    .max_flat_workgroup_size: 1024
    .name:           _ZN9rocsparseL37gebsr2csr_block_per_row_33_128_kernelILi1024ELi128ELi16ELi32ELi16EfEEv20rocsparse_direction_ii21rocsparse_index_base_PKT4_PKiS7_iiS2_PS3_PiS9_
    .private_segment_fixed_size: 0
    .sgpr_count:     34
    .sgpr_spill_count: 0
    .symbol:         _ZN9rocsparseL37gebsr2csr_block_per_row_33_128_kernelILi1024ELi128ELi16ELi32ELi16EfEEv20rocsparse_direction_ii21rocsparse_index_base_PKT4_PKiS7_iiS2_PS3_PiS9_.kd
    .uniform_work_group_size: 1
    .uses_dynamic_stack: false
    .vgpr_count:     17
    .vgpr_spill_count: 0
    .wavefront_size: 64
  - .agpr_count:     0
    .args:
      - .offset:         0
        .size:           4
        .value_kind:     by_value
      - .offset:         4
        .size:           4
        .value_kind:     by_value
      - .offset:         8
        .size:           4
        .value_kind:     by_value
      - .offset:         12
        .size:           4
        .value_kind:     by_value
      - .actual_access:  read_only
        .address_space:  global
        .offset:         16
        .size:           8
        .value_kind:     global_buffer
      - .actual_access:  read_only
        .address_space:  global
        .offset:         24
        .size:           8
        .value_kind:     global_buffer
      - .actual_access:  read_only
        .address_space:  global
        .offset:         32
        .size:           8
        .value_kind:     global_buffer
      - .offset:         40
        .size:           4
        .value_kind:     by_value
      - .offset:         44
        .size:           4
        .value_kind:     by_value
      - .offset:         48
        .size:           4
        .value_kind:     by_value
      - .actual_access:  write_only
        .address_space:  global
        .offset:         56
        .size:           8
        .value_kind:     global_buffer
      - .actual_access:  write_only
        .address_space:  global
        .offset:         64
        .size:           8
        .value_kind:     global_buffer
      - .actual_access:  write_only
        .address_space:  global
        .offset:         72
        .size:           8
        .value_kind:     global_buffer
    .group_segment_fixed_size: 0
    .kernarg_segment_align: 8
    .kernarg_segment_size: 80
    .language:       OpenCL C
    .language_version:
      - 2
      - 0
    .max_flat_workgroup_size: 1024
    .name:           _ZN9rocsparseL37gebsr2csr_block_per_row_33_128_kernelILi1024ELi128ELi32ELi32ELi32EfEEv20rocsparse_direction_ii21rocsparse_index_base_PKT4_PKiS7_iiS2_PS3_PiS9_
    .private_segment_fixed_size: 0
    .sgpr_count:     34
    .sgpr_spill_count: 0
    .symbol:         _ZN9rocsparseL37gebsr2csr_block_per_row_33_128_kernelILi1024ELi128ELi32ELi32ELi32EfEEv20rocsparse_direction_ii21rocsparse_index_base_PKT4_PKiS7_iiS2_PS3_PiS9_.kd
    .uniform_work_group_size: 1
    .uses_dynamic_stack: false
    .vgpr_count:     17
    .vgpr_spill_count: 0
    .wavefront_size: 64
  - .agpr_count:     0
    .args:
      - .offset:         0
        .size:           4
        .value_kind:     by_value
      - .offset:         4
        .size:           4
        .value_kind:     by_value
      - .offset:         8
        .size:           4
        .value_kind:     by_value
      - .offset:         12
        .size:           4
        .value_kind:     by_value
      - .actual_access:  read_only
        .address_space:  global
        .offset:         16
        .size:           8
        .value_kind:     global_buffer
      - .actual_access:  read_only
        .address_space:  global
        .offset:         24
        .size:           8
        .value_kind:     global_buffer
      - .actual_access:  read_only
        .address_space:  global
        .offset:         32
        .size:           8
        .value_kind:     global_buffer
      - .offset:         40
        .size:           4
        .value_kind:     by_value
      - .offset:         44
        .size:           4
        .value_kind:     by_value
      - .offset:         48
        .size:           4
        .value_kind:     by_value
      - .actual_access:  write_only
        .address_space:  global
        .offset:         56
        .size:           8
        .value_kind:     global_buffer
      - .actual_access:  write_only
        .address_space:  global
        .offset:         64
        .size:           8
        .value_kind:     global_buffer
      - .actual_access:  write_only
        .address_space:  global
        .offset:         72
        .size:           8
        .value_kind:     global_buffer
    .group_segment_fixed_size: 0
    .kernarg_segment_align: 8
    .kernarg_segment_size: 80
    .language:       OpenCL C
    .language_version:
      - 2
      - 0
    .max_flat_workgroup_size: 1024
    .name:           _ZN9rocsparseL37gebsr2csr_block_per_row_33_128_kernelILi1024ELi128ELi64ELi32ELi32EfEEv20rocsparse_direction_ii21rocsparse_index_base_PKT4_PKiS7_iiS2_PS3_PiS9_
    .private_segment_fixed_size: 0
    .sgpr_count:     44
    .sgpr_spill_count: 0
    .symbol:         _ZN9rocsparseL37gebsr2csr_block_per_row_33_128_kernelILi1024ELi128ELi64ELi32ELi32EfEEv20rocsparse_direction_ii21rocsparse_index_base_PKT4_PKiS7_iiS2_PS3_PiS9_.kd
    .uniform_work_group_size: 1
    .uses_dynamic_stack: false
    .vgpr_count:     22
    .vgpr_spill_count: 0
    .wavefront_size: 64
  - .agpr_count:     0
    .args:
      - .offset:         0
        .size:           4
        .value_kind:     by_value
      - .offset:         4
        .size:           4
        .value_kind:     by_value
      - .offset:         8
        .size:           4
        .value_kind:     by_value
      - .offset:         12
        .size:           4
        .value_kind:     by_value
      - .actual_access:  read_only
        .address_space:  global
        .offset:         16
        .size:           8
        .value_kind:     global_buffer
      - .actual_access:  read_only
        .address_space:  global
        .offset:         24
        .size:           8
        .value_kind:     global_buffer
      - .actual_access:  read_only
        .address_space:  global
        .offset:         32
        .size:           8
        .value_kind:     global_buffer
      - .offset:         40
        .size:           4
        .value_kind:     by_value
      - .offset:         44
        .size:           4
        .value_kind:     by_value
      - .offset:         48
        .size:           4
        .value_kind:     by_value
      - .actual_access:  write_only
        .address_space:  global
        .offset:         56
        .size:           8
        .value_kind:     global_buffer
      - .actual_access:  write_only
        .address_space:  global
        .offset:         64
        .size:           8
        .value_kind:     global_buffer
      - .actual_access:  write_only
        .address_space:  global
        .offset:         72
        .size:           8
        .value_kind:     global_buffer
    .group_segment_fixed_size: 0
    .kernarg_segment_align: 8
    .kernarg_segment_size: 80
    .language:       OpenCL C
    .language_version:
      - 2
      - 0
    .max_flat_workgroup_size: 1024
    .name:           _ZN9rocsparseL37gebsr2csr_block_per_row_33_128_kernelILi1024ELi128ELi128ELi32ELi32EfEEv20rocsparse_direction_ii21rocsparse_index_base_PKT4_PKiS7_iiS2_PS3_PiS9_
    .private_segment_fixed_size: 0
    .sgpr_count:     62
    .sgpr_spill_count: 0
    .symbol:         _ZN9rocsparseL37gebsr2csr_block_per_row_33_128_kernelILi1024ELi128ELi128ELi32ELi32EfEEv20rocsparse_direction_ii21rocsparse_index_base_PKT4_PKiS7_iiS2_PS3_PiS9_.kd
    .uniform_work_group_size: 1
    .uses_dynamic_stack: false
    .vgpr_count:     30
    .vgpr_spill_count: 0
    .wavefront_size: 64
  - .agpr_count:     0
    .args:
      - .offset:         0
        .size:           4
        .value_kind:     by_value
      - .offset:         4
        .size:           4
        .value_kind:     by_value
      - .offset:         8
        .size:           4
        .value_kind:     by_value
      - .offset:         12
        .size:           4
        .value_kind:     by_value
      - .actual_access:  read_only
        .address_space:  global
        .offset:         16
        .size:           8
        .value_kind:     global_buffer
      - .actual_access:  read_only
        .address_space:  global
        .offset:         24
        .size:           8
        .value_kind:     global_buffer
      - .actual_access:  read_only
        .address_space:  global
        .offset:         32
        .size:           8
        .value_kind:     global_buffer
      - .offset:         40
        .size:           4
        .value_kind:     by_value
      - .offset:         44
        .size:           4
        .value_kind:     by_value
      - .offset:         48
        .size:           4
        .value_kind:     by_value
      - .actual_access:  write_only
        .address_space:  global
        .offset:         56
        .size:           8
        .value_kind:     global_buffer
      - .actual_access:  write_only
        .address_space:  global
        .offset:         64
        .size:           8
        .value_kind:     global_buffer
      - .actual_access:  write_only
        .address_space:  global
        .offset:         72
        .size:           8
        .value_kind:     global_buffer
    .group_segment_fixed_size: 0
    .kernarg_segment_align: 8
    .kernarg_segment_size: 80
    .language:       OpenCL C
    .language_version:
      - 2
      - 0
    .max_flat_workgroup_size: 256
    .name:           _ZN9rocsparseL35gebsr2csr_block_per_row_1_32_kernelILi256ELi2ELi2EdEEv20rocsparse_direction_ii21rocsparse_index_base_PKT2_PKiS7_iiS2_PS3_PiS9_
    .private_segment_fixed_size: 0
    .sgpr_count:     23
    .sgpr_spill_count: 0
    .symbol:         _ZN9rocsparseL35gebsr2csr_block_per_row_1_32_kernelILi256ELi2ELi2EdEEv20rocsparse_direction_ii21rocsparse_index_base_PKT2_PKiS7_iiS2_PS3_PiS9_.kd
    .uniform_work_group_size: 1
    .uses_dynamic_stack: false
    .vgpr_count:     20
    .vgpr_spill_count: 0
    .wavefront_size: 64
  - .agpr_count:     0
    .args:
      - .offset:         0
        .size:           4
        .value_kind:     by_value
      - .offset:         4
        .size:           4
        .value_kind:     by_value
      - .offset:         8
        .size:           4
        .value_kind:     by_value
      - .offset:         12
        .size:           4
        .value_kind:     by_value
      - .actual_access:  read_only
        .address_space:  global
        .offset:         16
        .size:           8
        .value_kind:     global_buffer
      - .actual_access:  read_only
        .address_space:  global
        .offset:         24
        .size:           8
        .value_kind:     global_buffer
      - .actual_access:  read_only
        .address_space:  global
        .offset:         32
        .size:           8
        .value_kind:     global_buffer
      - .offset:         40
        .size:           4
        .value_kind:     by_value
      - .offset:         44
        .size:           4
        .value_kind:     by_value
      - .offset:         48
        .size:           4
        .value_kind:     by_value
      - .actual_access:  write_only
        .address_space:  global
        .offset:         56
        .size:           8
        .value_kind:     global_buffer
      - .actual_access:  write_only
        .address_space:  global
        .offset:         64
        .size:           8
        .value_kind:     global_buffer
      - .actual_access:  write_only
        .address_space:  global
        .offset:         72
        .size:           8
        .value_kind:     global_buffer
    .group_segment_fixed_size: 0
    .kernarg_segment_align: 8
    .kernarg_segment_size: 80
    .language:       OpenCL C
    .language_version:
      - 2
      - 0
    .max_flat_workgroup_size: 256
    .name:           _ZN9rocsparseL35gebsr2csr_block_per_row_1_32_kernelILi256ELi2ELi4EdEEv20rocsparse_direction_ii21rocsparse_index_base_PKT2_PKiS7_iiS2_PS3_PiS9_
    .private_segment_fixed_size: 0
    .sgpr_count:     23
    .sgpr_spill_count: 0
    .symbol:         _ZN9rocsparseL35gebsr2csr_block_per_row_1_32_kernelILi256ELi2ELi4EdEEv20rocsparse_direction_ii21rocsparse_index_base_PKT2_PKiS7_iiS2_PS3_PiS9_.kd
    .uniform_work_group_size: 1
    .uses_dynamic_stack: false
    .vgpr_count:     20
    .vgpr_spill_count: 0
    .wavefront_size: 64
  - .agpr_count:     0
    .args:
      - .offset:         0
        .size:           4
        .value_kind:     by_value
      - .offset:         4
        .size:           4
        .value_kind:     by_value
      - .offset:         8
        .size:           4
        .value_kind:     by_value
      - .offset:         12
        .size:           4
        .value_kind:     by_value
      - .actual_access:  read_only
        .address_space:  global
        .offset:         16
        .size:           8
        .value_kind:     global_buffer
      - .actual_access:  read_only
        .address_space:  global
        .offset:         24
        .size:           8
        .value_kind:     global_buffer
      - .actual_access:  read_only
        .address_space:  global
        .offset:         32
        .size:           8
        .value_kind:     global_buffer
      - .offset:         40
        .size:           4
        .value_kind:     by_value
      - .offset:         44
        .size:           4
        .value_kind:     by_value
      - .offset:         48
        .size:           4
        .value_kind:     by_value
      - .actual_access:  write_only
        .address_space:  global
        .offset:         56
        .size:           8
        .value_kind:     global_buffer
      - .actual_access:  write_only
        .address_space:  global
        .offset:         64
        .size:           8
        .value_kind:     global_buffer
      - .actual_access:  write_only
        .address_space:  global
        .offset:         72
        .size:           8
        .value_kind:     global_buffer
    .group_segment_fixed_size: 0
    .kernarg_segment_align: 8
    .kernarg_segment_size: 80
    .language:       OpenCL C
    .language_version:
      - 2
      - 0
    .max_flat_workgroup_size: 256
    .name:           _ZN9rocsparseL35gebsr2csr_block_per_row_1_32_kernelILi256ELi2ELi8EdEEv20rocsparse_direction_ii21rocsparse_index_base_PKT2_PKiS7_iiS2_PS3_PiS9_
    .private_segment_fixed_size: 0
    .sgpr_count:     23
    .sgpr_spill_count: 0
    .symbol:         _ZN9rocsparseL35gebsr2csr_block_per_row_1_32_kernelILi256ELi2ELi8EdEEv20rocsparse_direction_ii21rocsparse_index_base_PKT2_PKiS7_iiS2_PS3_PiS9_.kd
    .uniform_work_group_size: 1
    .uses_dynamic_stack: false
    .vgpr_count:     20
    .vgpr_spill_count: 0
    .wavefront_size: 64
  - .agpr_count:     0
    .args:
      - .offset:         0
        .size:           4
        .value_kind:     by_value
      - .offset:         4
        .size:           4
        .value_kind:     by_value
      - .offset:         8
        .size:           4
        .value_kind:     by_value
      - .offset:         12
        .size:           4
        .value_kind:     by_value
      - .actual_access:  read_only
        .address_space:  global
        .offset:         16
        .size:           8
        .value_kind:     global_buffer
      - .actual_access:  read_only
        .address_space:  global
        .offset:         24
        .size:           8
        .value_kind:     global_buffer
      - .actual_access:  read_only
        .address_space:  global
        .offset:         32
        .size:           8
        .value_kind:     global_buffer
      - .offset:         40
        .size:           4
        .value_kind:     by_value
      - .offset:         44
        .size:           4
        .value_kind:     by_value
      - .offset:         48
        .size:           4
        .value_kind:     by_value
      - .actual_access:  write_only
        .address_space:  global
        .offset:         56
        .size:           8
        .value_kind:     global_buffer
      - .actual_access:  write_only
        .address_space:  global
        .offset:         64
        .size:           8
        .value_kind:     global_buffer
      - .actual_access:  write_only
        .address_space:  global
        .offset:         72
        .size:           8
        .value_kind:     global_buffer
    .group_segment_fixed_size: 0
    .kernarg_segment_align: 8
    .kernarg_segment_size: 80
    .language:       OpenCL C
    .language_version:
      - 2
      - 0
    .max_flat_workgroup_size: 256
    .name:           _ZN9rocsparseL35gebsr2csr_block_per_row_1_32_kernelILi256ELi2ELi16EdEEv20rocsparse_direction_ii21rocsparse_index_base_PKT2_PKiS7_iiS2_PS3_PiS9_
    .private_segment_fixed_size: 0
    .sgpr_count:     23
    .sgpr_spill_count: 0
    .symbol:         _ZN9rocsparseL35gebsr2csr_block_per_row_1_32_kernelILi256ELi2ELi16EdEEv20rocsparse_direction_ii21rocsparse_index_base_PKT2_PKiS7_iiS2_PS3_PiS9_.kd
    .uniform_work_group_size: 1
    .uses_dynamic_stack: false
    .vgpr_count:     20
    .vgpr_spill_count: 0
    .wavefront_size: 64
  - .agpr_count:     0
    .args:
      - .offset:         0
        .size:           4
        .value_kind:     by_value
      - .offset:         4
        .size:           4
        .value_kind:     by_value
      - .offset:         8
        .size:           4
        .value_kind:     by_value
      - .offset:         12
        .size:           4
        .value_kind:     by_value
      - .actual_access:  read_only
        .address_space:  global
        .offset:         16
        .size:           8
        .value_kind:     global_buffer
      - .actual_access:  read_only
        .address_space:  global
        .offset:         24
        .size:           8
        .value_kind:     global_buffer
      - .actual_access:  read_only
        .address_space:  global
        .offset:         32
        .size:           8
        .value_kind:     global_buffer
      - .offset:         40
        .size:           4
        .value_kind:     by_value
      - .offset:         44
        .size:           4
        .value_kind:     by_value
      - .offset:         48
        .size:           4
        .value_kind:     by_value
      - .actual_access:  write_only
        .address_space:  global
        .offset:         56
        .size:           8
        .value_kind:     global_buffer
      - .actual_access:  write_only
        .address_space:  global
        .offset:         64
        .size:           8
        .value_kind:     global_buffer
      - .actual_access:  write_only
        .address_space:  global
        .offset:         72
        .size:           8
        .value_kind:     global_buffer
    .group_segment_fixed_size: 0
    .kernarg_segment_align: 8
    .kernarg_segment_size: 80
    .language:       OpenCL C
    .language_version:
      - 2
      - 0
    .max_flat_workgroup_size: 256
    .name:           _ZN9rocsparseL35gebsr2csr_block_per_row_1_32_kernelILi256ELi2ELi32EdEEv20rocsparse_direction_ii21rocsparse_index_base_PKT2_PKiS7_iiS2_PS3_PiS9_
    .private_segment_fixed_size: 0
    .sgpr_count:     23
    .sgpr_spill_count: 0
    .symbol:         _ZN9rocsparseL35gebsr2csr_block_per_row_1_32_kernelILi256ELi2ELi32EdEEv20rocsparse_direction_ii21rocsparse_index_base_PKT2_PKiS7_iiS2_PS3_PiS9_.kd
    .uniform_work_group_size: 1
    .uses_dynamic_stack: false
    .vgpr_count:     20
    .vgpr_spill_count: 0
    .wavefront_size: 64
  - .agpr_count:     0
    .args:
      - .offset:         0
        .size:           4
        .value_kind:     by_value
      - .offset:         4
        .size:           4
        .value_kind:     by_value
      - .offset:         8
        .size:           4
        .value_kind:     by_value
      - .offset:         12
        .size:           4
        .value_kind:     by_value
      - .actual_access:  read_only
        .address_space:  global
        .offset:         16
        .size:           8
        .value_kind:     global_buffer
      - .actual_access:  read_only
        .address_space:  global
        .offset:         24
        .size:           8
        .value_kind:     global_buffer
      - .actual_access:  read_only
        .address_space:  global
        .offset:         32
        .size:           8
        .value_kind:     global_buffer
      - .offset:         40
        .size:           4
        .value_kind:     by_value
      - .offset:         44
        .size:           4
        .value_kind:     by_value
      - .offset:         48
        .size:           4
        .value_kind:     by_value
      - .actual_access:  write_only
        .address_space:  global
        .offset:         56
        .size:           8
        .value_kind:     global_buffer
      - .actual_access:  write_only
        .address_space:  global
        .offset:         64
        .size:           8
        .value_kind:     global_buffer
      - .actual_access:  write_only
        .address_space:  global
        .offset:         72
        .size:           8
        .value_kind:     global_buffer
    .group_segment_fixed_size: 0
    .kernarg_segment_align: 8
    .kernarg_segment_size: 80
    .language:       OpenCL C
    .language_version:
      - 2
      - 0
    .max_flat_workgroup_size: 256
    .name:           _ZN9rocsparseL37gebsr2csr_block_per_row_33_128_kernelILi256ELi2ELi64ELi2ELi32EdEEv20rocsparse_direction_ii21rocsparse_index_base_PKT4_PKiS7_iiS2_PS3_PiS9_
    .private_segment_fixed_size: 0
    .sgpr_count:     29
    .sgpr_spill_count: 0
    .symbol:         _ZN9rocsparseL37gebsr2csr_block_per_row_33_128_kernelILi256ELi2ELi64ELi2ELi32EdEEv20rocsparse_direction_ii21rocsparse_index_base_PKT4_PKiS7_iiS2_PS3_PiS9_.kd
    .uniform_work_group_size: 1
    .uses_dynamic_stack: false
    .vgpr_count:     14
    .vgpr_spill_count: 0
    .wavefront_size: 64
  - .agpr_count:     0
    .args:
      - .offset:         0
        .size:           4
        .value_kind:     by_value
      - .offset:         4
        .size:           4
        .value_kind:     by_value
      - .offset:         8
        .size:           4
        .value_kind:     by_value
      - .offset:         12
        .size:           4
        .value_kind:     by_value
      - .actual_access:  read_only
        .address_space:  global
        .offset:         16
        .size:           8
        .value_kind:     global_buffer
      - .actual_access:  read_only
        .address_space:  global
        .offset:         24
        .size:           8
        .value_kind:     global_buffer
      - .actual_access:  read_only
        .address_space:  global
        .offset:         32
        .size:           8
        .value_kind:     global_buffer
      - .offset:         40
        .size:           4
        .value_kind:     by_value
      - .offset:         44
        .size:           4
        .value_kind:     by_value
      - .offset:         48
        .size:           4
        .value_kind:     by_value
      - .actual_access:  write_only
        .address_space:  global
        .offset:         56
        .size:           8
        .value_kind:     global_buffer
      - .actual_access:  write_only
        .address_space:  global
        .offset:         64
        .size:           8
        .value_kind:     global_buffer
      - .actual_access:  write_only
        .address_space:  global
        .offset:         72
        .size:           8
        .value_kind:     global_buffer
    .group_segment_fixed_size: 0
    .kernarg_segment_align: 8
    .kernarg_segment_size: 80
    .language:       OpenCL C
    .language_version:
      - 2
      - 0
    .max_flat_workgroup_size: 256
    .name:           _ZN9rocsparseL37gebsr2csr_block_per_row_33_128_kernelILi256ELi2ELi128ELi2ELi32EdEEv20rocsparse_direction_ii21rocsparse_index_base_PKT4_PKiS7_iiS2_PS3_PiS9_
    .private_segment_fixed_size: 0
    .sgpr_count:     33
    .sgpr_spill_count: 0
    .symbol:         _ZN9rocsparseL37gebsr2csr_block_per_row_33_128_kernelILi256ELi2ELi128ELi2ELi32EdEEv20rocsparse_direction_ii21rocsparse_index_base_PKT4_PKiS7_iiS2_PS3_PiS9_.kd
    .uniform_work_group_size: 1
    .uses_dynamic_stack: false
    .vgpr_count:     19
    .vgpr_spill_count: 0
    .wavefront_size: 64
  - .agpr_count:     0
    .args:
      - .offset:         0
        .size:           4
        .value_kind:     by_value
      - .offset:         4
        .size:           4
        .value_kind:     by_value
      - .offset:         8
        .size:           4
        .value_kind:     by_value
      - .offset:         12
        .size:           4
        .value_kind:     by_value
      - .actual_access:  read_only
        .address_space:  global
        .offset:         16
        .size:           8
        .value_kind:     global_buffer
      - .actual_access:  read_only
        .address_space:  global
        .offset:         24
        .size:           8
        .value_kind:     global_buffer
      - .actual_access:  read_only
        .address_space:  global
        .offset:         32
        .size:           8
        .value_kind:     global_buffer
      - .offset:         40
        .size:           4
        .value_kind:     by_value
      - .offset:         44
        .size:           4
        .value_kind:     by_value
      - .offset:         48
        .size:           4
        .value_kind:     by_value
      - .actual_access:  write_only
        .address_space:  global
        .offset:         56
        .size:           8
        .value_kind:     global_buffer
      - .actual_access:  write_only
        .address_space:  global
        .offset:         64
        .size:           8
        .value_kind:     global_buffer
      - .actual_access:  write_only
        .address_space:  global
        .offset:         72
        .size:           8
        .value_kind:     global_buffer
    .group_segment_fixed_size: 0
    .kernarg_segment_align: 8
    .kernarg_segment_size: 80
    .language:       OpenCL C
    .language_version:
      - 2
      - 0
    .max_flat_workgroup_size: 256
    .name:           _ZN9rocsparseL35gebsr2csr_block_per_row_1_32_kernelILi256ELi4ELi2EdEEv20rocsparse_direction_ii21rocsparse_index_base_PKT2_PKiS7_iiS2_PS3_PiS9_
    .private_segment_fixed_size: 0
    .sgpr_count:     23
    .sgpr_spill_count: 0
    .symbol:         _ZN9rocsparseL35gebsr2csr_block_per_row_1_32_kernelILi256ELi4ELi2EdEEv20rocsparse_direction_ii21rocsparse_index_base_PKT2_PKiS7_iiS2_PS3_PiS9_.kd
    .uniform_work_group_size: 1
    .uses_dynamic_stack: false
    .vgpr_count:     20
    .vgpr_spill_count: 0
    .wavefront_size: 64
  - .agpr_count:     0
    .args:
      - .offset:         0
        .size:           4
        .value_kind:     by_value
      - .offset:         4
        .size:           4
        .value_kind:     by_value
      - .offset:         8
        .size:           4
        .value_kind:     by_value
      - .offset:         12
        .size:           4
        .value_kind:     by_value
      - .actual_access:  read_only
        .address_space:  global
        .offset:         16
        .size:           8
        .value_kind:     global_buffer
      - .actual_access:  read_only
        .address_space:  global
        .offset:         24
        .size:           8
        .value_kind:     global_buffer
      - .actual_access:  read_only
        .address_space:  global
        .offset:         32
        .size:           8
        .value_kind:     global_buffer
      - .offset:         40
        .size:           4
        .value_kind:     by_value
      - .offset:         44
        .size:           4
        .value_kind:     by_value
      - .offset:         48
        .size:           4
        .value_kind:     by_value
      - .actual_access:  write_only
        .address_space:  global
        .offset:         56
        .size:           8
        .value_kind:     global_buffer
      - .actual_access:  write_only
        .address_space:  global
        .offset:         64
        .size:           8
        .value_kind:     global_buffer
      - .actual_access:  write_only
        .address_space:  global
        .offset:         72
        .size:           8
        .value_kind:     global_buffer
    .group_segment_fixed_size: 0
    .kernarg_segment_align: 8
    .kernarg_segment_size: 80
    .language:       OpenCL C
    .language_version:
      - 2
      - 0
    .max_flat_workgroup_size: 256
    .name:           _ZN9rocsparseL35gebsr2csr_block_per_row_1_32_kernelILi256ELi4ELi4EdEEv20rocsparse_direction_ii21rocsparse_index_base_PKT2_PKiS7_iiS2_PS3_PiS9_
    .private_segment_fixed_size: 0
    .sgpr_count:     23
    .sgpr_spill_count: 0
    .symbol:         _ZN9rocsparseL35gebsr2csr_block_per_row_1_32_kernelILi256ELi4ELi4EdEEv20rocsparse_direction_ii21rocsparse_index_base_PKT2_PKiS7_iiS2_PS3_PiS9_.kd
    .uniform_work_group_size: 1
    .uses_dynamic_stack: false
    .vgpr_count:     20
    .vgpr_spill_count: 0
    .wavefront_size: 64
  - .agpr_count:     0
    .args:
      - .offset:         0
        .size:           4
        .value_kind:     by_value
      - .offset:         4
        .size:           4
        .value_kind:     by_value
      - .offset:         8
        .size:           4
        .value_kind:     by_value
      - .offset:         12
        .size:           4
        .value_kind:     by_value
      - .actual_access:  read_only
        .address_space:  global
        .offset:         16
        .size:           8
        .value_kind:     global_buffer
      - .actual_access:  read_only
        .address_space:  global
        .offset:         24
        .size:           8
        .value_kind:     global_buffer
      - .actual_access:  read_only
        .address_space:  global
        .offset:         32
        .size:           8
        .value_kind:     global_buffer
      - .offset:         40
        .size:           4
        .value_kind:     by_value
      - .offset:         44
        .size:           4
        .value_kind:     by_value
      - .offset:         48
        .size:           4
        .value_kind:     by_value
      - .actual_access:  write_only
        .address_space:  global
        .offset:         56
        .size:           8
        .value_kind:     global_buffer
      - .actual_access:  write_only
        .address_space:  global
        .offset:         64
        .size:           8
        .value_kind:     global_buffer
      - .actual_access:  write_only
        .address_space:  global
        .offset:         72
        .size:           8
        .value_kind:     global_buffer
    .group_segment_fixed_size: 0
    .kernarg_segment_align: 8
    .kernarg_segment_size: 80
    .language:       OpenCL C
    .language_version:
      - 2
      - 0
    .max_flat_workgroup_size: 256
    .name:           _ZN9rocsparseL35gebsr2csr_block_per_row_1_32_kernelILi256ELi4ELi8EdEEv20rocsparse_direction_ii21rocsparse_index_base_PKT2_PKiS7_iiS2_PS3_PiS9_
    .private_segment_fixed_size: 0
    .sgpr_count:     23
    .sgpr_spill_count: 0
    .symbol:         _ZN9rocsparseL35gebsr2csr_block_per_row_1_32_kernelILi256ELi4ELi8EdEEv20rocsparse_direction_ii21rocsparse_index_base_PKT2_PKiS7_iiS2_PS3_PiS9_.kd
    .uniform_work_group_size: 1
    .uses_dynamic_stack: false
    .vgpr_count:     20
    .vgpr_spill_count: 0
    .wavefront_size: 64
  - .agpr_count:     0
    .args:
      - .offset:         0
        .size:           4
        .value_kind:     by_value
      - .offset:         4
        .size:           4
        .value_kind:     by_value
      - .offset:         8
        .size:           4
        .value_kind:     by_value
      - .offset:         12
        .size:           4
        .value_kind:     by_value
      - .actual_access:  read_only
        .address_space:  global
        .offset:         16
        .size:           8
        .value_kind:     global_buffer
      - .actual_access:  read_only
        .address_space:  global
        .offset:         24
        .size:           8
        .value_kind:     global_buffer
      - .actual_access:  read_only
        .address_space:  global
        .offset:         32
        .size:           8
        .value_kind:     global_buffer
      - .offset:         40
        .size:           4
        .value_kind:     by_value
      - .offset:         44
        .size:           4
        .value_kind:     by_value
      - .offset:         48
        .size:           4
        .value_kind:     by_value
      - .actual_access:  write_only
        .address_space:  global
        .offset:         56
        .size:           8
        .value_kind:     global_buffer
      - .actual_access:  write_only
        .address_space:  global
        .offset:         64
        .size:           8
        .value_kind:     global_buffer
      - .actual_access:  write_only
        .address_space:  global
        .offset:         72
        .size:           8
        .value_kind:     global_buffer
    .group_segment_fixed_size: 0
    .kernarg_segment_align: 8
    .kernarg_segment_size: 80
    .language:       OpenCL C
    .language_version:
      - 2
      - 0
    .max_flat_workgroup_size: 1024
    .name:           _ZN9rocsparseL35gebsr2csr_block_per_row_1_32_kernelILi1024ELi4ELi16EdEEv20rocsparse_direction_ii21rocsparse_index_base_PKT2_PKiS7_iiS2_PS3_PiS9_
    .private_segment_fixed_size: 0
    .sgpr_count:     23
    .sgpr_spill_count: 0
    .symbol:         _ZN9rocsparseL35gebsr2csr_block_per_row_1_32_kernelILi1024ELi4ELi16EdEEv20rocsparse_direction_ii21rocsparse_index_base_PKT2_PKiS7_iiS2_PS3_PiS9_.kd
    .uniform_work_group_size: 1
    .uses_dynamic_stack: false
    .vgpr_count:     20
    .vgpr_spill_count: 0
    .wavefront_size: 64
  - .agpr_count:     0
    .args:
      - .offset:         0
        .size:           4
        .value_kind:     by_value
      - .offset:         4
        .size:           4
        .value_kind:     by_value
      - .offset:         8
        .size:           4
        .value_kind:     by_value
      - .offset:         12
        .size:           4
        .value_kind:     by_value
      - .actual_access:  read_only
        .address_space:  global
        .offset:         16
        .size:           8
        .value_kind:     global_buffer
      - .actual_access:  read_only
        .address_space:  global
        .offset:         24
        .size:           8
        .value_kind:     global_buffer
      - .actual_access:  read_only
        .address_space:  global
        .offset:         32
        .size:           8
        .value_kind:     global_buffer
      - .offset:         40
        .size:           4
        .value_kind:     by_value
      - .offset:         44
        .size:           4
        .value_kind:     by_value
      - .offset:         48
        .size:           4
        .value_kind:     by_value
      - .actual_access:  write_only
        .address_space:  global
        .offset:         56
        .size:           8
        .value_kind:     global_buffer
      - .actual_access:  write_only
        .address_space:  global
        .offset:         64
        .size:           8
        .value_kind:     global_buffer
      - .actual_access:  write_only
        .address_space:  global
        .offset:         72
        .size:           8
        .value_kind:     global_buffer
    .group_segment_fixed_size: 0
    .kernarg_segment_align: 8
    .kernarg_segment_size: 80
    .language:       OpenCL C
    .language_version:
      - 2
      - 0
    .max_flat_workgroup_size: 1024
    .name:           _ZN9rocsparseL35gebsr2csr_block_per_row_1_32_kernelILi1024ELi4ELi32EdEEv20rocsparse_direction_ii21rocsparse_index_base_PKT2_PKiS7_iiS2_PS3_PiS9_
    .private_segment_fixed_size: 0
    .sgpr_count:     23
    .sgpr_spill_count: 0
    .symbol:         _ZN9rocsparseL35gebsr2csr_block_per_row_1_32_kernelILi1024ELi4ELi32EdEEv20rocsparse_direction_ii21rocsparse_index_base_PKT2_PKiS7_iiS2_PS3_PiS9_.kd
    .uniform_work_group_size: 1
    .uses_dynamic_stack: false
    .vgpr_count:     20
    .vgpr_spill_count: 0
    .wavefront_size: 64
  - .agpr_count:     0
    .args:
      - .offset:         0
        .size:           4
        .value_kind:     by_value
      - .offset:         4
        .size:           4
        .value_kind:     by_value
      - .offset:         8
        .size:           4
        .value_kind:     by_value
      - .offset:         12
        .size:           4
        .value_kind:     by_value
      - .actual_access:  read_only
        .address_space:  global
        .offset:         16
        .size:           8
        .value_kind:     global_buffer
      - .actual_access:  read_only
        .address_space:  global
        .offset:         24
        .size:           8
        .value_kind:     global_buffer
      - .actual_access:  read_only
        .address_space:  global
        .offset:         32
        .size:           8
        .value_kind:     global_buffer
      - .offset:         40
        .size:           4
        .value_kind:     by_value
      - .offset:         44
        .size:           4
        .value_kind:     by_value
      - .offset:         48
        .size:           4
        .value_kind:     by_value
      - .actual_access:  write_only
        .address_space:  global
        .offset:         56
        .size:           8
        .value_kind:     global_buffer
      - .actual_access:  write_only
        .address_space:  global
        .offset:         64
        .size:           8
        .value_kind:     global_buffer
      - .actual_access:  write_only
        .address_space:  global
        .offset:         72
        .size:           8
        .value_kind:     global_buffer
    .group_segment_fixed_size: 0
    .kernarg_segment_align: 8
    .kernarg_segment_size: 80
    .language:       OpenCL C
    .language_version:
      - 2
      - 0
    .max_flat_workgroup_size: 1024
    .name:           _ZN9rocsparseL37gebsr2csr_block_per_row_33_128_kernelILi1024ELi4ELi64ELi4ELi32EdEEv20rocsparse_direction_ii21rocsparse_index_base_PKT4_PKiS7_iiS2_PS3_PiS9_
    .private_segment_fixed_size: 0
    .sgpr_count:     29
    .sgpr_spill_count: 0
    .symbol:         _ZN9rocsparseL37gebsr2csr_block_per_row_33_128_kernelILi1024ELi4ELi64ELi4ELi32EdEEv20rocsparse_direction_ii21rocsparse_index_base_PKT4_PKiS7_iiS2_PS3_PiS9_.kd
    .uniform_work_group_size: 1
    .uses_dynamic_stack: false
    .vgpr_count:     14
    .vgpr_spill_count: 0
    .wavefront_size: 64
  - .agpr_count:     0
    .args:
      - .offset:         0
        .size:           4
        .value_kind:     by_value
      - .offset:         4
        .size:           4
        .value_kind:     by_value
      - .offset:         8
        .size:           4
        .value_kind:     by_value
      - .offset:         12
        .size:           4
        .value_kind:     by_value
      - .actual_access:  read_only
        .address_space:  global
        .offset:         16
        .size:           8
        .value_kind:     global_buffer
      - .actual_access:  read_only
        .address_space:  global
        .offset:         24
        .size:           8
        .value_kind:     global_buffer
      - .actual_access:  read_only
        .address_space:  global
        .offset:         32
        .size:           8
        .value_kind:     global_buffer
      - .offset:         40
        .size:           4
        .value_kind:     by_value
      - .offset:         44
        .size:           4
        .value_kind:     by_value
      - .offset:         48
        .size:           4
        .value_kind:     by_value
      - .actual_access:  write_only
        .address_space:  global
        .offset:         56
        .size:           8
        .value_kind:     global_buffer
      - .actual_access:  write_only
        .address_space:  global
        .offset:         64
        .size:           8
        .value_kind:     global_buffer
      - .actual_access:  write_only
        .address_space:  global
        .offset:         72
        .size:           8
        .value_kind:     global_buffer
    .group_segment_fixed_size: 0
    .kernarg_segment_align: 8
    .kernarg_segment_size: 80
    .language:       OpenCL C
    .language_version:
      - 2
      - 0
    .max_flat_workgroup_size: 1024
    .name:           _ZN9rocsparseL37gebsr2csr_block_per_row_33_128_kernelILi1024ELi4ELi128ELi4ELi32EdEEv20rocsparse_direction_ii21rocsparse_index_base_PKT4_PKiS7_iiS2_PS3_PiS9_
    .private_segment_fixed_size: 0
    .sgpr_count:     33
    .sgpr_spill_count: 0
    .symbol:         _ZN9rocsparseL37gebsr2csr_block_per_row_33_128_kernelILi1024ELi4ELi128ELi4ELi32EdEEv20rocsparse_direction_ii21rocsparse_index_base_PKT4_PKiS7_iiS2_PS3_PiS9_.kd
    .uniform_work_group_size: 1
    .uses_dynamic_stack: false
    .vgpr_count:     19
    .vgpr_spill_count: 0
    .wavefront_size: 64
  - .agpr_count:     0
    .args:
      - .offset:         0
        .size:           4
        .value_kind:     by_value
      - .offset:         4
        .size:           4
        .value_kind:     by_value
      - .offset:         8
        .size:           4
        .value_kind:     by_value
      - .offset:         12
        .size:           4
        .value_kind:     by_value
      - .actual_access:  read_only
        .address_space:  global
        .offset:         16
        .size:           8
        .value_kind:     global_buffer
      - .actual_access:  read_only
        .address_space:  global
        .offset:         24
        .size:           8
        .value_kind:     global_buffer
      - .actual_access:  read_only
        .address_space:  global
        .offset:         32
        .size:           8
        .value_kind:     global_buffer
      - .offset:         40
        .size:           4
        .value_kind:     by_value
      - .offset:         44
        .size:           4
        .value_kind:     by_value
      - .offset:         48
        .size:           4
        .value_kind:     by_value
      - .actual_access:  write_only
        .address_space:  global
        .offset:         56
        .size:           8
        .value_kind:     global_buffer
      - .actual_access:  write_only
        .address_space:  global
        .offset:         64
        .size:           8
        .value_kind:     global_buffer
      - .actual_access:  write_only
        .address_space:  global
        .offset:         72
        .size:           8
        .value_kind:     global_buffer
    .group_segment_fixed_size: 0
    .kernarg_segment_align: 8
    .kernarg_segment_size: 80
    .language:       OpenCL C
    .language_version:
      - 2
      - 0
    .max_flat_workgroup_size: 1024
    .name:           _ZN9rocsparseL35gebsr2csr_block_per_row_1_32_kernelILi1024ELi8ELi2EdEEv20rocsparse_direction_ii21rocsparse_index_base_PKT2_PKiS7_iiS2_PS3_PiS9_
    .private_segment_fixed_size: 0
    .sgpr_count:     23
    .sgpr_spill_count: 0
    .symbol:         _ZN9rocsparseL35gebsr2csr_block_per_row_1_32_kernelILi1024ELi8ELi2EdEEv20rocsparse_direction_ii21rocsparse_index_base_PKT2_PKiS7_iiS2_PS3_PiS9_.kd
    .uniform_work_group_size: 1
    .uses_dynamic_stack: false
    .vgpr_count:     20
    .vgpr_spill_count: 0
    .wavefront_size: 64
  - .agpr_count:     0
    .args:
      - .offset:         0
        .size:           4
        .value_kind:     by_value
      - .offset:         4
        .size:           4
        .value_kind:     by_value
      - .offset:         8
        .size:           4
        .value_kind:     by_value
      - .offset:         12
        .size:           4
        .value_kind:     by_value
      - .actual_access:  read_only
        .address_space:  global
        .offset:         16
        .size:           8
        .value_kind:     global_buffer
      - .actual_access:  read_only
        .address_space:  global
        .offset:         24
        .size:           8
        .value_kind:     global_buffer
      - .actual_access:  read_only
        .address_space:  global
        .offset:         32
        .size:           8
        .value_kind:     global_buffer
      - .offset:         40
        .size:           4
        .value_kind:     by_value
      - .offset:         44
        .size:           4
        .value_kind:     by_value
      - .offset:         48
        .size:           4
        .value_kind:     by_value
      - .actual_access:  write_only
        .address_space:  global
        .offset:         56
        .size:           8
        .value_kind:     global_buffer
      - .actual_access:  write_only
        .address_space:  global
        .offset:         64
        .size:           8
        .value_kind:     global_buffer
      - .actual_access:  write_only
        .address_space:  global
        .offset:         72
        .size:           8
        .value_kind:     global_buffer
    .group_segment_fixed_size: 0
    .kernarg_segment_align: 8
    .kernarg_segment_size: 80
    .language:       OpenCL C
    .language_version:
      - 2
      - 0
    .max_flat_workgroup_size: 1024
    .name:           _ZN9rocsparseL35gebsr2csr_block_per_row_1_32_kernelILi1024ELi8ELi4EdEEv20rocsparse_direction_ii21rocsparse_index_base_PKT2_PKiS7_iiS2_PS3_PiS9_
    .private_segment_fixed_size: 0
    .sgpr_count:     23
    .sgpr_spill_count: 0
    .symbol:         _ZN9rocsparseL35gebsr2csr_block_per_row_1_32_kernelILi1024ELi8ELi4EdEEv20rocsparse_direction_ii21rocsparse_index_base_PKT2_PKiS7_iiS2_PS3_PiS9_.kd
    .uniform_work_group_size: 1
    .uses_dynamic_stack: false
    .vgpr_count:     20
    .vgpr_spill_count: 0
    .wavefront_size: 64
  - .agpr_count:     0
    .args:
      - .offset:         0
        .size:           4
        .value_kind:     by_value
      - .offset:         4
        .size:           4
        .value_kind:     by_value
      - .offset:         8
        .size:           4
        .value_kind:     by_value
      - .offset:         12
        .size:           4
        .value_kind:     by_value
      - .actual_access:  read_only
        .address_space:  global
        .offset:         16
        .size:           8
        .value_kind:     global_buffer
      - .actual_access:  read_only
        .address_space:  global
        .offset:         24
        .size:           8
        .value_kind:     global_buffer
      - .actual_access:  read_only
        .address_space:  global
        .offset:         32
        .size:           8
        .value_kind:     global_buffer
      - .offset:         40
        .size:           4
        .value_kind:     by_value
      - .offset:         44
        .size:           4
        .value_kind:     by_value
      - .offset:         48
        .size:           4
        .value_kind:     by_value
      - .actual_access:  write_only
        .address_space:  global
        .offset:         56
        .size:           8
        .value_kind:     global_buffer
      - .actual_access:  write_only
        .address_space:  global
        .offset:         64
        .size:           8
        .value_kind:     global_buffer
      - .actual_access:  write_only
        .address_space:  global
        .offset:         72
        .size:           8
        .value_kind:     global_buffer
    .group_segment_fixed_size: 0
    .kernarg_segment_align: 8
    .kernarg_segment_size: 80
    .language:       OpenCL C
    .language_version:
      - 2
      - 0
    .max_flat_workgroup_size: 1024
    .name:           _ZN9rocsparseL35gebsr2csr_block_per_row_1_32_kernelILi1024ELi8ELi8EdEEv20rocsparse_direction_ii21rocsparse_index_base_PKT2_PKiS7_iiS2_PS3_PiS9_
    .private_segment_fixed_size: 0
    .sgpr_count:     23
    .sgpr_spill_count: 0
    .symbol:         _ZN9rocsparseL35gebsr2csr_block_per_row_1_32_kernelILi1024ELi8ELi8EdEEv20rocsparse_direction_ii21rocsparse_index_base_PKT2_PKiS7_iiS2_PS3_PiS9_.kd
    .uniform_work_group_size: 1
    .uses_dynamic_stack: false
    .vgpr_count:     20
    .vgpr_spill_count: 0
    .wavefront_size: 64
  - .agpr_count:     0
    .args:
      - .offset:         0
        .size:           4
        .value_kind:     by_value
      - .offset:         4
        .size:           4
        .value_kind:     by_value
      - .offset:         8
        .size:           4
        .value_kind:     by_value
      - .offset:         12
        .size:           4
        .value_kind:     by_value
      - .actual_access:  read_only
        .address_space:  global
        .offset:         16
        .size:           8
        .value_kind:     global_buffer
      - .actual_access:  read_only
        .address_space:  global
        .offset:         24
        .size:           8
        .value_kind:     global_buffer
      - .actual_access:  read_only
        .address_space:  global
        .offset:         32
        .size:           8
        .value_kind:     global_buffer
      - .offset:         40
        .size:           4
        .value_kind:     by_value
      - .offset:         44
        .size:           4
        .value_kind:     by_value
      - .offset:         48
        .size:           4
        .value_kind:     by_value
      - .actual_access:  write_only
        .address_space:  global
        .offset:         56
        .size:           8
        .value_kind:     global_buffer
      - .actual_access:  write_only
        .address_space:  global
        .offset:         64
        .size:           8
        .value_kind:     global_buffer
      - .actual_access:  write_only
        .address_space:  global
        .offset:         72
        .size:           8
        .value_kind:     global_buffer
    .group_segment_fixed_size: 0
    .kernarg_segment_align: 8
    .kernarg_segment_size: 80
    .language:       OpenCL C
    .language_version:
      - 2
      - 0
    .max_flat_workgroup_size: 1024
    .name:           _ZN9rocsparseL35gebsr2csr_block_per_row_1_32_kernelILi1024ELi8ELi16EdEEv20rocsparse_direction_ii21rocsparse_index_base_PKT2_PKiS7_iiS2_PS3_PiS9_
    .private_segment_fixed_size: 0
    .sgpr_count:     23
    .sgpr_spill_count: 0
    .symbol:         _ZN9rocsparseL35gebsr2csr_block_per_row_1_32_kernelILi1024ELi8ELi16EdEEv20rocsparse_direction_ii21rocsparse_index_base_PKT2_PKiS7_iiS2_PS3_PiS9_.kd
    .uniform_work_group_size: 1
    .uses_dynamic_stack: false
    .vgpr_count:     20
    .vgpr_spill_count: 0
    .wavefront_size: 64
  - .agpr_count:     0
    .args:
      - .offset:         0
        .size:           4
        .value_kind:     by_value
      - .offset:         4
        .size:           4
        .value_kind:     by_value
      - .offset:         8
        .size:           4
        .value_kind:     by_value
      - .offset:         12
        .size:           4
        .value_kind:     by_value
      - .actual_access:  read_only
        .address_space:  global
        .offset:         16
        .size:           8
        .value_kind:     global_buffer
      - .actual_access:  read_only
        .address_space:  global
        .offset:         24
        .size:           8
        .value_kind:     global_buffer
      - .actual_access:  read_only
        .address_space:  global
        .offset:         32
        .size:           8
        .value_kind:     global_buffer
      - .offset:         40
        .size:           4
        .value_kind:     by_value
      - .offset:         44
        .size:           4
        .value_kind:     by_value
      - .offset:         48
        .size:           4
        .value_kind:     by_value
      - .actual_access:  write_only
        .address_space:  global
        .offset:         56
        .size:           8
        .value_kind:     global_buffer
      - .actual_access:  write_only
        .address_space:  global
        .offset:         64
        .size:           8
        .value_kind:     global_buffer
      - .actual_access:  write_only
        .address_space:  global
        .offset:         72
        .size:           8
        .value_kind:     global_buffer
    .group_segment_fixed_size: 0
    .kernarg_segment_align: 8
    .kernarg_segment_size: 80
    .language:       OpenCL C
    .language_version:
      - 2
      - 0
    .max_flat_workgroup_size: 1024
    .name:           _ZN9rocsparseL35gebsr2csr_block_per_row_1_32_kernelILi1024ELi8ELi32EdEEv20rocsparse_direction_ii21rocsparse_index_base_PKT2_PKiS7_iiS2_PS3_PiS9_
    .private_segment_fixed_size: 0
    .sgpr_count:     23
    .sgpr_spill_count: 0
    .symbol:         _ZN9rocsparseL35gebsr2csr_block_per_row_1_32_kernelILi1024ELi8ELi32EdEEv20rocsparse_direction_ii21rocsparse_index_base_PKT2_PKiS7_iiS2_PS3_PiS9_.kd
    .uniform_work_group_size: 1
    .uses_dynamic_stack: false
    .vgpr_count:     20
    .vgpr_spill_count: 0
    .wavefront_size: 64
  - .agpr_count:     0
    .args:
      - .offset:         0
        .size:           4
        .value_kind:     by_value
      - .offset:         4
        .size:           4
        .value_kind:     by_value
      - .offset:         8
        .size:           4
        .value_kind:     by_value
      - .offset:         12
        .size:           4
        .value_kind:     by_value
      - .actual_access:  read_only
        .address_space:  global
        .offset:         16
        .size:           8
        .value_kind:     global_buffer
      - .actual_access:  read_only
        .address_space:  global
        .offset:         24
        .size:           8
        .value_kind:     global_buffer
      - .actual_access:  read_only
        .address_space:  global
        .offset:         32
        .size:           8
        .value_kind:     global_buffer
      - .offset:         40
        .size:           4
        .value_kind:     by_value
      - .offset:         44
        .size:           4
        .value_kind:     by_value
      - .offset:         48
        .size:           4
        .value_kind:     by_value
      - .actual_access:  write_only
        .address_space:  global
        .offset:         56
        .size:           8
        .value_kind:     global_buffer
      - .actual_access:  write_only
        .address_space:  global
        .offset:         64
        .size:           8
        .value_kind:     global_buffer
      - .actual_access:  write_only
        .address_space:  global
        .offset:         72
        .size:           8
        .value_kind:     global_buffer
    .group_segment_fixed_size: 0
    .kernarg_segment_align: 8
    .kernarg_segment_size: 80
    .language:       OpenCL C
    .language_version:
      - 2
      - 0
    .max_flat_workgroup_size: 1024
    .name:           _ZN9rocsparseL37gebsr2csr_block_per_row_33_128_kernelILi1024ELi8ELi64ELi8ELi32EdEEv20rocsparse_direction_ii21rocsparse_index_base_PKT4_PKiS7_iiS2_PS3_PiS9_
    .private_segment_fixed_size: 0
    .sgpr_count:     29
    .sgpr_spill_count: 0
    .symbol:         _ZN9rocsparseL37gebsr2csr_block_per_row_33_128_kernelILi1024ELi8ELi64ELi8ELi32EdEEv20rocsparse_direction_ii21rocsparse_index_base_PKT4_PKiS7_iiS2_PS3_PiS9_.kd
    .uniform_work_group_size: 1
    .uses_dynamic_stack: false
    .vgpr_count:     14
    .vgpr_spill_count: 0
    .wavefront_size: 64
  - .agpr_count:     0
    .args:
      - .offset:         0
        .size:           4
        .value_kind:     by_value
      - .offset:         4
        .size:           4
        .value_kind:     by_value
      - .offset:         8
        .size:           4
        .value_kind:     by_value
      - .offset:         12
        .size:           4
        .value_kind:     by_value
      - .actual_access:  read_only
        .address_space:  global
        .offset:         16
        .size:           8
        .value_kind:     global_buffer
      - .actual_access:  read_only
        .address_space:  global
        .offset:         24
        .size:           8
        .value_kind:     global_buffer
      - .actual_access:  read_only
        .address_space:  global
        .offset:         32
        .size:           8
        .value_kind:     global_buffer
      - .offset:         40
        .size:           4
        .value_kind:     by_value
      - .offset:         44
        .size:           4
        .value_kind:     by_value
      - .offset:         48
        .size:           4
        .value_kind:     by_value
      - .actual_access:  write_only
        .address_space:  global
        .offset:         56
        .size:           8
        .value_kind:     global_buffer
      - .actual_access:  write_only
        .address_space:  global
        .offset:         64
        .size:           8
        .value_kind:     global_buffer
      - .actual_access:  write_only
        .address_space:  global
        .offset:         72
        .size:           8
        .value_kind:     global_buffer
    .group_segment_fixed_size: 0
    .kernarg_segment_align: 8
    .kernarg_segment_size: 80
    .language:       OpenCL C
    .language_version:
      - 2
      - 0
    .max_flat_workgroup_size: 1024
    .name:           _ZN9rocsparseL37gebsr2csr_block_per_row_33_128_kernelILi1024ELi8ELi128ELi8ELi32EdEEv20rocsparse_direction_ii21rocsparse_index_base_PKT4_PKiS7_iiS2_PS3_PiS9_
    .private_segment_fixed_size: 0
    .sgpr_count:     33
    .sgpr_spill_count: 0
    .symbol:         _ZN9rocsparseL37gebsr2csr_block_per_row_33_128_kernelILi1024ELi8ELi128ELi8ELi32EdEEv20rocsparse_direction_ii21rocsparse_index_base_PKT4_PKiS7_iiS2_PS3_PiS9_.kd
    .uniform_work_group_size: 1
    .uses_dynamic_stack: false
    .vgpr_count:     19
    .vgpr_spill_count: 0
    .wavefront_size: 64
  - .agpr_count:     0
    .args:
      - .offset:         0
        .size:           4
        .value_kind:     by_value
      - .offset:         4
        .size:           4
        .value_kind:     by_value
      - .offset:         8
        .size:           4
        .value_kind:     by_value
      - .offset:         12
        .size:           4
        .value_kind:     by_value
      - .actual_access:  read_only
        .address_space:  global
        .offset:         16
        .size:           8
        .value_kind:     global_buffer
      - .actual_access:  read_only
        .address_space:  global
        .offset:         24
        .size:           8
        .value_kind:     global_buffer
      - .actual_access:  read_only
        .address_space:  global
        .offset:         32
        .size:           8
        .value_kind:     global_buffer
      - .offset:         40
        .size:           4
        .value_kind:     by_value
      - .offset:         44
        .size:           4
        .value_kind:     by_value
      - .offset:         48
        .size:           4
        .value_kind:     by_value
      - .actual_access:  write_only
        .address_space:  global
        .offset:         56
        .size:           8
        .value_kind:     global_buffer
      - .actual_access:  write_only
        .address_space:  global
        .offset:         64
        .size:           8
        .value_kind:     global_buffer
      - .actual_access:  write_only
        .address_space:  global
        .offset:         72
        .size:           8
        .value_kind:     global_buffer
    .group_segment_fixed_size: 0
    .kernarg_segment_align: 8
    .kernarg_segment_size: 80
    .language:       OpenCL C
    .language_version:
      - 2
      - 0
    .max_flat_workgroup_size: 1024
    .name:           _ZN9rocsparseL35gebsr2csr_block_per_row_1_32_kernelILi1024ELi16ELi2EdEEv20rocsparse_direction_ii21rocsparse_index_base_PKT2_PKiS7_iiS2_PS3_PiS9_
    .private_segment_fixed_size: 0
    .sgpr_count:     23
    .sgpr_spill_count: 0
    .symbol:         _ZN9rocsparseL35gebsr2csr_block_per_row_1_32_kernelILi1024ELi16ELi2EdEEv20rocsparse_direction_ii21rocsparse_index_base_PKT2_PKiS7_iiS2_PS3_PiS9_.kd
    .uniform_work_group_size: 1
    .uses_dynamic_stack: false
    .vgpr_count:     20
    .vgpr_spill_count: 0
    .wavefront_size: 64
  - .agpr_count:     0
    .args:
      - .offset:         0
        .size:           4
        .value_kind:     by_value
      - .offset:         4
        .size:           4
        .value_kind:     by_value
      - .offset:         8
        .size:           4
        .value_kind:     by_value
      - .offset:         12
        .size:           4
        .value_kind:     by_value
      - .actual_access:  read_only
        .address_space:  global
        .offset:         16
        .size:           8
        .value_kind:     global_buffer
      - .actual_access:  read_only
        .address_space:  global
        .offset:         24
        .size:           8
        .value_kind:     global_buffer
      - .actual_access:  read_only
        .address_space:  global
        .offset:         32
        .size:           8
        .value_kind:     global_buffer
      - .offset:         40
        .size:           4
        .value_kind:     by_value
      - .offset:         44
        .size:           4
        .value_kind:     by_value
      - .offset:         48
        .size:           4
        .value_kind:     by_value
      - .actual_access:  write_only
        .address_space:  global
        .offset:         56
        .size:           8
        .value_kind:     global_buffer
      - .actual_access:  write_only
        .address_space:  global
        .offset:         64
        .size:           8
        .value_kind:     global_buffer
      - .actual_access:  write_only
        .address_space:  global
        .offset:         72
        .size:           8
        .value_kind:     global_buffer
    .group_segment_fixed_size: 0
    .kernarg_segment_align: 8
    .kernarg_segment_size: 80
    .language:       OpenCL C
    .language_version:
      - 2
      - 0
    .max_flat_workgroup_size: 1024
    .name:           _ZN9rocsparseL35gebsr2csr_block_per_row_1_32_kernelILi1024ELi16ELi4EdEEv20rocsparse_direction_ii21rocsparse_index_base_PKT2_PKiS7_iiS2_PS3_PiS9_
    .private_segment_fixed_size: 0
    .sgpr_count:     23
    .sgpr_spill_count: 0
    .symbol:         _ZN9rocsparseL35gebsr2csr_block_per_row_1_32_kernelILi1024ELi16ELi4EdEEv20rocsparse_direction_ii21rocsparse_index_base_PKT2_PKiS7_iiS2_PS3_PiS9_.kd
    .uniform_work_group_size: 1
    .uses_dynamic_stack: false
    .vgpr_count:     20
    .vgpr_spill_count: 0
    .wavefront_size: 64
  - .agpr_count:     0
    .args:
      - .offset:         0
        .size:           4
        .value_kind:     by_value
      - .offset:         4
        .size:           4
        .value_kind:     by_value
      - .offset:         8
        .size:           4
        .value_kind:     by_value
      - .offset:         12
        .size:           4
        .value_kind:     by_value
      - .actual_access:  read_only
        .address_space:  global
        .offset:         16
        .size:           8
        .value_kind:     global_buffer
      - .actual_access:  read_only
        .address_space:  global
        .offset:         24
        .size:           8
        .value_kind:     global_buffer
      - .actual_access:  read_only
        .address_space:  global
        .offset:         32
        .size:           8
        .value_kind:     global_buffer
      - .offset:         40
        .size:           4
        .value_kind:     by_value
      - .offset:         44
        .size:           4
        .value_kind:     by_value
      - .offset:         48
        .size:           4
        .value_kind:     by_value
      - .actual_access:  write_only
        .address_space:  global
        .offset:         56
        .size:           8
        .value_kind:     global_buffer
      - .actual_access:  write_only
        .address_space:  global
        .offset:         64
        .size:           8
        .value_kind:     global_buffer
      - .actual_access:  write_only
        .address_space:  global
        .offset:         72
        .size:           8
        .value_kind:     global_buffer
    .group_segment_fixed_size: 0
    .kernarg_segment_align: 8
    .kernarg_segment_size: 80
    .language:       OpenCL C
    .language_version:
      - 2
      - 0
    .max_flat_workgroup_size: 1024
    .name:           _ZN9rocsparseL35gebsr2csr_block_per_row_1_32_kernelILi1024ELi16ELi8EdEEv20rocsparse_direction_ii21rocsparse_index_base_PKT2_PKiS7_iiS2_PS3_PiS9_
    .private_segment_fixed_size: 0
    .sgpr_count:     23
    .sgpr_spill_count: 0
    .symbol:         _ZN9rocsparseL35gebsr2csr_block_per_row_1_32_kernelILi1024ELi16ELi8EdEEv20rocsparse_direction_ii21rocsparse_index_base_PKT2_PKiS7_iiS2_PS3_PiS9_.kd
    .uniform_work_group_size: 1
    .uses_dynamic_stack: false
    .vgpr_count:     20
    .vgpr_spill_count: 0
    .wavefront_size: 64
  - .agpr_count:     0
    .args:
      - .offset:         0
        .size:           4
        .value_kind:     by_value
      - .offset:         4
        .size:           4
        .value_kind:     by_value
      - .offset:         8
        .size:           4
        .value_kind:     by_value
      - .offset:         12
        .size:           4
        .value_kind:     by_value
      - .actual_access:  read_only
        .address_space:  global
        .offset:         16
        .size:           8
        .value_kind:     global_buffer
      - .actual_access:  read_only
        .address_space:  global
        .offset:         24
        .size:           8
        .value_kind:     global_buffer
      - .actual_access:  read_only
        .address_space:  global
        .offset:         32
        .size:           8
        .value_kind:     global_buffer
      - .offset:         40
        .size:           4
        .value_kind:     by_value
      - .offset:         44
        .size:           4
        .value_kind:     by_value
      - .offset:         48
        .size:           4
        .value_kind:     by_value
      - .actual_access:  write_only
        .address_space:  global
        .offset:         56
        .size:           8
        .value_kind:     global_buffer
      - .actual_access:  write_only
        .address_space:  global
        .offset:         64
        .size:           8
        .value_kind:     global_buffer
      - .actual_access:  write_only
        .address_space:  global
        .offset:         72
        .size:           8
        .value_kind:     global_buffer
    .group_segment_fixed_size: 0
    .kernarg_segment_align: 8
    .kernarg_segment_size: 80
    .language:       OpenCL C
    .language_version:
      - 2
      - 0
    .max_flat_workgroup_size: 1024
    .name:           _ZN9rocsparseL35gebsr2csr_block_per_row_1_32_kernelILi1024ELi16ELi16EdEEv20rocsparse_direction_ii21rocsparse_index_base_PKT2_PKiS7_iiS2_PS3_PiS9_
    .private_segment_fixed_size: 0
    .sgpr_count:     23
    .sgpr_spill_count: 0
    .symbol:         _ZN9rocsparseL35gebsr2csr_block_per_row_1_32_kernelILi1024ELi16ELi16EdEEv20rocsparse_direction_ii21rocsparse_index_base_PKT2_PKiS7_iiS2_PS3_PiS9_.kd
    .uniform_work_group_size: 1
    .uses_dynamic_stack: false
    .vgpr_count:     20
    .vgpr_spill_count: 0
    .wavefront_size: 64
  - .agpr_count:     0
    .args:
      - .offset:         0
        .size:           4
        .value_kind:     by_value
      - .offset:         4
        .size:           4
        .value_kind:     by_value
      - .offset:         8
        .size:           4
        .value_kind:     by_value
      - .offset:         12
        .size:           4
        .value_kind:     by_value
      - .actual_access:  read_only
        .address_space:  global
        .offset:         16
        .size:           8
        .value_kind:     global_buffer
      - .actual_access:  read_only
        .address_space:  global
        .offset:         24
        .size:           8
        .value_kind:     global_buffer
      - .actual_access:  read_only
        .address_space:  global
        .offset:         32
        .size:           8
        .value_kind:     global_buffer
      - .offset:         40
        .size:           4
        .value_kind:     by_value
      - .offset:         44
        .size:           4
        .value_kind:     by_value
      - .offset:         48
        .size:           4
        .value_kind:     by_value
      - .actual_access:  write_only
        .address_space:  global
        .offset:         56
        .size:           8
        .value_kind:     global_buffer
      - .actual_access:  write_only
        .address_space:  global
        .offset:         64
        .size:           8
        .value_kind:     global_buffer
      - .actual_access:  write_only
        .address_space:  global
        .offset:         72
        .size:           8
        .value_kind:     global_buffer
    .group_segment_fixed_size: 0
    .kernarg_segment_align: 8
    .kernarg_segment_size: 80
    .language:       OpenCL C
    .language_version:
      - 2
      - 0
    .max_flat_workgroup_size: 1024
    .name:           _ZN9rocsparseL35gebsr2csr_block_per_row_1_32_kernelILi1024ELi16ELi32EdEEv20rocsparse_direction_ii21rocsparse_index_base_PKT2_PKiS7_iiS2_PS3_PiS9_
    .private_segment_fixed_size: 0
    .sgpr_count:     23
    .sgpr_spill_count: 0
    .symbol:         _ZN9rocsparseL35gebsr2csr_block_per_row_1_32_kernelILi1024ELi16ELi32EdEEv20rocsparse_direction_ii21rocsparse_index_base_PKT2_PKiS7_iiS2_PS3_PiS9_.kd
    .uniform_work_group_size: 1
    .uses_dynamic_stack: false
    .vgpr_count:     20
    .vgpr_spill_count: 0
    .wavefront_size: 64
  - .agpr_count:     0
    .args:
      - .offset:         0
        .size:           4
        .value_kind:     by_value
      - .offset:         4
        .size:           4
        .value_kind:     by_value
      - .offset:         8
        .size:           4
        .value_kind:     by_value
      - .offset:         12
        .size:           4
        .value_kind:     by_value
      - .actual_access:  read_only
        .address_space:  global
        .offset:         16
        .size:           8
        .value_kind:     global_buffer
      - .actual_access:  read_only
        .address_space:  global
        .offset:         24
        .size:           8
        .value_kind:     global_buffer
      - .actual_access:  read_only
        .address_space:  global
        .offset:         32
        .size:           8
        .value_kind:     global_buffer
      - .offset:         40
        .size:           4
        .value_kind:     by_value
      - .offset:         44
        .size:           4
        .value_kind:     by_value
      - .offset:         48
        .size:           4
        .value_kind:     by_value
      - .actual_access:  write_only
        .address_space:  global
        .offset:         56
        .size:           8
        .value_kind:     global_buffer
      - .actual_access:  write_only
        .address_space:  global
        .offset:         64
        .size:           8
        .value_kind:     global_buffer
      - .actual_access:  write_only
        .address_space:  global
        .offset:         72
        .size:           8
        .value_kind:     global_buffer
    .group_segment_fixed_size: 0
    .kernarg_segment_align: 8
    .kernarg_segment_size: 80
    .language:       OpenCL C
    .language_version:
      - 2
      - 0
    .max_flat_workgroup_size: 1024
    .name:           _ZN9rocsparseL37gebsr2csr_block_per_row_33_128_kernelILi1024ELi16ELi64ELi16ELi32EdEEv20rocsparse_direction_ii21rocsparse_index_base_PKT4_PKiS7_iiS2_PS3_PiS9_
    .private_segment_fixed_size: 0
    .sgpr_count:     29
    .sgpr_spill_count: 0
    .symbol:         _ZN9rocsparseL37gebsr2csr_block_per_row_33_128_kernelILi1024ELi16ELi64ELi16ELi32EdEEv20rocsparse_direction_ii21rocsparse_index_base_PKT4_PKiS7_iiS2_PS3_PiS9_.kd
    .uniform_work_group_size: 1
    .uses_dynamic_stack: false
    .vgpr_count:     14
    .vgpr_spill_count: 0
    .wavefront_size: 64
  - .agpr_count:     0
    .args:
      - .offset:         0
        .size:           4
        .value_kind:     by_value
      - .offset:         4
        .size:           4
        .value_kind:     by_value
      - .offset:         8
        .size:           4
        .value_kind:     by_value
      - .offset:         12
        .size:           4
        .value_kind:     by_value
      - .actual_access:  read_only
        .address_space:  global
        .offset:         16
        .size:           8
        .value_kind:     global_buffer
      - .actual_access:  read_only
        .address_space:  global
        .offset:         24
        .size:           8
        .value_kind:     global_buffer
      - .actual_access:  read_only
        .address_space:  global
        .offset:         32
        .size:           8
        .value_kind:     global_buffer
      - .offset:         40
        .size:           4
        .value_kind:     by_value
      - .offset:         44
        .size:           4
        .value_kind:     by_value
      - .offset:         48
        .size:           4
        .value_kind:     by_value
      - .actual_access:  write_only
        .address_space:  global
        .offset:         56
        .size:           8
        .value_kind:     global_buffer
      - .actual_access:  write_only
        .address_space:  global
        .offset:         64
        .size:           8
        .value_kind:     global_buffer
      - .actual_access:  write_only
        .address_space:  global
        .offset:         72
        .size:           8
        .value_kind:     global_buffer
    .group_segment_fixed_size: 0
    .kernarg_segment_align: 8
    .kernarg_segment_size: 80
    .language:       OpenCL C
    .language_version:
      - 2
      - 0
    .max_flat_workgroup_size: 1024
    .name:           _ZN9rocsparseL37gebsr2csr_block_per_row_33_128_kernelILi1024ELi16ELi128ELi16ELi32EdEEv20rocsparse_direction_ii21rocsparse_index_base_PKT4_PKiS7_iiS2_PS3_PiS9_
    .private_segment_fixed_size: 0
    .sgpr_count:     33
    .sgpr_spill_count: 0
    .symbol:         _ZN9rocsparseL37gebsr2csr_block_per_row_33_128_kernelILi1024ELi16ELi128ELi16ELi32EdEEv20rocsparse_direction_ii21rocsparse_index_base_PKT4_PKiS7_iiS2_PS3_PiS9_.kd
    .uniform_work_group_size: 1
    .uses_dynamic_stack: false
    .vgpr_count:     19
    .vgpr_spill_count: 0
    .wavefront_size: 64
  - .agpr_count:     0
    .args:
      - .offset:         0
        .size:           4
        .value_kind:     by_value
      - .offset:         4
        .size:           4
        .value_kind:     by_value
      - .offset:         8
        .size:           4
        .value_kind:     by_value
      - .offset:         12
        .size:           4
        .value_kind:     by_value
      - .actual_access:  read_only
        .address_space:  global
        .offset:         16
        .size:           8
        .value_kind:     global_buffer
      - .actual_access:  read_only
        .address_space:  global
        .offset:         24
        .size:           8
        .value_kind:     global_buffer
      - .actual_access:  read_only
        .address_space:  global
        .offset:         32
        .size:           8
        .value_kind:     global_buffer
      - .offset:         40
        .size:           4
        .value_kind:     by_value
      - .offset:         44
        .size:           4
        .value_kind:     by_value
      - .offset:         48
        .size:           4
        .value_kind:     by_value
      - .actual_access:  write_only
        .address_space:  global
        .offset:         56
        .size:           8
        .value_kind:     global_buffer
      - .actual_access:  write_only
        .address_space:  global
        .offset:         64
        .size:           8
        .value_kind:     global_buffer
      - .actual_access:  write_only
        .address_space:  global
        .offset:         72
        .size:           8
        .value_kind:     global_buffer
    .group_segment_fixed_size: 0
    .kernarg_segment_align: 8
    .kernarg_segment_size: 80
    .language:       OpenCL C
    .language_version:
      - 2
      - 0
    .max_flat_workgroup_size: 1024
    .name:           _ZN9rocsparseL35gebsr2csr_block_per_row_1_32_kernelILi1024ELi32ELi2EdEEv20rocsparse_direction_ii21rocsparse_index_base_PKT2_PKiS7_iiS2_PS3_PiS9_
    .private_segment_fixed_size: 0
    .sgpr_count:     23
    .sgpr_spill_count: 0
    .symbol:         _ZN9rocsparseL35gebsr2csr_block_per_row_1_32_kernelILi1024ELi32ELi2EdEEv20rocsparse_direction_ii21rocsparse_index_base_PKT2_PKiS7_iiS2_PS3_PiS9_.kd
    .uniform_work_group_size: 1
    .uses_dynamic_stack: false
    .vgpr_count:     20
    .vgpr_spill_count: 0
    .wavefront_size: 64
  - .agpr_count:     0
    .args:
      - .offset:         0
        .size:           4
        .value_kind:     by_value
      - .offset:         4
        .size:           4
        .value_kind:     by_value
      - .offset:         8
        .size:           4
        .value_kind:     by_value
      - .offset:         12
        .size:           4
        .value_kind:     by_value
      - .actual_access:  read_only
        .address_space:  global
        .offset:         16
        .size:           8
        .value_kind:     global_buffer
      - .actual_access:  read_only
        .address_space:  global
        .offset:         24
        .size:           8
        .value_kind:     global_buffer
      - .actual_access:  read_only
        .address_space:  global
        .offset:         32
        .size:           8
        .value_kind:     global_buffer
      - .offset:         40
        .size:           4
        .value_kind:     by_value
      - .offset:         44
        .size:           4
        .value_kind:     by_value
      - .offset:         48
        .size:           4
        .value_kind:     by_value
      - .actual_access:  write_only
        .address_space:  global
        .offset:         56
        .size:           8
        .value_kind:     global_buffer
      - .actual_access:  write_only
        .address_space:  global
        .offset:         64
        .size:           8
        .value_kind:     global_buffer
      - .actual_access:  write_only
        .address_space:  global
        .offset:         72
        .size:           8
        .value_kind:     global_buffer
    .group_segment_fixed_size: 0
    .kernarg_segment_align: 8
    .kernarg_segment_size: 80
    .language:       OpenCL C
    .language_version:
      - 2
      - 0
    .max_flat_workgroup_size: 1024
    .name:           _ZN9rocsparseL35gebsr2csr_block_per_row_1_32_kernelILi1024ELi32ELi4EdEEv20rocsparse_direction_ii21rocsparse_index_base_PKT2_PKiS7_iiS2_PS3_PiS9_
    .private_segment_fixed_size: 0
    .sgpr_count:     23
    .sgpr_spill_count: 0
    .symbol:         _ZN9rocsparseL35gebsr2csr_block_per_row_1_32_kernelILi1024ELi32ELi4EdEEv20rocsparse_direction_ii21rocsparse_index_base_PKT2_PKiS7_iiS2_PS3_PiS9_.kd
    .uniform_work_group_size: 1
    .uses_dynamic_stack: false
    .vgpr_count:     20
    .vgpr_spill_count: 0
    .wavefront_size: 64
  - .agpr_count:     0
    .args:
      - .offset:         0
        .size:           4
        .value_kind:     by_value
      - .offset:         4
        .size:           4
        .value_kind:     by_value
      - .offset:         8
        .size:           4
        .value_kind:     by_value
      - .offset:         12
        .size:           4
        .value_kind:     by_value
      - .actual_access:  read_only
        .address_space:  global
        .offset:         16
        .size:           8
        .value_kind:     global_buffer
      - .actual_access:  read_only
        .address_space:  global
        .offset:         24
        .size:           8
        .value_kind:     global_buffer
      - .actual_access:  read_only
        .address_space:  global
        .offset:         32
        .size:           8
        .value_kind:     global_buffer
      - .offset:         40
        .size:           4
        .value_kind:     by_value
      - .offset:         44
        .size:           4
        .value_kind:     by_value
      - .offset:         48
        .size:           4
        .value_kind:     by_value
      - .actual_access:  write_only
        .address_space:  global
        .offset:         56
        .size:           8
        .value_kind:     global_buffer
      - .actual_access:  write_only
        .address_space:  global
        .offset:         64
        .size:           8
        .value_kind:     global_buffer
      - .actual_access:  write_only
        .address_space:  global
        .offset:         72
        .size:           8
        .value_kind:     global_buffer
    .group_segment_fixed_size: 0
    .kernarg_segment_align: 8
    .kernarg_segment_size: 80
    .language:       OpenCL C
    .language_version:
      - 2
      - 0
    .max_flat_workgroup_size: 1024
    .name:           _ZN9rocsparseL35gebsr2csr_block_per_row_1_32_kernelILi1024ELi32ELi8EdEEv20rocsparse_direction_ii21rocsparse_index_base_PKT2_PKiS7_iiS2_PS3_PiS9_
    .private_segment_fixed_size: 0
    .sgpr_count:     23
    .sgpr_spill_count: 0
    .symbol:         _ZN9rocsparseL35gebsr2csr_block_per_row_1_32_kernelILi1024ELi32ELi8EdEEv20rocsparse_direction_ii21rocsparse_index_base_PKT2_PKiS7_iiS2_PS3_PiS9_.kd
    .uniform_work_group_size: 1
    .uses_dynamic_stack: false
    .vgpr_count:     20
    .vgpr_spill_count: 0
    .wavefront_size: 64
  - .agpr_count:     0
    .args:
      - .offset:         0
        .size:           4
        .value_kind:     by_value
      - .offset:         4
        .size:           4
        .value_kind:     by_value
      - .offset:         8
        .size:           4
        .value_kind:     by_value
      - .offset:         12
        .size:           4
        .value_kind:     by_value
      - .actual_access:  read_only
        .address_space:  global
        .offset:         16
        .size:           8
        .value_kind:     global_buffer
      - .actual_access:  read_only
        .address_space:  global
        .offset:         24
        .size:           8
        .value_kind:     global_buffer
      - .actual_access:  read_only
        .address_space:  global
        .offset:         32
        .size:           8
        .value_kind:     global_buffer
      - .offset:         40
        .size:           4
        .value_kind:     by_value
      - .offset:         44
        .size:           4
        .value_kind:     by_value
      - .offset:         48
        .size:           4
        .value_kind:     by_value
      - .actual_access:  write_only
        .address_space:  global
        .offset:         56
        .size:           8
        .value_kind:     global_buffer
      - .actual_access:  write_only
        .address_space:  global
        .offset:         64
        .size:           8
        .value_kind:     global_buffer
      - .actual_access:  write_only
        .address_space:  global
        .offset:         72
        .size:           8
        .value_kind:     global_buffer
    .group_segment_fixed_size: 0
    .kernarg_segment_align: 8
    .kernarg_segment_size: 80
    .language:       OpenCL C
    .language_version:
      - 2
      - 0
    .max_flat_workgroup_size: 1024
    .name:           _ZN9rocsparseL35gebsr2csr_block_per_row_1_32_kernelILi1024ELi32ELi16EdEEv20rocsparse_direction_ii21rocsparse_index_base_PKT2_PKiS7_iiS2_PS3_PiS9_
    .private_segment_fixed_size: 0
    .sgpr_count:     23
    .sgpr_spill_count: 0
    .symbol:         _ZN9rocsparseL35gebsr2csr_block_per_row_1_32_kernelILi1024ELi32ELi16EdEEv20rocsparse_direction_ii21rocsparse_index_base_PKT2_PKiS7_iiS2_PS3_PiS9_.kd
    .uniform_work_group_size: 1
    .uses_dynamic_stack: false
    .vgpr_count:     20
    .vgpr_spill_count: 0
    .wavefront_size: 64
  - .agpr_count:     0
    .args:
      - .offset:         0
        .size:           4
        .value_kind:     by_value
      - .offset:         4
        .size:           4
        .value_kind:     by_value
      - .offset:         8
        .size:           4
        .value_kind:     by_value
      - .offset:         12
        .size:           4
        .value_kind:     by_value
      - .actual_access:  read_only
        .address_space:  global
        .offset:         16
        .size:           8
        .value_kind:     global_buffer
      - .actual_access:  read_only
        .address_space:  global
        .offset:         24
        .size:           8
        .value_kind:     global_buffer
      - .actual_access:  read_only
        .address_space:  global
        .offset:         32
        .size:           8
        .value_kind:     global_buffer
      - .offset:         40
        .size:           4
        .value_kind:     by_value
      - .offset:         44
        .size:           4
        .value_kind:     by_value
      - .offset:         48
        .size:           4
        .value_kind:     by_value
      - .actual_access:  write_only
        .address_space:  global
        .offset:         56
        .size:           8
        .value_kind:     global_buffer
      - .actual_access:  write_only
        .address_space:  global
        .offset:         64
        .size:           8
        .value_kind:     global_buffer
      - .actual_access:  write_only
        .address_space:  global
        .offset:         72
        .size:           8
        .value_kind:     global_buffer
    .group_segment_fixed_size: 0
    .kernarg_segment_align: 8
    .kernarg_segment_size: 80
    .language:       OpenCL C
    .language_version:
      - 2
      - 0
    .max_flat_workgroup_size: 1024
    .name:           _ZN9rocsparseL35gebsr2csr_block_per_row_1_32_kernelILi1024ELi32ELi32EdEEv20rocsparse_direction_ii21rocsparse_index_base_PKT2_PKiS7_iiS2_PS3_PiS9_
    .private_segment_fixed_size: 0
    .sgpr_count:     24
    .sgpr_spill_count: 0
    .symbol:         _ZN9rocsparseL35gebsr2csr_block_per_row_1_32_kernelILi1024ELi32ELi32EdEEv20rocsparse_direction_ii21rocsparse_index_base_PKT2_PKiS7_iiS2_PS3_PiS9_.kd
    .uniform_work_group_size: 1
    .uses_dynamic_stack: false
    .vgpr_count:     14
    .vgpr_spill_count: 0
    .wavefront_size: 64
  - .agpr_count:     0
    .args:
      - .offset:         0
        .size:           4
        .value_kind:     by_value
      - .offset:         4
        .size:           4
        .value_kind:     by_value
      - .offset:         8
        .size:           4
        .value_kind:     by_value
      - .offset:         12
        .size:           4
        .value_kind:     by_value
      - .actual_access:  read_only
        .address_space:  global
        .offset:         16
        .size:           8
        .value_kind:     global_buffer
      - .actual_access:  read_only
        .address_space:  global
        .offset:         24
        .size:           8
        .value_kind:     global_buffer
      - .actual_access:  read_only
        .address_space:  global
        .offset:         32
        .size:           8
        .value_kind:     global_buffer
      - .offset:         40
        .size:           4
        .value_kind:     by_value
      - .offset:         44
        .size:           4
        .value_kind:     by_value
      - .offset:         48
        .size:           4
        .value_kind:     by_value
      - .actual_access:  write_only
        .address_space:  global
        .offset:         56
        .size:           8
        .value_kind:     global_buffer
      - .actual_access:  write_only
        .address_space:  global
        .offset:         64
        .size:           8
        .value_kind:     global_buffer
      - .actual_access:  write_only
        .address_space:  global
        .offset:         72
        .size:           8
        .value_kind:     global_buffer
    .group_segment_fixed_size: 0
    .kernarg_segment_align: 8
    .kernarg_segment_size: 80
    .language:       OpenCL C
    .language_version:
      - 2
      - 0
    .max_flat_workgroup_size: 1024
    .name:           _ZN9rocsparseL37gebsr2csr_block_per_row_33_128_kernelILi1024ELi32ELi64ELi32ELi32EdEEv20rocsparse_direction_ii21rocsparse_index_base_PKT4_PKiS7_iiS2_PS3_PiS9_
    .private_segment_fixed_size: 0
    .sgpr_count:     29
    .sgpr_spill_count: 0
    .symbol:         _ZN9rocsparseL37gebsr2csr_block_per_row_33_128_kernelILi1024ELi32ELi64ELi32ELi32EdEEv20rocsparse_direction_ii21rocsparse_index_base_PKT4_PKiS7_iiS2_PS3_PiS9_.kd
    .uniform_work_group_size: 1
    .uses_dynamic_stack: false
    .vgpr_count:     14
    .vgpr_spill_count: 0
    .wavefront_size: 64
  - .agpr_count:     0
    .args:
      - .offset:         0
        .size:           4
        .value_kind:     by_value
      - .offset:         4
        .size:           4
        .value_kind:     by_value
      - .offset:         8
        .size:           4
        .value_kind:     by_value
      - .offset:         12
        .size:           4
        .value_kind:     by_value
      - .actual_access:  read_only
        .address_space:  global
        .offset:         16
        .size:           8
        .value_kind:     global_buffer
      - .actual_access:  read_only
        .address_space:  global
        .offset:         24
        .size:           8
        .value_kind:     global_buffer
      - .actual_access:  read_only
        .address_space:  global
        .offset:         32
        .size:           8
        .value_kind:     global_buffer
      - .offset:         40
        .size:           4
        .value_kind:     by_value
      - .offset:         44
        .size:           4
        .value_kind:     by_value
      - .offset:         48
        .size:           4
        .value_kind:     by_value
      - .actual_access:  write_only
        .address_space:  global
        .offset:         56
        .size:           8
        .value_kind:     global_buffer
      - .actual_access:  write_only
        .address_space:  global
        .offset:         64
        .size:           8
        .value_kind:     global_buffer
      - .actual_access:  write_only
        .address_space:  global
        .offset:         72
        .size:           8
        .value_kind:     global_buffer
    .group_segment_fixed_size: 0
    .kernarg_segment_align: 8
    .kernarg_segment_size: 80
    .language:       OpenCL C
    .language_version:
      - 2
      - 0
    .max_flat_workgroup_size: 1024
    .name:           _ZN9rocsparseL37gebsr2csr_block_per_row_33_128_kernelILi1024ELi32ELi128ELi32ELi32EdEEv20rocsparse_direction_ii21rocsparse_index_base_PKT4_PKiS7_iiS2_PS3_PiS9_
    .private_segment_fixed_size: 0
    .sgpr_count:     33
    .sgpr_spill_count: 0
    .symbol:         _ZN9rocsparseL37gebsr2csr_block_per_row_33_128_kernelILi1024ELi32ELi128ELi32ELi32EdEEv20rocsparse_direction_ii21rocsparse_index_base_PKT4_PKiS7_iiS2_PS3_PiS9_.kd
    .uniform_work_group_size: 1
    .uses_dynamic_stack: false
    .vgpr_count:     19
    .vgpr_spill_count: 0
    .wavefront_size: 64
  - .agpr_count:     0
    .args:
      - .offset:         0
        .size:           4
        .value_kind:     by_value
      - .offset:         4
        .size:           4
        .value_kind:     by_value
      - .offset:         8
        .size:           4
        .value_kind:     by_value
      - .offset:         12
        .size:           4
        .value_kind:     by_value
      - .actual_access:  read_only
        .address_space:  global
        .offset:         16
        .size:           8
        .value_kind:     global_buffer
      - .actual_access:  read_only
        .address_space:  global
        .offset:         24
        .size:           8
        .value_kind:     global_buffer
      - .actual_access:  read_only
        .address_space:  global
        .offset:         32
        .size:           8
        .value_kind:     global_buffer
      - .offset:         40
        .size:           4
        .value_kind:     by_value
      - .offset:         44
        .size:           4
        .value_kind:     by_value
      - .offset:         48
        .size:           4
        .value_kind:     by_value
      - .actual_access:  write_only
        .address_space:  global
        .offset:         56
        .size:           8
        .value_kind:     global_buffer
      - .actual_access:  write_only
        .address_space:  global
        .offset:         64
        .size:           8
        .value_kind:     global_buffer
      - .actual_access:  write_only
        .address_space:  global
        .offset:         72
        .size:           8
        .value_kind:     global_buffer
    .group_segment_fixed_size: 0
    .kernarg_segment_align: 8
    .kernarg_segment_size: 80
    .language:       OpenCL C
    .language_version:
      - 2
      - 0
    .max_flat_workgroup_size: 1024
    .name:           _ZN9rocsparseL37gebsr2csr_block_per_row_33_128_kernelILi1024ELi64ELi2ELi32ELi2EdEEv20rocsparse_direction_ii21rocsparse_index_base_PKT4_PKiS7_iiS2_PS3_PiS9_
    .private_segment_fixed_size: 0
    .sgpr_count:     33
    .sgpr_spill_count: 0
    .symbol:         _ZN9rocsparseL37gebsr2csr_block_per_row_33_128_kernelILi1024ELi64ELi2ELi32ELi2EdEEv20rocsparse_direction_ii21rocsparse_index_base_PKT4_PKiS7_iiS2_PS3_PiS9_.kd
    .uniform_work_group_size: 1
    .uses_dynamic_stack: false
    .vgpr_count:     15
    .vgpr_spill_count: 0
    .wavefront_size: 64
  - .agpr_count:     0
    .args:
      - .offset:         0
        .size:           4
        .value_kind:     by_value
      - .offset:         4
        .size:           4
        .value_kind:     by_value
      - .offset:         8
        .size:           4
        .value_kind:     by_value
      - .offset:         12
        .size:           4
        .value_kind:     by_value
      - .actual_access:  read_only
        .address_space:  global
        .offset:         16
        .size:           8
        .value_kind:     global_buffer
      - .actual_access:  read_only
        .address_space:  global
        .offset:         24
        .size:           8
        .value_kind:     global_buffer
      - .actual_access:  read_only
        .address_space:  global
        .offset:         32
        .size:           8
        .value_kind:     global_buffer
      - .offset:         40
        .size:           4
        .value_kind:     by_value
      - .offset:         44
        .size:           4
        .value_kind:     by_value
      - .offset:         48
        .size:           4
        .value_kind:     by_value
      - .actual_access:  write_only
        .address_space:  global
        .offset:         56
        .size:           8
        .value_kind:     global_buffer
      - .actual_access:  write_only
        .address_space:  global
        .offset:         64
        .size:           8
        .value_kind:     global_buffer
      - .actual_access:  write_only
        .address_space:  global
        .offset:         72
        .size:           8
        .value_kind:     global_buffer
    .group_segment_fixed_size: 0
    .kernarg_segment_align: 8
    .kernarg_segment_size: 80
    .language:       OpenCL C
    .language_version:
      - 2
      - 0
    .max_flat_workgroup_size: 1024
    .name:           _ZN9rocsparseL37gebsr2csr_block_per_row_33_128_kernelILi1024ELi64ELi4ELi32ELi4EdEEv20rocsparse_direction_ii21rocsparse_index_base_PKT4_PKiS7_iiS2_PS3_PiS9_
    .private_segment_fixed_size: 0
    .sgpr_count:     33
    .sgpr_spill_count: 0
    .symbol:         _ZN9rocsparseL37gebsr2csr_block_per_row_33_128_kernelILi1024ELi64ELi4ELi32ELi4EdEEv20rocsparse_direction_ii21rocsparse_index_base_PKT4_PKiS7_iiS2_PS3_PiS9_.kd
    .uniform_work_group_size: 1
    .uses_dynamic_stack: false
    .vgpr_count:     15
    .vgpr_spill_count: 0
    .wavefront_size: 64
  - .agpr_count:     0
    .args:
      - .offset:         0
        .size:           4
        .value_kind:     by_value
      - .offset:         4
        .size:           4
        .value_kind:     by_value
      - .offset:         8
        .size:           4
        .value_kind:     by_value
      - .offset:         12
        .size:           4
        .value_kind:     by_value
      - .actual_access:  read_only
        .address_space:  global
        .offset:         16
        .size:           8
        .value_kind:     global_buffer
      - .actual_access:  read_only
        .address_space:  global
        .offset:         24
        .size:           8
        .value_kind:     global_buffer
      - .actual_access:  read_only
        .address_space:  global
        .offset:         32
        .size:           8
        .value_kind:     global_buffer
      - .offset:         40
        .size:           4
        .value_kind:     by_value
      - .offset:         44
        .size:           4
        .value_kind:     by_value
      - .offset:         48
        .size:           4
        .value_kind:     by_value
      - .actual_access:  write_only
        .address_space:  global
        .offset:         56
        .size:           8
        .value_kind:     global_buffer
      - .actual_access:  write_only
        .address_space:  global
        .offset:         64
        .size:           8
        .value_kind:     global_buffer
      - .actual_access:  write_only
        .address_space:  global
        .offset:         72
        .size:           8
        .value_kind:     global_buffer
    .group_segment_fixed_size: 0
    .kernarg_segment_align: 8
    .kernarg_segment_size: 80
    .language:       OpenCL C
    .language_version:
      - 2
      - 0
    .max_flat_workgroup_size: 1024
    .name:           _ZN9rocsparseL37gebsr2csr_block_per_row_33_128_kernelILi1024ELi64ELi8ELi32ELi8EdEEv20rocsparse_direction_ii21rocsparse_index_base_PKT4_PKiS7_iiS2_PS3_PiS9_
    .private_segment_fixed_size: 0
    .sgpr_count:     33
    .sgpr_spill_count: 0
    .symbol:         _ZN9rocsparseL37gebsr2csr_block_per_row_33_128_kernelILi1024ELi64ELi8ELi32ELi8EdEEv20rocsparse_direction_ii21rocsparse_index_base_PKT4_PKiS7_iiS2_PS3_PiS9_.kd
    .uniform_work_group_size: 1
    .uses_dynamic_stack: false
    .vgpr_count:     15
    .vgpr_spill_count: 0
    .wavefront_size: 64
  - .agpr_count:     0
    .args:
      - .offset:         0
        .size:           4
        .value_kind:     by_value
      - .offset:         4
        .size:           4
        .value_kind:     by_value
      - .offset:         8
        .size:           4
        .value_kind:     by_value
      - .offset:         12
        .size:           4
        .value_kind:     by_value
      - .actual_access:  read_only
        .address_space:  global
        .offset:         16
        .size:           8
        .value_kind:     global_buffer
      - .actual_access:  read_only
        .address_space:  global
        .offset:         24
        .size:           8
        .value_kind:     global_buffer
      - .actual_access:  read_only
        .address_space:  global
        .offset:         32
        .size:           8
        .value_kind:     global_buffer
      - .offset:         40
        .size:           4
        .value_kind:     by_value
      - .offset:         44
        .size:           4
        .value_kind:     by_value
      - .offset:         48
        .size:           4
        .value_kind:     by_value
      - .actual_access:  write_only
        .address_space:  global
        .offset:         56
        .size:           8
        .value_kind:     global_buffer
      - .actual_access:  write_only
        .address_space:  global
        .offset:         64
        .size:           8
        .value_kind:     global_buffer
      - .actual_access:  write_only
        .address_space:  global
        .offset:         72
        .size:           8
        .value_kind:     global_buffer
    .group_segment_fixed_size: 0
    .kernarg_segment_align: 8
    .kernarg_segment_size: 80
    .language:       OpenCL C
    .language_version:
      - 2
      - 0
    .max_flat_workgroup_size: 1024
    .name:           _ZN9rocsparseL37gebsr2csr_block_per_row_33_128_kernelILi1024ELi64ELi16ELi32ELi16EdEEv20rocsparse_direction_ii21rocsparse_index_base_PKT4_PKiS7_iiS2_PS3_PiS9_
    .private_segment_fixed_size: 0
    .sgpr_count:     33
    .sgpr_spill_count: 0
    .symbol:         _ZN9rocsparseL37gebsr2csr_block_per_row_33_128_kernelILi1024ELi64ELi16ELi32ELi16EdEEv20rocsparse_direction_ii21rocsparse_index_base_PKT4_PKiS7_iiS2_PS3_PiS9_.kd
    .uniform_work_group_size: 1
    .uses_dynamic_stack: false
    .vgpr_count:     15
    .vgpr_spill_count: 0
    .wavefront_size: 64
  - .agpr_count:     0
    .args:
      - .offset:         0
        .size:           4
        .value_kind:     by_value
      - .offset:         4
        .size:           4
        .value_kind:     by_value
      - .offset:         8
        .size:           4
        .value_kind:     by_value
      - .offset:         12
        .size:           4
        .value_kind:     by_value
      - .actual_access:  read_only
        .address_space:  global
        .offset:         16
        .size:           8
        .value_kind:     global_buffer
      - .actual_access:  read_only
        .address_space:  global
        .offset:         24
        .size:           8
        .value_kind:     global_buffer
      - .actual_access:  read_only
        .address_space:  global
        .offset:         32
        .size:           8
        .value_kind:     global_buffer
      - .offset:         40
        .size:           4
        .value_kind:     by_value
      - .offset:         44
        .size:           4
        .value_kind:     by_value
      - .offset:         48
        .size:           4
        .value_kind:     by_value
      - .actual_access:  write_only
        .address_space:  global
        .offset:         56
        .size:           8
        .value_kind:     global_buffer
      - .actual_access:  write_only
        .address_space:  global
        .offset:         64
        .size:           8
        .value_kind:     global_buffer
      - .actual_access:  write_only
        .address_space:  global
        .offset:         72
        .size:           8
        .value_kind:     global_buffer
    .group_segment_fixed_size: 0
    .kernarg_segment_align: 8
    .kernarg_segment_size: 80
    .language:       OpenCL C
    .language_version:
      - 2
      - 0
    .max_flat_workgroup_size: 1024
    .name:           _ZN9rocsparseL37gebsr2csr_block_per_row_33_128_kernelILi1024ELi64ELi32ELi32ELi32EdEEv20rocsparse_direction_ii21rocsparse_index_base_PKT4_PKiS7_iiS2_PS3_PiS9_
    .private_segment_fixed_size: 0
    .sgpr_count:     33
    .sgpr_spill_count: 0
    .symbol:         _ZN9rocsparseL37gebsr2csr_block_per_row_33_128_kernelILi1024ELi64ELi32ELi32ELi32EdEEv20rocsparse_direction_ii21rocsparse_index_base_PKT4_PKiS7_iiS2_PS3_PiS9_.kd
    .uniform_work_group_size: 1
    .uses_dynamic_stack: false
    .vgpr_count:     15
    .vgpr_spill_count: 0
    .wavefront_size: 64
  - .agpr_count:     0
    .args:
      - .offset:         0
        .size:           4
        .value_kind:     by_value
      - .offset:         4
        .size:           4
        .value_kind:     by_value
      - .offset:         8
        .size:           4
        .value_kind:     by_value
      - .offset:         12
        .size:           4
        .value_kind:     by_value
      - .actual_access:  read_only
        .address_space:  global
        .offset:         16
        .size:           8
        .value_kind:     global_buffer
      - .actual_access:  read_only
        .address_space:  global
        .offset:         24
        .size:           8
        .value_kind:     global_buffer
      - .actual_access:  read_only
        .address_space:  global
        .offset:         32
        .size:           8
        .value_kind:     global_buffer
      - .offset:         40
        .size:           4
        .value_kind:     by_value
      - .offset:         44
        .size:           4
        .value_kind:     by_value
      - .offset:         48
        .size:           4
        .value_kind:     by_value
      - .actual_access:  write_only
        .address_space:  global
        .offset:         56
        .size:           8
        .value_kind:     global_buffer
      - .actual_access:  write_only
        .address_space:  global
        .offset:         64
        .size:           8
        .value_kind:     global_buffer
      - .actual_access:  write_only
        .address_space:  global
        .offset:         72
        .size:           8
        .value_kind:     global_buffer
    .group_segment_fixed_size: 0
    .kernarg_segment_align: 8
    .kernarg_segment_size: 80
    .language:       OpenCL C
    .language_version:
      - 2
      - 0
    .max_flat_workgroup_size: 1024
    .name:           _ZN9rocsparseL37gebsr2csr_block_per_row_33_128_kernelILi1024ELi64ELi64ELi32ELi32EdEEv20rocsparse_direction_ii21rocsparse_index_base_PKT4_PKiS7_iiS2_PS3_PiS9_
    .private_segment_fixed_size: 0
    .sgpr_count:     34
    .sgpr_spill_count: 0
    .symbol:         _ZN9rocsparseL37gebsr2csr_block_per_row_33_128_kernelILi1024ELi64ELi64ELi32ELi32EdEEv20rocsparse_direction_ii21rocsparse_index_base_PKT4_PKiS7_iiS2_PS3_PiS9_.kd
    .uniform_work_group_size: 1
    .uses_dynamic_stack: false
    .vgpr_count:     20
    .vgpr_spill_count: 0
    .wavefront_size: 64
  - .agpr_count:     0
    .args:
      - .offset:         0
        .size:           4
        .value_kind:     by_value
      - .offset:         4
        .size:           4
        .value_kind:     by_value
      - .offset:         8
        .size:           4
        .value_kind:     by_value
      - .offset:         12
        .size:           4
        .value_kind:     by_value
      - .actual_access:  read_only
        .address_space:  global
        .offset:         16
        .size:           8
        .value_kind:     global_buffer
      - .actual_access:  read_only
        .address_space:  global
        .offset:         24
        .size:           8
        .value_kind:     global_buffer
      - .actual_access:  read_only
        .address_space:  global
        .offset:         32
        .size:           8
        .value_kind:     global_buffer
      - .offset:         40
        .size:           4
        .value_kind:     by_value
      - .offset:         44
        .size:           4
        .value_kind:     by_value
      - .offset:         48
        .size:           4
        .value_kind:     by_value
      - .actual_access:  write_only
        .address_space:  global
        .offset:         56
        .size:           8
        .value_kind:     global_buffer
      - .actual_access:  write_only
        .address_space:  global
        .offset:         64
        .size:           8
        .value_kind:     global_buffer
      - .actual_access:  write_only
        .address_space:  global
        .offset:         72
        .size:           8
        .value_kind:     global_buffer
    .group_segment_fixed_size: 0
    .kernarg_segment_align: 8
    .kernarg_segment_size: 80
    .language:       OpenCL C
    .language_version:
      - 2
      - 0
    .max_flat_workgroup_size: 1024
    .name:           _ZN9rocsparseL37gebsr2csr_block_per_row_33_128_kernelILi1024ELi64ELi128ELi32ELi32EdEEv20rocsparse_direction_ii21rocsparse_index_base_PKT4_PKiS7_iiS2_PS3_PiS9_
    .private_segment_fixed_size: 0
    .sgpr_count:     46
    .sgpr_spill_count: 0
    .symbol:         _ZN9rocsparseL37gebsr2csr_block_per_row_33_128_kernelILi1024ELi64ELi128ELi32ELi32EdEEv20rocsparse_direction_ii21rocsparse_index_base_PKT4_PKiS7_iiS2_PS3_PiS9_.kd
    .uniform_work_group_size: 1
    .uses_dynamic_stack: false
    .vgpr_count:     25
    .vgpr_spill_count: 0
    .wavefront_size: 64
  - .agpr_count:     0
    .args:
      - .offset:         0
        .size:           4
        .value_kind:     by_value
      - .offset:         4
        .size:           4
        .value_kind:     by_value
      - .offset:         8
        .size:           4
        .value_kind:     by_value
      - .offset:         12
        .size:           4
        .value_kind:     by_value
      - .actual_access:  read_only
        .address_space:  global
        .offset:         16
        .size:           8
        .value_kind:     global_buffer
      - .actual_access:  read_only
        .address_space:  global
        .offset:         24
        .size:           8
        .value_kind:     global_buffer
      - .actual_access:  read_only
        .address_space:  global
        .offset:         32
        .size:           8
        .value_kind:     global_buffer
      - .offset:         40
        .size:           4
        .value_kind:     by_value
      - .offset:         44
        .size:           4
        .value_kind:     by_value
      - .offset:         48
        .size:           4
        .value_kind:     by_value
      - .actual_access:  write_only
        .address_space:  global
        .offset:         56
        .size:           8
        .value_kind:     global_buffer
      - .actual_access:  write_only
        .address_space:  global
        .offset:         64
        .size:           8
        .value_kind:     global_buffer
      - .actual_access:  write_only
        .address_space:  global
        .offset:         72
        .size:           8
        .value_kind:     global_buffer
    .group_segment_fixed_size: 0
    .kernarg_segment_align: 8
    .kernarg_segment_size: 80
    .language:       OpenCL C
    .language_version:
      - 2
      - 0
    .max_flat_workgroup_size: 1024
    .name:           _ZN9rocsparseL37gebsr2csr_block_per_row_33_128_kernelILi1024ELi128ELi2ELi32ELi2EdEEv20rocsparse_direction_ii21rocsparse_index_base_PKT4_PKiS7_iiS2_PS3_PiS9_
    .private_segment_fixed_size: 0
    .sgpr_count:     34
    .sgpr_spill_count: 0
    .symbol:         _ZN9rocsparseL37gebsr2csr_block_per_row_33_128_kernelILi1024ELi128ELi2ELi32ELi2EdEEv20rocsparse_direction_ii21rocsparse_index_base_PKT4_PKiS7_iiS2_PS3_PiS9_.kd
    .uniform_work_group_size: 1
    .uses_dynamic_stack: false
    .vgpr_count:     19
    .vgpr_spill_count: 0
    .wavefront_size: 64
  - .agpr_count:     0
    .args:
      - .offset:         0
        .size:           4
        .value_kind:     by_value
      - .offset:         4
        .size:           4
        .value_kind:     by_value
      - .offset:         8
        .size:           4
        .value_kind:     by_value
      - .offset:         12
        .size:           4
        .value_kind:     by_value
      - .actual_access:  read_only
        .address_space:  global
        .offset:         16
        .size:           8
        .value_kind:     global_buffer
      - .actual_access:  read_only
        .address_space:  global
        .offset:         24
        .size:           8
        .value_kind:     global_buffer
      - .actual_access:  read_only
        .address_space:  global
        .offset:         32
        .size:           8
        .value_kind:     global_buffer
      - .offset:         40
        .size:           4
        .value_kind:     by_value
      - .offset:         44
        .size:           4
        .value_kind:     by_value
      - .offset:         48
        .size:           4
        .value_kind:     by_value
      - .actual_access:  write_only
        .address_space:  global
        .offset:         56
        .size:           8
        .value_kind:     global_buffer
      - .actual_access:  write_only
        .address_space:  global
        .offset:         64
        .size:           8
        .value_kind:     global_buffer
      - .actual_access:  write_only
        .address_space:  global
        .offset:         72
        .size:           8
        .value_kind:     global_buffer
    .group_segment_fixed_size: 0
    .kernarg_segment_align: 8
    .kernarg_segment_size: 80
    .language:       OpenCL C
    .language_version:
      - 2
      - 0
    .max_flat_workgroup_size: 1024
    .name:           _ZN9rocsparseL37gebsr2csr_block_per_row_33_128_kernelILi1024ELi128ELi4ELi32ELi4EdEEv20rocsparse_direction_ii21rocsparse_index_base_PKT4_PKiS7_iiS2_PS3_PiS9_
    .private_segment_fixed_size: 0
    .sgpr_count:     34
    .sgpr_spill_count: 0
    .symbol:         _ZN9rocsparseL37gebsr2csr_block_per_row_33_128_kernelILi1024ELi128ELi4ELi32ELi4EdEEv20rocsparse_direction_ii21rocsparse_index_base_PKT4_PKiS7_iiS2_PS3_PiS9_.kd
    .uniform_work_group_size: 1
    .uses_dynamic_stack: false
    .vgpr_count:     19
    .vgpr_spill_count: 0
    .wavefront_size: 64
  - .agpr_count:     0
    .args:
      - .offset:         0
        .size:           4
        .value_kind:     by_value
      - .offset:         4
        .size:           4
        .value_kind:     by_value
      - .offset:         8
        .size:           4
        .value_kind:     by_value
      - .offset:         12
        .size:           4
        .value_kind:     by_value
      - .actual_access:  read_only
        .address_space:  global
        .offset:         16
        .size:           8
        .value_kind:     global_buffer
      - .actual_access:  read_only
        .address_space:  global
        .offset:         24
        .size:           8
        .value_kind:     global_buffer
      - .actual_access:  read_only
        .address_space:  global
        .offset:         32
        .size:           8
        .value_kind:     global_buffer
      - .offset:         40
        .size:           4
        .value_kind:     by_value
      - .offset:         44
        .size:           4
        .value_kind:     by_value
      - .offset:         48
        .size:           4
        .value_kind:     by_value
      - .actual_access:  write_only
        .address_space:  global
        .offset:         56
        .size:           8
        .value_kind:     global_buffer
      - .actual_access:  write_only
        .address_space:  global
        .offset:         64
        .size:           8
        .value_kind:     global_buffer
      - .actual_access:  write_only
        .address_space:  global
        .offset:         72
        .size:           8
        .value_kind:     global_buffer
    .group_segment_fixed_size: 0
    .kernarg_segment_align: 8
    .kernarg_segment_size: 80
    .language:       OpenCL C
    .language_version:
      - 2
      - 0
    .max_flat_workgroup_size: 1024
    .name:           _ZN9rocsparseL37gebsr2csr_block_per_row_33_128_kernelILi1024ELi128ELi8ELi32ELi8EdEEv20rocsparse_direction_ii21rocsparse_index_base_PKT4_PKiS7_iiS2_PS3_PiS9_
    .private_segment_fixed_size: 0
    .sgpr_count:     34
    .sgpr_spill_count: 0
    .symbol:         _ZN9rocsparseL37gebsr2csr_block_per_row_33_128_kernelILi1024ELi128ELi8ELi32ELi8EdEEv20rocsparse_direction_ii21rocsparse_index_base_PKT4_PKiS7_iiS2_PS3_PiS9_.kd
    .uniform_work_group_size: 1
    .uses_dynamic_stack: false
    .vgpr_count:     19
    .vgpr_spill_count: 0
    .wavefront_size: 64
  - .agpr_count:     0
    .args:
      - .offset:         0
        .size:           4
        .value_kind:     by_value
      - .offset:         4
        .size:           4
        .value_kind:     by_value
      - .offset:         8
        .size:           4
        .value_kind:     by_value
      - .offset:         12
        .size:           4
        .value_kind:     by_value
      - .actual_access:  read_only
        .address_space:  global
        .offset:         16
        .size:           8
        .value_kind:     global_buffer
      - .actual_access:  read_only
        .address_space:  global
        .offset:         24
        .size:           8
        .value_kind:     global_buffer
      - .actual_access:  read_only
        .address_space:  global
        .offset:         32
        .size:           8
        .value_kind:     global_buffer
      - .offset:         40
        .size:           4
        .value_kind:     by_value
      - .offset:         44
        .size:           4
        .value_kind:     by_value
      - .offset:         48
        .size:           4
        .value_kind:     by_value
      - .actual_access:  write_only
        .address_space:  global
        .offset:         56
        .size:           8
        .value_kind:     global_buffer
      - .actual_access:  write_only
        .address_space:  global
        .offset:         64
        .size:           8
        .value_kind:     global_buffer
      - .actual_access:  write_only
        .address_space:  global
        .offset:         72
        .size:           8
        .value_kind:     global_buffer
    .group_segment_fixed_size: 0
    .kernarg_segment_align: 8
    .kernarg_segment_size: 80
    .language:       OpenCL C
    .language_version:
      - 2
      - 0
    .max_flat_workgroup_size: 1024
    .name:           _ZN9rocsparseL37gebsr2csr_block_per_row_33_128_kernelILi1024ELi128ELi16ELi32ELi16EdEEv20rocsparse_direction_ii21rocsparse_index_base_PKT4_PKiS7_iiS2_PS3_PiS9_
    .private_segment_fixed_size: 0
    .sgpr_count:     34
    .sgpr_spill_count: 0
    .symbol:         _ZN9rocsparseL37gebsr2csr_block_per_row_33_128_kernelILi1024ELi128ELi16ELi32ELi16EdEEv20rocsparse_direction_ii21rocsparse_index_base_PKT4_PKiS7_iiS2_PS3_PiS9_.kd
    .uniform_work_group_size: 1
    .uses_dynamic_stack: false
    .vgpr_count:     19
    .vgpr_spill_count: 0
    .wavefront_size: 64
  - .agpr_count:     0
    .args:
      - .offset:         0
        .size:           4
        .value_kind:     by_value
      - .offset:         4
        .size:           4
        .value_kind:     by_value
      - .offset:         8
        .size:           4
        .value_kind:     by_value
      - .offset:         12
        .size:           4
        .value_kind:     by_value
      - .actual_access:  read_only
        .address_space:  global
        .offset:         16
        .size:           8
        .value_kind:     global_buffer
      - .actual_access:  read_only
        .address_space:  global
        .offset:         24
        .size:           8
        .value_kind:     global_buffer
      - .actual_access:  read_only
        .address_space:  global
        .offset:         32
        .size:           8
        .value_kind:     global_buffer
      - .offset:         40
        .size:           4
        .value_kind:     by_value
      - .offset:         44
        .size:           4
        .value_kind:     by_value
      - .offset:         48
        .size:           4
        .value_kind:     by_value
      - .actual_access:  write_only
        .address_space:  global
        .offset:         56
        .size:           8
        .value_kind:     global_buffer
      - .actual_access:  write_only
        .address_space:  global
        .offset:         64
        .size:           8
        .value_kind:     global_buffer
      - .actual_access:  write_only
        .address_space:  global
        .offset:         72
        .size:           8
        .value_kind:     global_buffer
    .group_segment_fixed_size: 0
    .kernarg_segment_align: 8
    .kernarg_segment_size: 80
    .language:       OpenCL C
    .language_version:
      - 2
      - 0
    .max_flat_workgroup_size: 1024
    .name:           _ZN9rocsparseL37gebsr2csr_block_per_row_33_128_kernelILi1024ELi128ELi32ELi32ELi32EdEEv20rocsparse_direction_ii21rocsparse_index_base_PKT4_PKiS7_iiS2_PS3_PiS9_
    .private_segment_fixed_size: 0
    .sgpr_count:     34
    .sgpr_spill_count: 0
    .symbol:         _ZN9rocsparseL37gebsr2csr_block_per_row_33_128_kernelILi1024ELi128ELi32ELi32ELi32EdEEv20rocsparse_direction_ii21rocsparse_index_base_PKT4_PKiS7_iiS2_PS3_PiS9_.kd
    .uniform_work_group_size: 1
    .uses_dynamic_stack: false
    .vgpr_count:     19
    .vgpr_spill_count: 0
    .wavefront_size: 64
  - .agpr_count:     0
    .args:
      - .offset:         0
        .size:           4
        .value_kind:     by_value
      - .offset:         4
        .size:           4
        .value_kind:     by_value
      - .offset:         8
        .size:           4
        .value_kind:     by_value
      - .offset:         12
        .size:           4
        .value_kind:     by_value
      - .actual_access:  read_only
        .address_space:  global
        .offset:         16
        .size:           8
        .value_kind:     global_buffer
      - .actual_access:  read_only
        .address_space:  global
        .offset:         24
        .size:           8
        .value_kind:     global_buffer
      - .actual_access:  read_only
        .address_space:  global
        .offset:         32
        .size:           8
        .value_kind:     global_buffer
      - .offset:         40
        .size:           4
        .value_kind:     by_value
      - .offset:         44
        .size:           4
        .value_kind:     by_value
      - .offset:         48
        .size:           4
        .value_kind:     by_value
      - .actual_access:  write_only
        .address_space:  global
        .offset:         56
        .size:           8
        .value_kind:     global_buffer
      - .actual_access:  write_only
        .address_space:  global
        .offset:         64
        .size:           8
        .value_kind:     global_buffer
      - .actual_access:  write_only
        .address_space:  global
        .offset:         72
        .size:           8
        .value_kind:     global_buffer
    .group_segment_fixed_size: 0
    .kernarg_segment_align: 8
    .kernarg_segment_size: 80
    .language:       OpenCL C
    .language_version:
      - 2
      - 0
    .max_flat_workgroup_size: 1024
    .name:           _ZN9rocsparseL37gebsr2csr_block_per_row_33_128_kernelILi1024ELi128ELi64ELi32ELi32EdEEv20rocsparse_direction_ii21rocsparse_index_base_PKT4_PKiS7_iiS2_PS3_PiS9_
    .private_segment_fixed_size: 0
    .sgpr_count:     44
    .sgpr_spill_count: 0
    .symbol:         _ZN9rocsparseL37gebsr2csr_block_per_row_33_128_kernelILi1024ELi128ELi64ELi32ELi32EdEEv20rocsparse_direction_ii21rocsparse_index_base_PKT4_PKiS7_iiS2_PS3_PiS9_.kd
    .uniform_work_group_size: 1
    .uses_dynamic_stack: false
    .vgpr_count:     24
    .vgpr_spill_count: 0
    .wavefront_size: 64
  - .agpr_count:     0
    .args:
      - .offset:         0
        .size:           4
        .value_kind:     by_value
      - .offset:         4
        .size:           4
        .value_kind:     by_value
      - .offset:         8
        .size:           4
        .value_kind:     by_value
      - .offset:         12
        .size:           4
        .value_kind:     by_value
      - .actual_access:  read_only
        .address_space:  global
        .offset:         16
        .size:           8
        .value_kind:     global_buffer
      - .actual_access:  read_only
        .address_space:  global
        .offset:         24
        .size:           8
        .value_kind:     global_buffer
      - .actual_access:  read_only
        .address_space:  global
        .offset:         32
        .size:           8
        .value_kind:     global_buffer
      - .offset:         40
        .size:           4
        .value_kind:     by_value
      - .offset:         44
        .size:           4
        .value_kind:     by_value
      - .offset:         48
        .size:           4
        .value_kind:     by_value
      - .actual_access:  write_only
        .address_space:  global
        .offset:         56
        .size:           8
        .value_kind:     global_buffer
      - .actual_access:  write_only
        .address_space:  global
        .offset:         64
        .size:           8
        .value_kind:     global_buffer
      - .actual_access:  write_only
        .address_space:  global
        .offset:         72
        .size:           8
        .value_kind:     global_buffer
    .group_segment_fixed_size: 0
    .kernarg_segment_align: 8
    .kernarg_segment_size: 80
    .language:       OpenCL C
    .language_version:
      - 2
      - 0
    .max_flat_workgroup_size: 1024
    .name:           _ZN9rocsparseL37gebsr2csr_block_per_row_33_128_kernelILi1024ELi128ELi128ELi32ELi32EdEEv20rocsparse_direction_ii21rocsparse_index_base_PKT4_PKiS7_iiS2_PS3_PiS9_
    .private_segment_fixed_size: 0
    .sgpr_count:     62
    .sgpr_spill_count: 0
    .symbol:         _ZN9rocsparseL37gebsr2csr_block_per_row_33_128_kernelILi1024ELi128ELi128ELi32ELi32EdEEv20rocsparse_direction_ii21rocsparse_index_base_PKT4_PKiS7_iiS2_PS3_PiS9_.kd
    .uniform_work_group_size: 1
    .uses_dynamic_stack: false
    .vgpr_count:     32
    .vgpr_spill_count: 0
    .wavefront_size: 64
  - .agpr_count:     0
    .args:
      - .offset:         0
        .size:           4
        .value_kind:     by_value
      - .offset:         4
        .size:           4
        .value_kind:     by_value
      - .offset:         8
        .size:           4
        .value_kind:     by_value
      - .offset:         12
        .size:           4
        .value_kind:     by_value
      - .actual_access:  read_only
        .address_space:  global
        .offset:         16
        .size:           8
        .value_kind:     global_buffer
      - .actual_access:  read_only
        .address_space:  global
        .offset:         24
        .size:           8
        .value_kind:     global_buffer
      - .actual_access:  read_only
        .address_space:  global
        .offset:         32
        .size:           8
        .value_kind:     global_buffer
      - .offset:         40
        .size:           4
        .value_kind:     by_value
      - .offset:         44
        .size:           4
        .value_kind:     by_value
      - .offset:         48
        .size:           4
        .value_kind:     by_value
      - .actual_access:  write_only
        .address_space:  global
        .offset:         56
        .size:           8
        .value_kind:     global_buffer
      - .actual_access:  write_only
        .address_space:  global
        .offset:         64
        .size:           8
        .value_kind:     global_buffer
      - .actual_access:  write_only
        .address_space:  global
        .offset:         72
        .size:           8
        .value_kind:     global_buffer
    .group_segment_fixed_size: 0
    .kernarg_segment_align: 8
    .kernarg_segment_size: 80
    .language:       OpenCL C
    .language_version:
      - 2
      - 0
    .max_flat_workgroup_size: 256
    .name:           _ZN9rocsparseL35gebsr2csr_block_per_row_1_32_kernelILi256ELi2ELi2E21rocsparse_complex_numIfEEEv20rocsparse_direction_ii21rocsparse_index_base_PKT2_PKiS9_iiS4_PS5_PiSB_
    .private_segment_fixed_size: 0
    .sgpr_count:     23
    .sgpr_spill_count: 0
    .symbol:         _ZN9rocsparseL35gebsr2csr_block_per_row_1_32_kernelILi256ELi2ELi2E21rocsparse_complex_numIfEEEv20rocsparse_direction_ii21rocsparse_index_base_PKT2_PKiS9_iiS4_PS5_PiSB_.kd
    .uniform_work_group_size: 1
    .uses_dynamic_stack: false
    .vgpr_count:     20
    .vgpr_spill_count: 0
    .wavefront_size: 64
  - .agpr_count:     0
    .args:
      - .offset:         0
        .size:           4
        .value_kind:     by_value
      - .offset:         4
        .size:           4
        .value_kind:     by_value
      - .offset:         8
        .size:           4
        .value_kind:     by_value
      - .offset:         12
        .size:           4
        .value_kind:     by_value
      - .actual_access:  read_only
        .address_space:  global
        .offset:         16
        .size:           8
        .value_kind:     global_buffer
      - .actual_access:  read_only
        .address_space:  global
        .offset:         24
        .size:           8
        .value_kind:     global_buffer
      - .actual_access:  read_only
        .address_space:  global
        .offset:         32
        .size:           8
        .value_kind:     global_buffer
      - .offset:         40
        .size:           4
        .value_kind:     by_value
      - .offset:         44
        .size:           4
        .value_kind:     by_value
      - .offset:         48
        .size:           4
        .value_kind:     by_value
      - .actual_access:  write_only
        .address_space:  global
        .offset:         56
        .size:           8
        .value_kind:     global_buffer
      - .actual_access:  write_only
        .address_space:  global
        .offset:         64
        .size:           8
        .value_kind:     global_buffer
      - .actual_access:  write_only
        .address_space:  global
        .offset:         72
        .size:           8
        .value_kind:     global_buffer
    .group_segment_fixed_size: 0
    .kernarg_segment_align: 8
    .kernarg_segment_size: 80
    .language:       OpenCL C
    .language_version:
      - 2
      - 0
    .max_flat_workgroup_size: 256
    .name:           _ZN9rocsparseL35gebsr2csr_block_per_row_1_32_kernelILi256ELi2ELi4E21rocsparse_complex_numIfEEEv20rocsparse_direction_ii21rocsparse_index_base_PKT2_PKiS9_iiS4_PS5_PiSB_
    .private_segment_fixed_size: 0
    .sgpr_count:     23
    .sgpr_spill_count: 0
    .symbol:         _ZN9rocsparseL35gebsr2csr_block_per_row_1_32_kernelILi256ELi2ELi4E21rocsparse_complex_numIfEEEv20rocsparse_direction_ii21rocsparse_index_base_PKT2_PKiS9_iiS4_PS5_PiSB_.kd
    .uniform_work_group_size: 1
    .uses_dynamic_stack: false
    .vgpr_count:     20
    .vgpr_spill_count: 0
    .wavefront_size: 64
  - .agpr_count:     0
    .args:
      - .offset:         0
        .size:           4
        .value_kind:     by_value
      - .offset:         4
        .size:           4
        .value_kind:     by_value
      - .offset:         8
        .size:           4
        .value_kind:     by_value
      - .offset:         12
        .size:           4
        .value_kind:     by_value
      - .actual_access:  read_only
        .address_space:  global
        .offset:         16
        .size:           8
        .value_kind:     global_buffer
      - .actual_access:  read_only
        .address_space:  global
        .offset:         24
        .size:           8
        .value_kind:     global_buffer
      - .actual_access:  read_only
        .address_space:  global
        .offset:         32
        .size:           8
        .value_kind:     global_buffer
      - .offset:         40
        .size:           4
        .value_kind:     by_value
      - .offset:         44
        .size:           4
        .value_kind:     by_value
      - .offset:         48
        .size:           4
        .value_kind:     by_value
      - .actual_access:  write_only
        .address_space:  global
        .offset:         56
        .size:           8
        .value_kind:     global_buffer
      - .actual_access:  write_only
        .address_space:  global
        .offset:         64
        .size:           8
        .value_kind:     global_buffer
      - .actual_access:  write_only
        .address_space:  global
        .offset:         72
        .size:           8
        .value_kind:     global_buffer
    .group_segment_fixed_size: 0
    .kernarg_segment_align: 8
    .kernarg_segment_size: 80
    .language:       OpenCL C
    .language_version:
      - 2
      - 0
    .max_flat_workgroup_size: 256
    .name:           _ZN9rocsparseL35gebsr2csr_block_per_row_1_32_kernelILi256ELi2ELi8E21rocsparse_complex_numIfEEEv20rocsparse_direction_ii21rocsparse_index_base_PKT2_PKiS9_iiS4_PS5_PiSB_
    .private_segment_fixed_size: 0
    .sgpr_count:     23
    .sgpr_spill_count: 0
    .symbol:         _ZN9rocsparseL35gebsr2csr_block_per_row_1_32_kernelILi256ELi2ELi8E21rocsparse_complex_numIfEEEv20rocsparse_direction_ii21rocsparse_index_base_PKT2_PKiS9_iiS4_PS5_PiSB_.kd
    .uniform_work_group_size: 1
    .uses_dynamic_stack: false
    .vgpr_count:     20
    .vgpr_spill_count: 0
    .wavefront_size: 64
  - .agpr_count:     0
    .args:
      - .offset:         0
        .size:           4
        .value_kind:     by_value
      - .offset:         4
        .size:           4
        .value_kind:     by_value
      - .offset:         8
        .size:           4
        .value_kind:     by_value
      - .offset:         12
        .size:           4
        .value_kind:     by_value
      - .actual_access:  read_only
        .address_space:  global
        .offset:         16
        .size:           8
        .value_kind:     global_buffer
      - .actual_access:  read_only
        .address_space:  global
        .offset:         24
        .size:           8
        .value_kind:     global_buffer
      - .actual_access:  read_only
        .address_space:  global
        .offset:         32
        .size:           8
        .value_kind:     global_buffer
      - .offset:         40
        .size:           4
        .value_kind:     by_value
      - .offset:         44
        .size:           4
        .value_kind:     by_value
      - .offset:         48
        .size:           4
        .value_kind:     by_value
      - .actual_access:  write_only
        .address_space:  global
        .offset:         56
        .size:           8
        .value_kind:     global_buffer
      - .actual_access:  write_only
        .address_space:  global
        .offset:         64
        .size:           8
        .value_kind:     global_buffer
      - .actual_access:  write_only
        .address_space:  global
        .offset:         72
        .size:           8
        .value_kind:     global_buffer
    .group_segment_fixed_size: 0
    .kernarg_segment_align: 8
    .kernarg_segment_size: 80
    .language:       OpenCL C
    .language_version:
      - 2
      - 0
    .max_flat_workgroup_size: 256
    .name:           _ZN9rocsparseL35gebsr2csr_block_per_row_1_32_kernelILi256ELi2ELi16E21rocsparse_complex_numIfEEEv20rocsparse_direction_ii21rocsparse_index_base_PKT2_PKiS9_iiS4_PS5_PiSB_
    .private_segment_fixed_size: 0
    .sgpr_count:     23
    .sgpr_spill_count: 0
    .symbol:         _ZN9rocsparseL35gebsr2csr_block_per_row_1_32_kernelILi256ELi2ELi16E21rocsparse_complex_numIfEEEv20rocsparse_direction_ii21rocsparse_index_base_PKT2_PKiS9_iiS4_PS5_PiSB_.kd
    .uniform_work_group_size: 1
    .uses_dynamic_stack: false
    .vgpr_count:     20
    .vgpr_spill_count: 0
    .wavefront_size: 64
  - .agpr_count:     0
    .args:
      - .offset:         0
        .size:           4
        .value_kind:     by_value
      - .offset:         4
        .size:           4
        .value_kind:     by_value
      - .offset:         8
        .size:           4
        .value_kind:     by_value
      - .offset:         12
        .size:           4
        .value_kind:     by_value
      - .actual_access:  read_only
        .address_space:  global
        .offset:         16
        .size:           8
        .value_kind:     global_buffer
      - .actual_access:  read_only
        .address_space:  global
        .offset:         24
        .size:           8
        .value_kind:     global_buffer
      - .actual_access:  read_only
        .address_space:  global
        .offset:         32
        .size:           8
        .value_kind:     global_buffer
      - .offset:         40
        .size:           4
        .value_kind:     by_value
      - .offset:         44
        .size:           4
        .value_kind:     by_value
      - .offset:         48
        .size:           4
        .value_kind:     by_value
      - .actual_access:  write_only
        .address_space:  global
        .offset:         56
        .size:           8
        .value_kind:     global_buffer
      - .actual_access:  write_only
        .address_space:  global
        .offset:         64
        .size:           8
        .value_kind:     global_buffer
      - .actual_access:  write_only
        .address_space:  global
        .offset:         72
        .size:           8
        .value_kind:     global_buffer
    .group_segment_fixed_size: 0
    .kernarg_segment_align: 8
    .kernarg_segment_size: 80
    .language:       OpenCL C
    .language_version:
      - 2
      - 0
    .max_flat_workgroup_size: 256
    .name:           _ZN9rocsparseL35gebsr2csr_block_per_row_1_32_kernelILi256ELi2ELi32E21rocsparse_complex_numIfEEEv20rocsparse_direction_ii21rocsparse_index_base_PKT2_PKiS9_iiS4_PS5_PiSB_
    .private_segment_fixed_size: 0
    .sgpr_count:     23
    .sgpr_spill_count: 0
    .symbol:         _ZN9rocsparseL35gebsr2csr_block_per_row_1_32_kernelILi256ELi2ELi32E21rocsparse_complex_numIfEEEv20rocsparse_direction_ii21rocsparse_index_base_PKT2_PKiS9_iiS4_PS5_PiSB_.kd
    .uniform_work_group_size: 1
    .uses_dynamic_stack: false
    .vgpr_count:     20
    .vgpr_spill_count: 0
    .wavefront_size: 64
  - .agpr_count:     0
    .args:
      - .offset:         0
        .size:           4
        .value_kind:     by_value
      - .offset:         4
        .size:           4
        .value_kind:     by_value
      - .offset:         8
        .size:           4
        .value_kind:     by_value
      - .offset:         12
        .size:           4
        .value_kind:     by_value
      - .actual_access:  read_only
        .address_space:  global
        .offset:         16
        .size:           8
        .value_kind:     global_buffer
      - .actual_access:  read_only
        .address_space:  global
        .offset:         24
        .size:           8
        .value_kind:     global_buffer
      - .actual_access:  read_only
        .address_space:  global
        .offset:         32
        .size:           8
        .value_kind:     global_buffer
      - .offset:         40
        .size:           4
        .value_kind:     by_value
      - .offset:         44
        .size:           4
        .value_kind:     by_value
      - .offset:         48
        .size:           4
        .value_kind:     by_value
      - .actual_access:  write_only
        .address_space:  global
        .offset:         56
        .size:           8
        .value_kind:     global_buffer
      - .actual_access:  write_only
        .address_space:  global
        .offset:         64
        .size:           8
        .value_kind:     global_buffer
      - .actual_access:  write_only
        .address_space:  global
        .offset:         72
        .size:           8
        .value_kind:     global_buffer
    .group_segment_fixed_size: 0
    .kernarg_segment_align: 8
    .kernarg_segment_size: 80
    .language:       OpenCL C
    .language_version:
      - 2
      - 0
    .max_flat_workgroup_size: 256
    .name:           _ZN9rocsparseL37gebsr2csr_block_per_row_33_128_kernelILi256ELi2ELi64ELi2ELi32E21rocsparse_complex_numIfEEEv20rocsparse_direction_ii21rocsparse_index_base_PKT4_PKiS9_iiS4_PS5_PiSB_
    .private_segment_fixed_size: 0
    .sgpr_count:     29
    .sgpr_spill_count: 0
    .symbol:         _ZN9rocsparseL37gebsr2csr_block_per_row_33_128_kernelILi256ELi2ELi64ELi2ELi32E21rocsparse_complex_numIfEEEv20rocsparse_direction_ii21rocsparse_index_base_PKT4_PKiS9_iiS4_PS5_PiSB_.kd
    .uniform_work_group_size: 1
    .uses_dynamic_stack: false
    .vgpr_count:     14
    .vgpr_spill_count: 0
    .wavefront_size: 64
  - .agpr_count:     0
    .args:
      - .offset:         0
        .size:           4
        .value_kind:     by_value
      - .offset:         4
        .size:           4
        .value_kind:     by_value
      - .offset:         8
        .size:           4
        .value_kind:     by_value
      - .offset:         12
        .size:           4
        .value_kind:     by_value
      - .actual_access:  read_only
        .address_space:  global
        .offset:         16
        .size:           8
        .value_kind:     global_buffer
      - .actual_access:  read_only
        .address_space:  global
        .offset:         24
        .size:           8
        .value_kind:     global_buffer
      - .actual_access:  read_only
        .address_space:  global
        .offset:         32
        .size:           8
        .value_kind:     global_buffer
      - .offset:         40
        .size:           4
        .value_kind:     by_value
      - .offset:         44
        .size:           4
        .value_kind:     by_value
      - .offset:         48
        .size:           4
        .value_kind:     by_value
      - .actual_access:  write_only
        .address_space:  global
        .offset:         56
        .size:           8
        .value_kind:     global_buffer
      - .actual_access:  write_only
        .address_space:  global
        .offset:         64
        .size:           8
        .value_kind:     global_buffer
      - .actual_access:  write_only
        .address_space:  global
        .offset:         72
        .size:           8
        .value_kind:     global_buffer
    .group_segment_fixed_size: 0
    .kernarg_segment_align: 8
    .kernarg_segment_size: 80
    .language:       OpenCL C
    .language_version:
      - 2
      - 0
    .max_flat_workgroup_size: 256
    .name:           _ZN9rocsparseL37gebsr2csr_block_per_row_33_128_kernelILi256ELi2ELi128ELi2ELi32E21rocsparse_complex_numIfEEEv20rocsparse_direction_ii21rocsparse_index_base_PKT4_PKiS9_iiS4_PS5_PiSB_
    .private_segment_fixed_size: 0
    .sgpr_count:     33
    .sgpr_spill_count: 0
    .symbol:         _ZN9rocsparseL37gebsr2csr_block_per_row_33_128_kernelILi256ELi2ELi128ELi2ELi32E21rocsparse_complex_numIfEEEv20rocsparse_direction_ii21rocsparse_index_base_PKT4_PKiS9_iiS4_PS5_PiSB_.kd
    .uniform_work_group_size: 1
    .uses_dynamic_stack: false
    .vgpr_count:     19
    .vgpr_spill_count: 0
    .wavefront_size: 64
  - .agpr_count:     0
    .args:
      - .offset:         0
        .size:           4
        .value_kind:     by_value
      - .offset:         4
        .size:           4
        .value_kind:     by_value
      - .offset:         8
        .size:           4
        .value_kind:     by_value
      - .offset:         12
        .size:           4
        .value_kind:     by_value
      - .actual_access:  read_only
        .address_space:  global
        .offset:         16
        .size:           8
        .value_kind:     global_buffer
      - .actual_access:  read_only
        .address_space:  global
        .offset:         24
        .size:           8
        .value_kind:     global_buffer
      - .actual_access:  read_only
        .address_space:  global
        .offset:         32
        .size:           8
        .value_kind:     global_buffer
      - .offset:         40
        .size:           4
        .value_kind:     by_value
      - .offset:         44
        .size:           4
        .value_kind:     by_value
      - .offset:         48
        .size:           4
        .value_kind:     by_value
      - .actual_access:  write_only
        .address_space:  global
        .offset:         56
        .size:           8
        .value_kind:     global_buffer
      - .actual_access:  write_only
        .address_space:  global
        .offset:         64
        .size:           8
        .value_kind:     global_buffer
      - .actual_access:  write_only
        .address_space:  global
        .offset:         72
        .size:           8
        .value_kind:     global_buffer
    .group_segment_fixed_size: 0
    .kernarg_segment_align: 8
    .kernarg_segment_size: 80
    .language:       OpenCL C
    .language_version:
      - 2
      - 0
    .max_flat_workgroup_size: 256
    .name:           _ZN9rocsparseL35gebsr2csr_block_per_row_1_32_kernelILi256ELi4ELi2E21rocsparse_complex_numIfEEEv20rocsparse_direction_ii21rocsparse_index_base_PKT2_PKiS9_iiS4_PS5_PiSB_
    .private_segment_fixed_size: 0
    .sgpr_count:     23
    .sgpr_spill_count: 0
    .symbol:         _ZN9rocsparseL35gebsr2csr_block_per_row_1_32_kernelILi256ELi4ELi2E21rocsparse_complex_numIfEEEv20rocsparse_direction_ii21rocsparse_index_base_PKT2_PKiS9_iiS4_PS5_PiSB_.kd
    .uniform_work_group_size: 1
    .uses_dynamic_stack: false
    .vgpr_count:     20
    .vgpr_spill_count: 0
    .wavefront_size: 64
  - .agpr_count:     0
    .args:
      - .offset:         0
        .size:           4
        .value_kind:     by_value
      - .offset:         4
        .size:           4
        .value_kind:     by_value
      - .offset:         8
        .size:           4
        .value_kind:     by_value
      - .offset:         12
        .size:           4
        .value_kind:     by_value
      - .actual_access:  read_only
        .address_space:  global
        .offset:         16
        .size:           8
        .value_kind:     global_buffer
      - .actual_access:  read_only
        .address_space:  global
        .offset:         24
        .size:           8
        .value_kind:     global_buffer
      - .actual_access:  read_only
        .address_space:  global
        .offset:         32
        .size:           8
        .value_kind:     global_buffer
      - .offset:         40
        .size:           4
        .value_kind:     by_value
      - .offset:         44
        .size:           4
        .value_kind:     by_value
      - .offset:         48
        .size:           4
        .value_kind:     by_value
      - .actual_access:  write_only
        .address_space:  global
        .offset:         56
        .size:           8
        .value_kind:     global_buffer
      - .actual_access:  write_only
        .address_space:  global
        .offset:         64
        .size:           8
        .value_kind:     global_buffer
      - .actual_access:  write_only
        .address_space:  global
        .offset:         72
        .size:           8
        .value_kind:     global_buffer
    .group_segment_fixed_size: 0
    .kernarg_segment_align: 8
    .kernarg_segment_size: 80
    .language:       OpenCL C
    .language_version:
      - 2
      - 0
    .max_flat_workgroup_size: 256
    .name:           _ZN9rocsparseL35gebsr2csr_block_per_row_1_32_kernelILi256ELi4ELi4E21rocsparse_complex_numIfEEEv20rocsparse_direction_ii21rocsparse_index_base_PKT2_PKiS9_iiS4_PS5_PiSB_
    .private_segment_fixed_size: 0
    .sgpr_count:     23
    .sgpr_spill_count: 0
    .symbol:         _ZN9rocsparseL35gebsr2csr_block_per_row_1_32_kernelILi256ELi4ELi4E21rocsparse_complex_numIfEEEv20rocsparse_direction_ii21rocsparse_index_base_PKT2_PKiS9_iiS4_PS5_PiSB_.kd
    .uniform_work_group_size: 1
    .uses_dynamic_stack: false
    .vgpr_count:     20
    .vgpr_spill_count: 0
    .wavefront_size: 64
  - .agpr_count:     0
    .args:
      - .offset:         0
        .size:           4
        .value_kind:     by_value
      - .offset:         4
        .size:           4
        .value_kind:     by_value
      - .offset:         8
        .size:           4
        .value_kind:     by_value
      - .offset:         12
        .size:           4
        .value_kind:     by_value
      - .actual_access:  read_only
        .address_space:  global
        .offset:         16
        .size:           8
        .value_kind:     global_buffer
      - .actual_access:  read_only
        .address_space:  global
        .offset:         24
        .size:           8
        .value_kind:     global_buffer
      - .actual_access:  read_only
        .address_space:  global
        .offset:         32
        .size:           8
        .value_kind:     global_buffer
      - .offset:         40
        .size:           4
        .value_kind:     by_value
      - .offset:         44
        .size:           4
        .value_kind:     by_value
      - .offset:         48
        .size:           4
        .value_kind:     by_value
      - .actual_access:  write_only
        .address_space:  global
        .offset:         56
        .size:           8
        .value_kind:     global_buffer
      - .actual_access:  write_only
        .address_space:  global
        .offset:         64
        .size:           8
        .value_kind:     global_buffer
      - .actual_access:  write_only
        .address_space:  global
        .offset:         72
        .size:           8
        .value_kind:     global_buffer
    .group_segment_fixed_size: 0
    .kernarg_segment_align: 8
    .kernarg_segment_size: 80
    .language:       OpenCL C
    .language_version:
      - 2
      - 0
    .max_flat_workgroup_size: 256
    .name:           _ZN9rocsparseL35gebsr2csr_block_per_row_1_32_kernelILi256ELi4ELi8E21rocsparse_complex_numIfEEEv20rocsparse_direction_ii21rocsparse_index_base_PKT2_PKiS9_iiS4_PS5_PiSB_
    .private_segment_fixed_size: 0
    .sgpr_count:     23
    .sgpr_spill_count: 0
    .symbol:         _ZN9rocsparseL35gebsr2csr_block_per_row_1_32_kernelILi256ELi4ELi8E21rocsparse_complex_numIfEEEv20rocsparse_direction_ii21rocsparse_index_base_PKT2_PKiS9_iiS4_PS5_PiSB_.kd
    .uniform_work_group_size: 1
    .uses_dynamic_stack: false
    .vgpr_count:     20
    .vgpr_spill_count: 0
    .wavefront_size: 64
  - .agpr_count:     0
    .args:
      - .offset:         0
        .size:           4
        .value_kind:     by_value
      - .offset:         4
        .size:           4
        .value_kind:     by_value
      - .offset:         8
        .size:           4
        .value_kind:     by_value
      - .offset:         12
        .size:           4
        .value_kind:     by_value
      - .actual_access:  read_only
        .address_space:  global
        .offset:         16
        .size:           8
        .value_kind:     global_buffer
      - .actual_access:  read_only
        .address_space:  global
        .offset:         24
        .size:           8
        .value_kind:     global_buffer
      - .actual_access:  read_only
        .address_space:  global
        .offset:         32
        .size:           8
        .value_kind:     global_buffer
      - .offset:         40
        .size:           4
        .value_kind:     by_value
      - .offset:         44
        .size:           4
        .value_kind:     by_value
      - .offset:         48
        .size:           4
        .value_kind:     by_value
      - .actual_access:  write_only
        .address_space:  global
        .offset:         56
        .size:           8
        .value_kind:     global_buffer
      - .actual_access:  write_only
        .address_space:  global
        .offset:         64
        .size:           8
        .value_kind:     global_buffer
      - .actual_access:  write_only
        .address_space:  global
        .offset:         72
        .size:           8
        .value_kind:     global_buffer
    .group_segment_fixed_size: 0
    .kernarg_segment_align: 8
    .kernarg_segment_size: 80
    .language:       OpenCL C
    .language_version:
      - 2
      - 0
    .max_flat_workgroup_size: 1024
    .name:           _ZN9rocsparseL35gebsr2csr_block_per_row_1_32_kernelILi1024ELi4ELi16E21rocsparse_complex_numIfEEEv20rocsparse_direction_ii21rocsparse_index_base_PKT2_PKiS9_iiS4_PS5_PiSB_
    .private_segment_fixed_size: 0
    .sgpr_count:     23
    .sgpr_spill_count: 0
    .symbol:         _ZN9rocsparseL35gebsr2csr_block_per_row_1_32_kernelILi1024ELi4ELi16E21rocsparse_complex_numIfEEEv20rocsparse_direction_ii21rocsparse_index_base_PKT2_PKiS9_iiS4_PS5_PiSB_.kd
    .uniform_work_group_size: 1
    .uses_dynamic_stack: false
    .vgpr_count:     20
    .vgpr_spill_count: 0
    .wavefront_size: 64
  - .agpr_count:     0
    .args:
      - .offset:         0
        .size:           4
        .value_kind:     by_value
      - .offset:         4
        .size:           4
        .value_kind:     by_value
      - .offset:         8
        .size:           4
        .value_kind:     by_value
      - .offset:         12
        .size:           4
        .value_kind:     by_value
      - .actual_access:  read_only
        .address_space:  global
        .offset:         16
        .size:           8
        .value_kind:     global_buffer
      - .actual_access:  read_only
        .address_space:  global
        .offset:         24
        .size:           8
        .value_kind:     global_buffer
      - .actual_access:  read_only
        .address_space:  global
        .offset:         32
        .size:           8
        .value_kind:     global_buffer
      - .offset:         40
        .size:           4
        .value_kind:     by_value
      - .offset:         44
        .size:           4
        .value_kind:     by_value
      - .offset:         48
        .size:           4
        .value_kind:     by_value
      - .actual_access:  write_only
        .address_space:  global
        .offset:         56
        .size:           8
        .value_kind:     global_buffer
      - .actual_access:  write_only
        .address_space:  global
        .offset:         64
        .size:           8
        .value_kind:     global_buffer
      - .actual_access:  write_only
        .address_space:  global
        .offset:         72
        .size:           8
        .value_kind:     global_buffer
    .group_segment_fixed_size: 0
    .kernarg_segment_align: 8
    .kernarg_segment_size: 80
    .language:       OpenCL C
    .language_version:
      - 2
      - 0
    .max_flat_workgroup_size: 1024
    .name:           _ZN9rocsparseL35gebsr2csr_block_per_row_1_32_kernelILi1024ELi4ELi32E21rocsparse_complex_numIfEEEv20rocsparse_direction_ii21rocsparse_index_base_PKT2_PKiS9_iiS4_PS5_PiSB_
    .private_segment_fixed_size: 0
    .sgpr_count:     23
    .sgpr_spill_count: 0
    .symbol:         _ZN9rocsparseL35gebsr2csr_block_per_row_1_32_kernelILi1024ELi4ELi32E21rocsparse_complex_numIfEEEv20rocsparse_direction_ii21rocsparse_index_base_PKT2_PKiS9_iiS4_PS5_PiSB_.kd
    .uniform_work_group_size: 1
    .uses_dynamic_stack: false
    .vgpr_count:     20
    .vgpr_spill_count: 0
    .wavefront_size: 64
  - .agpr_count:     0
    .args:
      - .offset:         0
        .size:           4
        .value_kind:     by_value
      - .offset:         4
        .size:           4
        .value_kind:     by_value
      - .offset:         8
        .size:           4
        .value_kind:     by_value
      - .offset:         12
        .size:           4
        .value_kind:     by_value
      - .actual_access:  read_only
        .address_space:  global
        .offset:         16
        .size:           8
        .value_kind:     global_buffer
      - .actual_access:  read_only
        .address_space:  global
        .offset:         24
        .size:           8
        .value_kind:     global_buffer
      - .actual_access:  read_only
        .address_space:  global
        .offset:         32
        .size:           8
        .value_kind:     global_buffer
      - .offset:         40
        .size:           4
        .value_kind:     by_value
      - .offset:         44
        .size:           4
        .value_kind:     by_value
      - .offset:         48
        .size:           4
        .value_kind:     by_value
      - .actual_access:  write_only
        .address_space:  global
        .offset:         56
        .size:           8
        .value_kind:     global_buffer
      - .actual_access:  write_only
        .address_space:  global
        .offset:         64
        .size:           8
        .value_kind:     global_buffer
      - .actual_access:  write_only
        .address_space:  global
        .offset:         72
        .size:           8
        .value_kind:     global_buffer
    .group_segment_fixed_size: 0
    .kernarg_segment_align: 8
    .kernarg_segment_size: 80
    .language:       OpenCL C
    .language_version:
      - 2
      - 0
    .max_flat_workgroup_size: 1024
    .name:           _ZN9rocsparseL37gebsr2csr_block_per_row_33_128_kernelILi1024ELi4ELi64ELi4ELi32E21rocsparse_complex_numIfEEEv20rocsparse_direction_ii21rocsparse_index_base_PKT4_PKiS9_iiS4_PS5_PiSB_
    .private_segment_fixed_size: 0
    .sgpr_count:     29
    .sgpr_spill_count: 0
    .symbol:         _ZN9rocsparseL37gebsr2csr_block_per_row_33_128_kernelILi1024ELi4ELi64ELi4ELi32E21rocsparse_complex_numIfEEEv20rocsparse_direction_ii21rocsparse_index_base_PKT4_PKiS9_iiS4_PS5_PiSB_.kd
    .uniform_work_group_size: 1
    .uses_dynamic_stack: false
    .vgpr_count:     14
    .vgpr_spill_count: 0
    .wavefront_size: 64
  - .agpr_count:     0
    .args:
      - .offset:         0
        .size:           4
        .value_kind:     by_value
      - .offset:         4
        .size:           4
        .value_kind:     by_value
      - .offset:         8
        .size:           4
        .value_kind:     by_value
      - .offset:         12
        .size:           4
        .value_kind:     by_value
      - .actual_access:  read_only
        .address_space:  global
        .offset:         16
        .size:           8
        .value_kind:     global_buffer
      - .actual_access:  read_only
        .address_space:  global
        .offset:         24
        .size:           8
        .value_kind:     global_buffer
      - .actual_access:  read_only
        .address_space:  global
        .offset:         32
        .size:           8
        .value_kind:     global_buffer
      - .offset:         40
        .size:           4
        .value_kind:     by_value
      - .offset:         44
        .size:           4
        .value_kind:     by_value
      - .offset:         48
        .size:           4
        .value_kind:     by_value
      - .actual_access:  write_only
        .address_space:  global
        .offset:         56
        .size:           8
        .value_kind:     global_buffer
      - .actual_access:  write_only
        .address_space:  global
        .offset:         64
        .size:           8
        .value_kind:     global_buffer
      - .actual_access:  write_only
        .address_space:  global
        .offset:         72
        .size:           8
        .value_kind:     global_buffer
    .group_segment_fixed_size: 0
    .kernarg_segment_align: 8
    .kernarg_segment_size: 80
    .language:       OpenCL C
    .language_version:
      - 2
      - 0
    .max_flat_workgroup_size: 1024
    .name:           _ZN9rocsparseL37gebsr2csr_block_per_row_33_128_kernelILi1024ELi4ELi128ELi4ELi32E21rocsparse_complex_numIfEEEv20rocsparse_direction_ii21rocsparse_index_base_PKT4_PKiS9_iiS4_PS5_PiSB_
    .private_segment_fixed_size: 0
    .sgpr_count:     33
    .sgpr_spill_count: 0
    .symbol:         _ZN9rocsparseL37gebsr2csr_block_per_row_33_128_kernelILi1024ELi4ELi128ELi4ELi32E21rocsparse_complex_numIfEEEv20rocsparse_direction_ii21rocsparse_index_base_PKT4_PKiS9_iiS4_PS5_PiSB_.kd
    .uniform_work_group_size: 1
    .uses_dynamic_stack: false
    .vgpr_count:     19
    .vgpr_spill_count: 0
    .wavefront_size: 64
  - .agpr_count:     0
    .args:
      - .offset:         0
        .size:           4
        .value_kind:     by_value
      - .offset:         4
        .size:           4
        .value_kind:     by_value
      - .offset:         8
        .size:           4
        .value_kind:     by_value
      - .offset:         12
        .size:           4
        .value_kind:     by_value
      - .actual_access:  read_only
        .address_space:  global
        .offset:         16
        .size:           8
        .value_kind:     global_buffer
      - .actual_access:  read_only
        .address_space:  global
        .offset:         24
        .size:           8
        .value_kind:     global_buffer
      - .actual_access:  read_only
        .address_space:  global
        .offset:         32
        .size:           8
        .value_kind:     global_buffer
      - .offset:         40
        .size:           4
        .value_kind:     by_value
      - .offset:         44
        .size:           4
        .value_kind:     by_value
      - .offset:         48
        .size:           4
        .value_kind:     by_value
      - .actual_access:  write_only
        .address_space:  global
        .offset:         56
        .size:           8
        .value_kind:     global_buffer
      - .actual_access:  write_only
        .address_space:  global
        .offset:         64
        .size:           8
        .value_kind:     global_buffer
      - .actual_access:  write_only
        .address_space:  global
        .offset:         72
        .size:           8
        .value_kind:     global_buffer
    .group_segment_fixed_size: 0
    .kernarg_segment_align: 8
    .kernarg_segment_size: 80
    .language:       OpenCL C
    .language_version:
      - 2
      - 0
    .max_flat_workgroup_size: 1024
    .name:           _ZN9rocsparseL35gebsr2csr_block_per_row_1_32_kernelILi1024ELi8ELi2E21rocsparse_complex_numIfEEEv20rocsparse_direction_ii21rocsparse_index_base_PKT2_PKiS9_iiS4_PS5_PiSB_
    .private_segment_fixed_size: 0
    .sgpr_count:     23
    .sgpr_spill_count: 0
    .symbol:         _ZN9rocsparseL35gebsr2csr_block_per_row_1_32_kernelILi1024ELi8ELi2E21rocsparse_complex_numIfEEEv20rocsparse_direction_ii21rocsparse_index_base_PKT2_PKiS9_iiS4_PS5_PiSB_.kd
    .uniform_work_group_size: 1
    .uses_dynamic_stack: false
    .vgpr_count:     20
    .vgpr_spill_count: 0
    .wavefront_size: 64
  - .agpr_count:     0
    .args:
      - .offset:         0
        .size:           4
        .value_kind:     by_value
      - .offset:         4
        .size:           4
        .value_kind:     by_value
      - .offset:         8
        .size:           4
        .value_kind:     by_value
      - .offset:         12
        .size:           4
        .value_kind:     by_value
      - .actual_access:  read_only
        .address_space:  global
        .offset:         16
        .size:           8
        .value_kind:     global_buffer
      - .actual_access:  read_only
        .address_space:  global
        .offset:         24
        .size:           8
        .value_kind:     global_buffer
      - .actual_access:  read_only
        .address_space:  global
        .offset:         32
        .size:           8
        .value_kind:     global_buffer
      - .offset:         40
        .size:           4
        .value_kind:     by_value
      - .offset:         44
        .size:           4
        .value_kind:     by_value
      - .offset:         48
        .size:           4
        .value_kind:     by_value
      - .actual_access:  write_only
        .address_space:  global
        .offset:         56
        .size:           8
        .value_kind:     global_buffer
      - .actual_access:  write_only
        .address_space:  global
        .offset:         64
        .size:           8
        .value_kind:     global_buffer
      - .actual_access:  write_only
        .address_space:  global
        .offset:         72
        .size:           8
        .value_kind:     global_buffer
    .group_segment_fixed_size: 0
    .kernarg_segment_align: 8
    .kernarg_segment_size: 80
    .language:       OpenCL C
    .language_version:
      - 2
      - 0
    .max_flat_workgroup_size: 1024
    .name:           _ZN9rocsparseL35gebsr2csr_block_per_row_1_32_kernelILi1024ELi8ELi4E21rocsparse_complex_numIfEEEv20rocsparse_direction_ii21rocsparse_index_base_PKT2_PKiS9_iiS4_PS5_PiSB_
    .private_segment_fixed_size: 0
    .sgpr_count:     23
    .sgpr_spill_count: 0
    .symbol:         _ZN9rocsparseL35gebsr2csr_block_per_row_1_32_kernelILi1024ELi8ELi4E21rocsparse_complex_numIfEEEv20rocsparse_direction_ii21rocsparse_index_base_PKT2_PKiS9_iiS4_PS5_PiSB_.kd
    .uniform_work_group_size: 1
    .uses_dynamic_stack: false
    .vgpr_count:     20
    .vgpr_spill_count: 0
    .wavefront_size: 64
  - .agpr_count:     0
    .args:
      - .offset:         0
        .size:           4
        .value_kind:     by_value
      - .offset:         4
        .size:           4
        .value_kind:     by_value
      - .offset:         8
        .size:           4
        .value_kind:     by_value
      - .offset:         12
        .size:           4
        .value_kind:     by_value
      - .actual_access:  read_only
        .address_space:  global
        .offset:         16
        .size:           8
        .value_kind:     global_buffer
      - .actual_access:  read_only
        .address_space:  global
        .offset:         24
        .size:           8
        .value_kind:     global_buffer
      - .actual_access:  read_only
        .address_space:  global
        .offset:         32
        .size:           8
        .value_kind:     global_buffer
      - .offset:         40
        .size:           4
        .value_kind:     by_value
      - .offset:         44
        .size:           4
        .value_kind:     by_value
      - .offset:         48
        .size:           4
        .value_kind:     by_value
      - .actual_access:  write_only
        .address_space:  global
        .offset:         56
        .size:           8
        .value_kind:     global_buffer
      - .actual_access:  write_only
        .address_space:  global
        .offset:         64
        .size:           8
        .value_kind:     global_buffer
      - .actual_access:  write_only
        .address_space:  global
        .offset:         72
        .size:           8
        .value_kind:     global_buffer
    .group_segment_fixed_size: 0
    .kernarg_segment_align: 8
    .kernarg_segment_size: 80
    .language:       OpenCL C
    .language_version:
      - 2
      - 0
    .max_flat_workgroup_size: 1024
    .name:           _ZN9rocsparseL35gebsr2csr_block_per_row_1_32_kernelILi1024ELi8ELi8E21rocsparse_complex_numIfEEEv20rocsparse_direction_ii21rocsparse_index_base_PKT2_PKiS9_iiS4_PS5_PiSB_
    .private_segment_fixed_size: 0
    .sgpr_count:     23
    .sgpr_spill_count: 0
    .symbol:         _ZN9rocsparseL35gebsr2csr_block_per_row_1_32_kernelILi1024ELi8ELi8E21rocsparse_complex_numIfEEEv20rocsparse_direction_ii21rocsparse_index_base_PKT2_PKiS9_iiS4_PS5_PiSB_.kd
    .uniform_work_group_size: 1
    .uses_dynamic_stack: false
    .vgpr_count:     20
    .vgpr_spill_count: 0
    .wavefront_size: 64
  - .agpr_count:     0
    .args:
      - .offset:         0
        .size:           4
        .value_kind:     by_value
      - .offset:         4
        .size:           4
        .value_kind:     by_value
      - .offset:         8
        .size:           4
        .value_kind:     by_value
      - .offset:         12
        .size:           4
        .value_kind:     by_value
      - .actual_access:  read_only
        .address_space:  global
        .offset:         16
        .size:           8
        .value_kind:     global_buffer
      - .actual_access:  read_only
        .address_space:  global
        .offset:         24
        .size:           8
        .value_kind:     global_buffer
      - .actual_access:  read_only
        .address_space:  global
        .offset:         32
        .size:           8
        .value_kind:     global_buffer
      - .offset:         40
        .size:           4
        .value_kind:     by_value
      - .offset:         44
        .size:           4
        .value_kind:     by_value
      - .offset:         48
        .size:           4
        .value_kind:     by_value
      - .actual_access:  write_only
        .address_space:  global
        .offset:         56
        .size:           8
        .value_kind:     global_buffer
      - .actual_access:  write_only
        .address_space:  global
        .offset:         64
        .size:           8
        .value_kind:     global_buffer
      - .actual_access:  write_only
        .address_space:  global
        .offset:         72
        .size:           8
        .value_kind:     global_buffer
    .group_segment_fixed_size: 0
    .kernarg_segment_align: 8
    .kernarg_segment_size: 80
    .language:       OpenCL C
    .language_version:
      - 2
      - 0
    .max_flat_workgroup_size: 1024
    .name:           _ZN9rocsparseL35gebsr2csr_block_per_row_1_32_kernelILi1024ELi8ELi16E21rocsparse_complex_numIfEEEv20rocsparse_direction_ii21rocsparse_index_base_PKT2_PKiS9_iiS4_PS5_PiSB_
    .private_segment_fixed_size: 0
    .sgpr_count:     23
    .sgpr_spill_count: 0
    .symbol:         _ZN9rocsparseL35gebsr2csr_block_per_row_1_32_kernelILi1024ELi8ELi16E21rocsparse_complex_numIfEEEv20rocsparse_direction_ii21rocsparse_index_base_PKT2_PKiS9_iiS4_PS5_PiSB_.kd
    .uniform_work_group_size: 1
    .uses_dynamic_stack: false
    .vgpr_count:     20
    .vgpr_spill_count: 0
    .wavefront_size: 64
  - .agpr_count:     0
    .args:
      - .offset:         0
        .size:           4
        .value_kind:     by_value
      - .offset:         4
        .size:           4
        .value_kind:     by_value
      - .offset:         8
        .size:           4
        .value_kind:     by_value
      - .offset:         12
        .size:           4
        .value_kind:     by_value
      - .actual_access:  read_only
        .address_space:  global
        .offset:         16
        .size:           8
        .value_kind:     global_buffer
      - .actual_access:  read_only
        .address_space:  global
        .offset:         24
        .size:           8
        .value_kind:     global_buffer
      - .actual_access:  read_only
        .address_space:  global
        .offset:         32
        .size:           8
        .value_kind:     global_buffer
      - .offset:         40
        .size:           4
        .value_kind:     by_value
      - .offset:         44
        .size:           4
        .value_kind:     by_value
      - .offset:         48
        .size:           4
        .value_kind:     by_value
      - .actual_access:  write_only
        .address_space:  global
        .offset:         56
        .size:           8
        .value_kind:     global_buffer
      - .actual_access:  write_only
        .address_space:  global
        .offset:         64
        .size:           8
        .value_kind:     global_buffer
      - .actual_access:  write_only
        .address_space:  global
        .offset:         72
        .size:           8
        .value_kind:     global_buffer
    .group_segment_fixed_size: 0
    .kernarg_segment_align: 8
    .kernarg_segment_size: 80
    .language:       OpenCL C
    .language_version:
      - 2
      - 0
    .max_flat_workgroup_size: 1024
    .name:           _ZN9rocsparseL35gebsr2csr_block_per_row_1_32_kernelILi1024ELi8ELi32E21rocsparse_complex_numIfEEEv20rocsparse_direction_ii21rocsparse_index_base_PKT2_PKiS9_iiS4_PS5_PiSB_
    .private_segment_fixed_size: 0
    .sgpr_count:     23
    .sgpr_spill_count: 0
    .symbol:         _ZN9rocsparseL35gebsr2csr_block_per_row_1_32_kernelILi1024ELi8ELi32E21rocsparse_complex_numIfEEEv20rocsparse_direction_ii21rocsparse_index_base_PKT2_PKiS9_iiS4_PS5_PiSB_.kd
    .uniform_work_group_size: 1
    .uses_dynamic_stack: false
    .vgpr_count:     20
    .vgpr_spill_count: 0
    .wavefront_size: 64
  - .agpr_count:     0
    .args:
      - .offset:         0
        .size:           4
        .value_kind:     by_value
      - .offset:         4
        .size:           4
        .value_kind:     by_value
      - .offset:         8
        .size:           4
        .value_kind:     by_value
      - .offset:         12
        .size:           4
        .value_kind:     by_value
      - .actual_access:  read_only
        .address_space:  global
        .offset:         16
        .size:           8
        .value_kind:     global_buffer
      - .actual_access:  read_only
        .address_space:  global
        .offset:         24
        .size:           8
        .value_kind:     global_buffer
      - .actual_access:  read_only
        .address_space:  global
        .offset:         32
        .size:           8
        .value_kind:     global_buffer
      - .offset:         40
        .size:           4
        .value_kind:     by_value
      - .offset:         44
        .size:           4
        .value_kind:     by_value
      - .offset:         48
        .size:           4
        .value_kind:     by_value
      - .actual_access:  write_only
        .address_space:  global
        .offset:         56
        .size:           8
        .value_kind:     global_buffer
      - .actual_access:  write_only
        .address_space:  global
        .offset:         64
        .size:           8
        .value_kind:     global_buffer
      - .actual_access:  write_only
        .address_space:  global
        .offset:         72
        .size:           8
        .value_kind:     global_buffer
    .group_segment_fixed_size: 0
    .kernarg_segment_align: 8
    .kernarg_segment_size: 80
    .language:       OpenCL C
    .language_version:
      - 2
      - 0
    .max_flat_workgroup_size: 1024
    .name:           _ZN9rocsparseL37gebsr2csr_block_per_row_33_128_kernelILi1024ELi8ELi64ELi8ELi32E21rocsparse_complex_numIfEEEv20rocsparse_direction_ii21rocsparse_index_base_PKT4_PKiS9_iiS4_PS5_PiSB_
    .private_segment_fixed_size: 0
    .sgpr_count:     29
    .sgpr_spill_count: 0
    .symbol:         _ZN9rocsparseL37gebsr2csr_block_per_row_33_128_kernelILi1024ELi8ELi64ELi8ELi32E21rocsparse_complex_numIfEEEv20rocsparse_direction_ii21rocsparse_index_base_PKT4_PKiS9_iiS4_PS5_PiSB_.kd
    .uniform_work_group_size: 1
    .uses_dynamic_stack: false
    .vgpr_count:     14
    .vgpr_spill_count: 0
    .wavefront_size: 64
  - .agpr_count:     0
    .args:
      - .offset:         0
        .size:           4
        .value_kind:     by_value
      - .offset:         4
        .size:           4
        .value_kind:     by_value
      - .offset:         8
        .size:           4
        .value_kind:     by_value
      - .offset:         12
        .size:           4
        .value_kind:     by_value
      - .actual_access:  read_only
        .address_space:  global
        .offset:         16
        .size:           8
        .value_kind:     global_buffer
      - .actual_access:  read_only
        .address_space:  global
        .offset:         24
        .size:           8
        .value_kind:     global_buffer
      - .actual_access:  read_only
        .address_space:  global
        .offset:         32
        .size:           8
        .value_kind:     global_buffer
      - .offset:         40
        .size:           4
        .value_kind:     by_value
      - .offset:         44
        .size:           4
        .value_kind:     by_value
      - .offset:         48
        .size:           4
        .value_kind:     by_value
      - .actual_access:  write_only
        .address_space:  global
        .offset:         56
        .size:           8
        .value_kind:     global_buffer
      - .actual_access:  write_only
        .address_space:  global
        .offset:         64
        .size:           8
        .value_kind:     global_buffer
      - .actual_access:  write_only
        .address_space:  global
        .offset:         72
        .size:           8
        .value_kind:     global_buffer
    .group_segment_fixed_size: 0
    .kernarg_segment_align: 8
    .kernarg_segment_size: 80
    .language:       OpenCL C
    .language_version:
      - 2
      - 0
    .max_flat_workgroup_size: 1024
    .name:           _ZN9rocsparseL37gebsr2csr_block_per_row_33_128_kernelILi1024ELi8ELi128ELi8ELi32E21rocsparse_complex_numIfEEEv20rocsparse_direction_ii21rocsparse_index_base_PKT4_PKiS9_iiS4_PS5_PiSB_
    .private_segment_fixed_size: 0
    .sgpr_count:     33
    .sgpr_spill_count: 0
    .symbol:         _ZN9rocsparseL37gebsr2csr_block_per_row_33_128_kernelILi1024ELi8ELi128ELi8ELi32E21rocsparse_complex_numIfEEEv20rocsparse_direction_ii21rocsparse_index_base_PKT4_PKiS9_iiS4_PS5_PiSB_.kd
    .uniform_work_group_size: 1
    .uses_dynamic_stack: false
    .vgpr_count:     19
    .vgpr_spill_count: 0
    .wavefront_size: 64
  - .agpr_count:     0
    .args:
      - .offset:         0
        .size:           4
        .value_kind:     by_value
      - .offset:         4
        .size:           4
        .value_kind:     by_value
      - .offset:         8
        .size:           4
        .value_kind:     by_value
      - .offset:         12
        .size:           4
        .value_kind:     by_value
      - .actual_access:  read_only
        .address_space:  global
        .offset:         16
        .size:           8
        .value_kind:     global_buffer
      - .actual_access:  read_only
        .address_space:  global
        .offset:         24
        .size:           8
        .value_kind:     global_buffer
      - .actual_access:  read_only
        .address_space:  global
        .offset:         32
        .size:           8
        .value_kind:     global_buffer
      - .offset:         40
        .size:           4
        .value_kind:     by_value
      - .offset:         44
        .size:           4
        .value_kind:     by_value
      - .offset:         48
        .size:           4
        .value_kind:     by_value
      - .actual_access:  write_only
        .address_space:  global
        .offset:         56
        .size:           8
        .value_kind:     global_buffer
      - .actual_access:  write_only
        .address_space:  global
        .offset:         64
        .size:           8
        .value_kind:     global_buffer
      - .actual_access:  write_only
        .address_space:  global
        .offset:         72
        .size:           8
        .value_kind:     global_buffer
    .group_segment_fixed_size: 0
    .kernarg_segment_align: 8
    .kernarg_segment_size: 80
    .language:       OpenCL C
    .language_version:
      - 2
      - 0
    .max_flat_workgroup_size: 1024
    .name:           _ZN9rocsparseL35gebsr2csr_block_per_row_1_32_kernelILi1024ELi16ELi2E21rocsparse_complex_numIfEEEv20rocsparse_direction_ii21rocsparse_index_base_PKT2_PKiS9_iiS4_PS5_PiSB_
    .private_segment_fixed_size: 0
    .sgpr_count:     23
    .sgpr_spill_count: 0
    .symbol:         _ZN9rocsparseL35gebsr2csr_block_per_row_1_32_kernelILi1024ELi16ELi2E21rocsparse_complex_numIfEEEv20rocsparse_direction_ii21rocsparse_index_base_PKT2_PKiS9_iiS4_PS5_PiSB_.kd
    .uniform_work_group_size: 1
    .uses_dynamic_stack: false
    .vgpr_count:     20
    .vgpr_spill_count: 0
    .wavefront_size: 64
  - .agpr_count:     0
    .args:
      - .offset:         0
        .size:           4
        .value_kind:     by_value
      - .offset:         4
        .size:           4
        .value_kind:     by_value
      - .offset:         8
        .size:           4
        .value_kind:     by_value
      - .offset:         12
        .size:           4
        .value_kind:     by_value
      - .actual_access:  read_only
        .address_space:  global
        .offset:         16
        .size:           8
        .value_kind:     global_buffer
      - .actual_access:  read_only
        .address_space:  global
        .offset:         24
        .size:           8
        .value_kind:     global_buffer
      - .actual_access:  read_only
        .address_space:  global
        .offset:         32
        .size:           8
        .value_kind:     global_buffer
      - .offset:         40
        .size:           4
        .value_kind:     by_value
      - .offset:         44
        .size:           4
        .value_kind:     by_value
      - .offset:         48
        .size:           4
        .value_kind:     by_value
      - .actual_access:  write_only
        .address_space:  global
        .offset:         56
        .size:           8
        .value_kind:     global_buffer
      - .actual_access:  write_only
        .address_space:  global
        .offset:         64
        .size:           8
        .value_kind:     global_buffer
      - .actual_access:  write_only
        .address_space:  global
        .offset:         72
        .size:           8
        .value_kind:     global_buffer
    .group_segment_fixed_size: 0
    .kernarg_segment_align: 8
    .kernarg_segment_size: 80
    .language:       OpenCL C
    .language_version:
      - 2
      - 0
    .max_flat_workgroup_size: 1024
    .name:           _ZN9rocsparseL35gebsr2csr_block_per_row_1_32_kernelILi1024ELi16ELi4E21rocsparse_complex_numIfEEEv20rocsparse_direction_ii21rocsparse_index_base_PKT2_PKiS9_iiS4_PS5_PiSB_
    .private_segment_fixed_size: 0
    .sgpr_count:     23
    .sgpr_spill_count: 0
    .symbol:         _ZN9rocsparseL35gebsr2csr_block_per_row_1_32_kernelILi1024ELi16ELi4E21rocsparse_complex_numIfEEEv20rocsparse_direction_ii21rocsparse_index_base_PKT2_PKiS9_iiS4_PS5_PiSB_.kd
    .uniform_work_group_size: 1
    .uses_dynamic_stack: false
    .vgpr_count:     20
    .vgpr_spill_count: 0
    .wavefront_size: 64
  - .agpr_count:     0
    .args:
      - .offset:         0
        .size:           4
        .value_kind:     by_value
      - .offset:         4
        .size:           4
        .value_kind:     by_value
      - .offset:         8
        .size:           4
        .value_kind:     by_value
      - .offset:         12
        .size:           4
        .value_kind:     by_value
      - .actual_access:  read_only
        .address_space:  global
        .offset:         16
        .size:           8
        .value_kind:     global_buffer
      - .actual_access:  read_only
        .address_space:  global
        .offset:         24
        .size:           8
        .value_kind:     global_buffer
      - .actual_access:  read_only
        .address_space:  global
        .offset:         32
        .size:           8
        .value_kind:     global_buffer
      - .offset:         40
        .size:           4
        .value_kind:     by_value
      - .offset:         44
        .size:           4
        .value_kind:     by_value
      - .offset:         48
        .size:           4
        .value_kind:     by_value
      - .actual_access:  write_only
        .address_space:  global
        .offset:         56
        .size:           8
        .value_kind:     global_buffer
      - .actual_access:  write_only
        .address_space:  global
        .offset:         64
        .size:           8
        .value_kind:     global_buffer
      - .actual_access:  write_only
        .address_space:  global
        .offset:         72
        .size:           8
        .value_kind:     global_buffer
    .group_segment_fixed_size: 0
    .kernarg_segment_align: 8
    .kernarg_segment_size: 80
    .language:       OpenCL C
    .language_version:
      - 2
      - 0
    .max_flat_workgroup_size: 1024
    .name:           _ZN9rocsparseL35gebsr2csr_block_per_row_1_32_kernelILi1024ELi16ELi8E21rocsparse_complex_numIfEEEv20rocsparse_direction_ii21rocsparse_index_base_PKT2_PKiS9_iiS4_PS5_PiSB_
    .private_segment_fixed_size: 0
    .sgpr_count:     23
    .sgpr_spill_count: 0
    .symbol:         _ZN9rocsparseL35gebsr2csr_block_per_row_1_32_kernelILi1024ELi16ELi8E21rocsparse_complex_numIfEEEv20rocsparse_direction_ii21rocsparse_index_base_PKT2_PKiS9_iiS4_PS5_PiSB_.kd
    .uniform_work_group_size: 1
    .uses_dynamic_stack: false
    .vgpr_count:     20
    .vgpr_spill_count: 0
    .wavefront_size: 64
  - .agpr_count:     0
    .args:
      - .offset:         0
        .size:           4
        .value_kind:     by_value
      - .offset:         4
        .size:           4
        .value_kind:     by_value
      - .offset:         8
        .size:           4
        .value_kind:     by_value
      - .offset:         12
        .size:           4
        .value_kind:     by_value
      - .actual_access:  read_only
        .address_space:  global
        .offset:         16
        .size:           8
        .value_kind:     global_buffer
      - .actual_access:  read_only
        .address_space:  global
        .offset:         24
        .size:           8
        .value_kind:     global_buffer
      - .actual_access:  read_only
        .address_space:  global
        .offset:         32
        .size:           8
        .value_kind:     global_buffer
      - .offset:         40
        .size:           4
        .value_kind:     by_value
      - .offset:         44
        .size:           4
        .value_kind:     by_value
      - .offset:         48
        .size:           4
        .value_kind:     by_value
      - .actual_access:  write_only
        .address_space:  global
        .offset:         56
        .size:           8
        .value_kind:     global_buffer
      - .actual_access:  write_only
        .address_space:  global
        .offset:         64
        .size:           8
        .value_kind:     global_buffer
      - .actual_access:  write_only
        .address_space:  global
        .offset:         72
        .size:           8
        .value_kind:     global_buffer
    .group_segment_fixed_size: 0
    .kernarg_segment_align: 8
    .kernarg_segment_size: 80
    .language:       OpenCL C
    .language_version:
      - 2
      - 0
    .max_flat_workgroup_size: 1024
    .name:           _ZN9rocsparseL35gebsr2csr_block_per_row_1_32_kernelILi1024ELi16ELi16E21rocsparse_complex_numIfEEEv20rocsparse_direction_ii21rocsparse_index_base_PKT2_PKiS9_iiS4_PS5_PiSB_
    .private_segment_fixed_size: 0
    .sgpr_count:     23
    .sgpr_spill_count: 0
    .symbol:         _ZN9rocsparseL35gebsr2csr_block_per_row_1_32_kernelILi1024ELi16ELi16E21rocsparse_complex_numIfEEEv20rocsparse_direction_ii21rocsparse_index_base_PKT2_PKiS9_iiS4_PS5_PiSB_.kd
    .uniform_work_group_size: 1
    .uses_dynamic_stack: false
    .vgpr_count:     20
    .vgpr_spill_count: 0
    .wavefront_size: 64
  - .agpr_count:     0
    .args:
      - .offset:         0
        .size:           4
        .value_kind:     by_value
      - .offset:         4
        .size:           4
        .value_kind:     by_value
      - .offset:         8
        .size:           4
        .value_kind:     by_value
      - .offset:         12
        .size:           4
        .value_kind:     by_value
      - .actual_access:  read_only
        .address_space:  global
        .offset:         16
        .size:           8
        .value_kind:     global_buffer
      - .actual_access:  read_only
        .address_space:  global
        .offset:         24
        .size:           8
        .value_kind:     global_buffer
      - .actual_access:  read_only
        .address_space:  global
        .offset:         32
        .size:           8
        .value_kind:     global_buffer
      - .offset:         40
        .size:           4
        .value_kind:     by_value
      - .offset:         44
        .size:           4
        .value_kind:     by_value
      - .offset:         48
        .size:           4
        .value_kind:     by_value
      - .actual_access:  write_only
        .address_space:  global
        .offset:         56
        .size:           8
        .value_kind:     global_buffer
      - .actual_access:  write_only
        .address_space:  global
        .offset:         64
        .size:           8
        .value_kind:     global_buffer
      - .actual_access:  write_only
        .address_space:  global
        .offset:         72
        .size:           8
        .value_kind:     global_buffer
    .group_segment_fixed_size: 0
    .kernarg_segment_align: 8
    .kernarg_segment_size: 80
    .language:       OpenCL C
    .language_version:
      - 2
      - 0
    .max_flat_workgroup_size: 1024
    .name:           _ZN9rocsparseL35gebsr2csr_block_per_row_1_32_kernelILi1024ELi16ELi32E21rocsparse_complex_numIfEEEv20rocsparse_direction_ii21rocsparse_index_base_PKT2_PKiS9_iiS4_PS5_PiSB_
    .private_segment_fixed_size: 0
    .sgpr_count:     23
    .sgpr_spill_count: 0
    .symbol:         _ZN9rocsparseL35gebsr2csr_block_per_row_1_32_kernelILi1024ELi16ELi32E21rocsparse_complex_numIfEEEv20rocsparse_direction_ii21rocsparse_index_base_PKT2_PKiS9_iiS4_PS5_PiSB_.kd
    .uniform_work_group_size: 1
    .uses_dynamic_stack: false
    .vgpr_count:     20
    .vgpr_spill_count: 0
    .wavefront_size: 64
  - .agpr_count:     0
    .args:
      - .offset:         0
        .size:           4
        .value_kind:     by_value
      - .offset:         4
        .size:           4
        .value_kind:     by_value
      - .offset:         8
        .size:           4
        .value_kind:     by_value
      - .offset:         12
        .size:           4
        .value_kind:     by_value
      - .actual_access:  read_only
        .address_space:  global
        .offset:         16
        .size:           8
        .value_kind:     global_buffer
      - .actual_access:  read_only
        .address_space:  global
        .offset:         24
        .size:           8
        .value_kind:     global_buffer
      - .actual_access:  read_only
        .address_space:  global
        .offset:         32
        .size:           8
        .value_kind:     global_buffer
      - .offset:         40
        .size:           4
        .value_kind:     by_value
      - .offset:         44
        .size:           4
        .value_kind:     by_value
      - .offset:         48
        .size:           4
        .value_kind:     by_value
      - .actual_access:  write_only
        .address_space:  global
        .offset:         56
        .size:           8
        .value_kind:     global_buffer
      - .actual_access:  write_only
        .address_space:  global
        .offset:         64
        .size:           8
        .value_kind:     global_buffer
      - .actual_access:  write_only
        .address_space:  global
        .offset:         72
        .size:           8
        .value_kind:     global_buffer
    .group_segment_fixed_size: 0
    .kernarg_segment_align: 8
    .kernarg_segment_size: 80
    .language:       OpenCL C
    .language_version:
      - 2
      - 0
    .max_flat_workgroup_size: 1024
    .name:           _ZN9rocsparseL37gebsr2csr_block_per_row_33_128_kernelILi1024ELi16ELi64ELi16ELi32E21rocsparse_complex_numIfEEEv20rocsparse_direction_ii21rocsparse_index_base_PKT4_PKiS9_iiS4_PS5_PiSB_
    .private_segment_fixed_size: 0
    .sgpr_count:     29
    .sgpr_spill_count: 0
    .symbol:         _ZN9rocsparseL37gebsr2csr_block_per_row_33_128_kernelILi1024ELi16ELi64ELi16ELi32E21rocsparse_complex_numIfEEEv20rocsparse_direction_ii21rocsparse_index_base_PKT4_PKiS9_iiS4_PS5_PiSB_.kd
    .uniform_work_group_size: 1
    .uses_dynamic_stack: false
    .vgpr_count:     14
    .vgpr_spill_count: 0
    .wavefront_size: 64
  - .agpr_count:     0
    .args:
      - .offset:         0
        .size:           4
        .value_kind:     by_value
      - .offset:         4
        .size:           4
        .value_kind:     by_value
      - .offset:         8
        .size:           4
        .value_kind:     by_value
      - .offset:         12
        .size:           4
        .value_kind:     by_value
      - .actual_access:  read_only
        .address_space:  global
        .offset:         16
        .size:           8
        .value_kind:     global_buffer
      - .actual_access:  read_only
        .address_space:  global
        .offset:         24
        .size:           8
        .value_kind:     global_buffer
      - .actual_access:  read_only
        .address_space:  global
        .offset:         32
        .size:           8
        .value_kind:     global_buffer
      - .offset:         40
        .size:           4
        .value_kind:     by_value
      - .offset:         44
        .size:           4
        .value_kind:     by_value
      - .offset:         48
        .size:           4
        .value_kind:     by_value
      - .actual_access:  write_only
        .address_space:  global
        .offset:         56
        .size:           8
        .value_kind:     global_buffer
      - .actual_access:  write_only
        .address_space:  global
        .offset:         64
        .size:           8
        .value_kind:     global_buffer
      - .actual_access:  write_only
        .address_space:  global
        .offset:         72
        .size:           8
        .value_kind:     global_buffer
    .group_segment_fixed_size: 0
    .kernarg_segment_align: 8
    .kernarg_segment_size: 80
    .language:       OpenCL C
    .language_version:
      - 2
      - 0
    .max_flat_workgroup_size: 1024
    .name:           _ZN9rocsparseL37gebsr2csr_block_per_row_33_128_kernelILi1024ELi16ELi128ELi16ELi32E21rocsparse_complex_numIfEEEv20rocsparse_direction_ii21rocsparse_index_base_PKT4_PKiS9_iiS4_PS5_PiSB_
    .private_segment_fixed_size: 0
    .sgpr_count:     33
    .sgpr_spill_count: 0
    .symbol:         _ZN9rocsparseL37gebsr2csr_block_per_row_33_128_kernelILi1024ELi16ELi128ELi16ELi32E21rocsparse_complex_numIfEEEv20rocsparse_direction_ii21rocsparse_index_base_PKT4_PKiS9_iiS4_PS5_PiSB_.kd
    .uniform_work_group_size: 1
    .uses_dynamic_stack: false
    .vgpr_count:     19
    .vgpr_spill_count: 0
    .wavefront_size: 64
  - .agpr_count:     0
    .args:
      - .offset:         0
        .size:           4
        .value_kind:     by_value
      - .offset:         4
        .size:           4
        .value_kind:     by_value
      - .offset:         8
        .size:           4
        .value_kind:     by_value
      - .offset:         12
        .size:           4
        .value_kind:     by_value
      - .actual_access:  read_only
        .address_space:  global
        .offset:         16
        .size:           8
        .value_kind:     global_buffer
      - .actual_access:  read_only
        .address_space:  global
        .offset:         24
        .size:           8
        .value_kind:     global_buffer
      - .actual_access:  read_only
        .address_space:  global
        .offset:         32
        .size:           8
        .value_kind:     global_buffer
      - .offset:         40
        .size:           4
        .value_kind:     by_value
      - .offset:         44
        .size:           4
        .value_kind:     by_value
      - .offset:         48
        .size:           4
        .value_kind:     by_value
      - .actual_access:  write_only
        .address_space:  global
        .offset:         56
        .size:           8
        .value_kind:     global_buffer
      - .actual_access:  write_only
        .address_space:  global
        .offset:         64
        .size:           8
        .value_kind:     global_buffer
      - .actual_access:  write_only
        .address_space:  global
        .offset:         72
        .size:           8
        .value_kind:     global_buffer
    .group_segment_fixed_size: 0
    .kernarg_segment_align: 8
    .kernarg_segment_size: 80
    .language:       OpenCL C
    .language_version:
      - 2
      - 0
    .max_flat_workgroup_size: 1024
    .name:           _ZN9rocsparseL35gebsr2csr_block_per_row_1_32_kernelILi1024ELi32ELi2E21rocsparse_complex_numIfEEEv20rocsparse_direction_ii21rocsparse_index_base_PKT2_PKiS9_iiS4_PS5_PiSB_
    .private_segment_fixed_size: 0
    .sgpr_count:     23
    .sgpr_spill_count: 0
    .symbol:         _ZN9rocsparseL35gebsr2csr_block_per_row_1_32_kernelILi1024ELi32ELi2E21rocsparse_complex_numIfEEEv20rocsparse_direction_ii21rocsparse_index_base_PKT2_PKiS9_iiS4_PS5_PiSB_.kd
    .uniform_work_group_size: 1
    .uses_dynamic_stack: false
    .vgpr_count:     20
    .vgpr_spill_count: 0
    .wavefront_size: 64
  - .agpr_count:     0
    .args:
      - .offset:         0
        .size:           4
        .value_kind:     by_value
      - .offset:         4
        .size:           4
        .value_kind:     by_value
      - .offset:         8
        .size:           4
        .value_kind:     by_value
      - .offset:         12
        .size:           4
        .value_kind:     by_value
      - .actual_access:  read_only
        .address_space:  global
        .offset:         16
        .size:           8
        .value_kind:     global_buffer
      - .actual_access:  read_only
        .address_space:  global
        .offset:         24
        .size:           8
        .value_kind:     global_buffer
      - .actual_access:  read_only
        .address_space:  global
        .offset:         32
        .size:           8
        .value_kind:     global_buffer
      - .offset:         40
        .size:           4
        .value_kind:     by_value
      - .offset:         44
        .size:           4
        .value_kind:     by_value
      - .offset:         48
        .size:           4
        .value_kind:     by_value
      - .actual_access:  write_only
        .address_space:  global
        .offset:         56
        .size:           8
        .value_kind:     global_buffer
      - .actual_access:  write_only
        .address_space:  global
        .offset:         64
        .size:           8
        .value_kind:     global_buffer
      - .actual_access:  write_only
        .address_space:  global
        .offset:         72
        .size:           8
        .value_kind:     global_buffer
    .group_segment_fixed_size: 0
    .kernarg_segment_align: 8
    .kernarg_segment_size: 80
    .language:       OpenCL C
    .language_version:
      - 2
      - 0
    .max_flat_workgroup_size: 1024
    .name:           _ZN9rocsparseL35gebsr2csr_block_per_row_1_32_kernelILi1024ELi32ELi4E21rocsparse_complex_numIfEEEv20rocsparse_direction_ii21rocsparse_index_base_PKT2_PKiS9_iiS4_PS5_PiSB_
    .private_segment_fixed_size: 0
    .sgpr_count:     23
    .sgpr_spill_count: 0
    .symbol:         _ZN9rocsparseL35gebsr2csr_block_per_row_1_32_kernelILi1024ELi32ELi4E21rocsparse_complex_numIfEEEv20rocsparse_direction_ii21rocsparse_index_base_PKT2_PKiS9_iiS4_PS5_PiSB_.kd
    .uniform_work_group_size: 1
    .uses_dynamic_stack: false
    .vgpr_count:     20
    .vgpr_spill_count: 0
    .wavefront_size: 64
  - .agpr_count:     0
    .args:
      - .offset:         0
        .size:           4
        .value_kind:     by_value
      - .offset:         4
        .size:           4
        .value_kind:     by_value
      - .offset:         8
        .size:           4
        .value_kind:     by_value
      - .offset:         12
        .size:           4
        .value_kind:     by_value
      - .actual_access:  read_only
        .address_space:  global
        .offset:         16
        .size:           8
        .value_kind:     global_buffer
      - .actual_access:  read_only
        .address_space:  global
        .offset:         24
        .size:           8
        .value_kind:     global_buffer
      - .actual_access:  read_only
        .address_space:  global
        .offset:         32
        .size:           8
        .value_kind:     global_buffer
      - .offset:         40
        .size:           4
        .value_kind:     by_value
      - .offset:         44
        .size:           4
        .value_kind:     by_value
      - .offset:         48
        .size:           4
        .value_kind:     by_value
      - .actual_access:  write_only
        .address_space:  global
        .offset:         56
        .size:           8
        .value_kind:     global_buffer
      - .actual_access:  write_only
        .address_space:  global
        .offset:         64
        .size:           8
        .value_kind:     global_buffer
      - .actual_access:  write_only
        .address_space:  global
        .offset:         72
        .size:           8
        .value_kind:     global_buffer
    .group_segment_fixed_size: 0
    .kernarg_segment_align: 8
    .kernarg_segment_size: 80
    .language:       OpenCL C
    .language_version:
      - 2
      - 0
    .max_flat_workgroup_size: 1024
    .name:           _ZN9rocsparseL35gebsr2csr_block_per_row_1_32_kernelILi1024ELi32ELi8E21rocsparse_complex_numIfEEEv20rocsparse_direction_ii21rocsparse_index_base_PKT2_PKiS9_iiS4_PS5_PiSB_
    .private_segment_fixed_size: 0
    .sgpr_count:     23
    .sgpr_spill_count: 0
    .symbol:         _ZN9rocsparseL35gebsr2csr_block_per_row_1_32_kernelILi1024ELi32ELi8E21rocsparse_complex_numIfEEEv20rocsparse_direction_ii21rocsparse_index_base_PKT2_PKiS9_iiS4_PS5_PiSB_.kd
    .uniform_work_group_size: 1
    .uses_dynamic_stack: false
    .vgpr_count:     20
    .vgpr_spill_count: 0
    .wavefront_size: 64
  - .agpr_count:     0
    .args:
      - .offset:         0
        .size:           4
        .value_kind:     by_value
      - .offset:         4
        .size:           4
        .value_kind:     by_value
      - .offset:         8
        .size:           4
        .value_kind:     by_value
      - .offset:         12
        .size:           4
        .value_kind:     by_value
      - .actual_access:  read_only
        .address_space:  global
        .offset:         16
        .size:           8
        .value_kind:     global_buffer
      - .actual_access:  read_only
        .address_space:  global
        .offset:         24
        .size:           8
        .value_kind:     global_buffer
      - .actual_access:  read_only
        .address_space:  global
        .offset:         32
        .size:           8
        .value_kind:     global_buffer
      - .offset:         40
        .size:           4
        .value_kind:     by_value
      - .offset:         44
        .size:           4
        .value_kind:     by_value
      - .offset:         48
        .size:           4
        .value_kind:     by_value
      - .actual_access:  write_only
        .address_space:  global
        .offset:         56
        .size:           8
        .value_kind:     global_buffer
      - .actual_access:  write_only
        .address_space:  global
        .offset:         64
        .size:           8
        .value_kind:     global_buffer
      - .actual_access:  write_only
        .address_space:  global
        .offset:         72
        .size:           8
        .value_kind:     global_buffer
    .group_segment_fixed_size: 0
    .kernarg_segment_align: 8
    .kernarg_segment_size: 80
    .language:       OpenCL C
    .language_version:
      - 2
      - 0
    .max_flat_workgroup_size: 1024
    .name:           _ZN9rocsparseL35gebsr2csr_block_per_row_1_32_kernelILi1024ELi32ELi16E21rocsparse_complex_numIfEEEv20rocsparse_direction_ii21rocsparse_index_base_PKT2_PKiS9_iiS4_PS5_PiSB_
    .private_segment_fixed_size: 0
    .sgpr_count:     23
    .sgpr_spill_count: 0
    .symbol:         _ZN9rocsparseL35gebsr2csr_block_per_row_1_32_kernelILi1024ELi32ELi16E21rocsparse_complex_numIfEEEv20rocsparse_direction_ii21rocsparse_index_base_PKT2_PKiS9_iiS4_PS5_PiSB_.kd
    .uniform_work_group_size: 1
    .uses_dynamic_stack: false
    .vgpr_count:     20
    .vgpr_spill_count: 0
    .wavefront_size: 64
  - .agpr_count:     0
    .args:
      - .offset:         0
        .size:           4
        .value_kind:     by_value
      - .offset:         4
        .size:           4
        .value_kind:     by_value
      - .offset:         8
        .size:           4
        .value_kind:     by_value
      - .offset:         12
        .size:           4
        .value_kind:     by_value
      - .actual_access:  read_only
        .address_space:  global
        .offset:         16
        .size:           8
        .value_kind:     global_buffer
      - .actual_access:  read_only
        .address_space:  global
        .offset:         24
        .size:           8
        .value_kind:     global_buffer
      - .actual_access:  read_only
        .address_space:  global
        .offset:         32
        .size:           8
        .value_kind:     global_buffer
      - .offset:         40
        .size:           4
        .value_kind:     by_value
      - .offset:         44
        .size:           4
        .value_kind:     by_value
      - .offset:         48
        .size:           4
        .value_kind:     by_value
      - .actual_access:  write_only
        .address_space:  global
        .offset:         56
        .size:           8
        .value_kind:     global_buffer
      - .actual_access:  write_only
        .address_space:  global
        .offset:         64
        .size:           8
        .value_kind:     global_buffer
      - .actual_access:  write_only
        .address_space:  global
        .offset:         72
        .size:           8
        .value_kind:     global_buffer
    .group_segment_fixed_size: 0
    .kernarg_segment_align: 8
    .kernarg_segment_size: 80
    .language:       OpenCL C
    .language_version:
      - 2
      - 0
    .max_flat_workgroup_size: 1024
    .name:           _ZN9rocsparseL35gebsr2csr_block_per_row_1_32_kernelILi1024ELi32ELi32E21rocsparse_complex_numIfEEEv20rocsparse_direction_ii21rocsparse_index_base_PKT2_PKiS9_iiS4_PS5_PiSB_
    .private_segment_fixed_size: 0
    .sgpr_count:     24
    .sgpr_spill_count: 0
    .symbol:         _ZN9rocsparseL35gebsr2csr_block_per_row_1_32_kernelILi1024ELi32ELi32E21rocsparse_complex_numIfEEEv20rocsparse_direction_ii21rocsparse_index_base_PKT2_PKiS9_iiS4_PS5_PiSB_.kd
    .uniform_work_group_size: 1
    .uses_dynamic_stack: false
    .vgpr_count:     14
    .vgpr_spill_count: 0
    .wavefront_size: 64
  - .agpr_count:     0
    .args:
      - .offset:         0
        .size:           4
        .value_kind:     by_value
      - .offset:         4
        .size:           4
        .value_kind:     by_value
      - .offset:         8
        .size:           4
        .value_kind:     by_value
      - .offset:         12
        .size:           4
        .value_kind:     by_value
      - .actual_access:  read_only
        .address_space:  global
        .offset:         16
        .size:           8
        .value_kind:     global_buffer
      - .actual_access:  read_only
        .address_space:  global
        .offset:         24
        .size:           8
        .value_kind:     global_buffer
      - .actual_access:  read_only
        .address_space:  global
        .offset:         32
        .size:           8
        .value_kind:     global_buffer
      - .offset:         40
        .size:           4
        .value_kind:     by_value
      - .offset:         44
        .size:           4
        .value_kind:     by_value
      - .offset:         48
        .size:           4
        .value_kind:     by_value
      - .actual_access:  write_only
        .address_space:  global
        .offset:         56
        .size:           8
        .value_kind:     global_buffer
      - .actual_access:  write_only
        .address_space:  global
        .offset:         64
        .size:           8
        .value_kind:     global_buffer
      - .actual_access:  write_only
        .address_space:  global
        .offset:         72
        .size:           8
        .value_kind:     global_buffer
    .group_segment_fixed_size: 0
    .kernarg_segment_align: 8
    .kernarg_segment_size: 80
    .language:       OpenCL C
    .language_version:
      - 2
      - 0
    .max_flat_workgroup_size: 1024
    .name:           _ZN9rocsparseL37gebsr2csr_block_per_row_33_128_kernelILi1024ELi32ELi64ELi32ELi32E21rocsparse_complex_numIfEEEv20rocsparse_direction_ii21rocsparse_index_base_PKT4_PKiS9_iiS4_PS5_PiSB_
    .private_segment_fixed_size: 0
    .sgpr_count:     29
    .sgpr_spill_count: 0
    .symbol:         _ZN9rocsparseL37gebsr2csr_block_per_row_33_128_kernelILi1024ELi32ELi64ELi32ELi32E21rocsparse_complex_numIfEEEv20rocsparse_direction_ii21rocsparse_index_base_PKT4_PKiS9_iiS4_PS5_PiSB_.kd
    .uniform_work_group_size: 1
    .uses_dynamic_stack: false
    .vgpr_count:     14
    .vgpr_spill_count: 0
    .wavefront_size: 64
  - .agpr_count:     0
    .args:
      - .offset:         0
        .size:           4
        .value_kind:     by_value
      - .offset:         4
        .size:           4
        .value_kind:     by_value
      - .offset:         8
        .size:           4
        .value_kind:     by_value
      - .offset:         12
        .size:           4
        .value_kind:     by_value
      - .actual_access:  read_only
        .address_space:  global
        .offset:         16
        .size:           8
        .value_kind:     global_buffer
      - .actual_access:  read_only
        .address_space:  global
        .offset:         24
        .size:           8
        .value_kind:     global_buffer
      - .actual_access:  read_only
        .address_space:  global
        .offset:         32
        .size:           8
        .value_kind:     global_buffer
      - .offset:         40
        .size:           4
        .value_kind:     by_value
      - .offset:         44
        .size:           4
        .value_kind:     by_value
      - .offset:         48
        .size:           4
        .value_kind:     by_value
      - .actual_access:  write_only
        .address_space:  global
        .offset:         56
        .size:           8
        .value_kind:     global_buffer
      - .actual_access:  write_only
        .address_space:  global
        .offset:         64
        .size:           8
        .value_kind:     global_buffer
      - .actual_access:  write_only
        .address_space:  global
        .offset:         72
        .size:           8
        .value_kind:     global_buffer
    .group_segment_fixed_size: 0
    .kernarg_segment_align: 8
    .kernarg_segment_size: 80
    .language:       OpenCL C
    .language_version:
      - 2
      - 0
    .max_flat_workgroup_size: 1024
    .name:           _ZN9rocsparseL37gebsr2csr_block_per_row_33_128_kernelILi1024ELi32ELi128ELi32ELi32E21rocsparse_complex_numIfEEEv20rocsparse_direction_ii21rocsparse_index_base_PKT4_PKiS9_iiS4_PS5_PiSB_
    .private_segment_fixed_size: 0
    .sgpr_count:     33
    .sgpr_spill_count: 0
    .symbol:         _ZN9rocsparseL37gebsr2csr_block_per_row_33_128_kernelILi1024ELi32ELi128ELi32ELi32E21rocsparse_complex_numIfEEEv20rocsparse_direction_ii21rocsparse_index_base_PKT4_PKiS9_iiS4_PS5_PiSB_.kd
    .uniform_work_group_size: 1
    .uses_dynamic_stack: false
    .vgpr_count:     19
    .vgpr_spill_count: 0
    .wavefront_size: 64
  - .agpr_count:     0
    .args:
      - .offset:         0
        .size:           4
        .value_kind:     by_value
      - .offset:         4
        .size:           4
        .value_kind:     by_value
      - .offset:         8
        .size:           4
        .value_kind:     by_value
      - .offset:         12
        .size:           4
        .value_kind:     by_value
      - .actual_access:  read_only
        .address_space:  global
        .offset:         16
        .size:           8
        .value_kind:     global_buffer
      - .actual_access:  read_only
        .address_space:  global
        .offset:         24
        .size:           8
        .value_kind:     global_buffer
      - .actual_access:  read_only
        .address_space:  global
        .offset:         32
        .size:           8
        .value_kind:     global_buffer
      - .offset:         40
        .size:           4
        .value_kind:     by_value
      - .offset:         44
        .size:           4
        .value_kind:     by_value
      - .offset:         48
        .size:           4
        .value_kind:     by_value
      - .actual_access:  write_only
        .address_space:  global
        .offset:         56
        .size:           8
        .value_kind:     global_buffer
      - .actual_access:  write_only
        .address_space:  global
        .offset:         64
        .size:           8
        .value_kind:     global_buffer
      - .actual_access:  write_only
        .address_space:  global
        .offset:         72
        .size:           8
        .value_kind:     global_buffer
    .group_segment_fixed_size: 0
    .kernarg_segment_align: 8
    .kernarg_segment_size: 80
    .language:       OpenCL C
    .language_version:
      - 2
      - 0
    .max_flat_workgroup_size: 1024
    .name:           _ZN9rocsparseL37gebsr2csr_block_per_row_33_128_kernelILi1024ELi64ELi2ELi32ELi2E21rocsparse_complex_numIfEEEv20rocsparse_direction_ii21rocsparse_index_base_PKT4_PKiS9_iiS4_PS5_PiSB_
    .private_segment_fixed_size: 0
    .sgpr_count:     33
    .sgpr_spill_count: 0
    .symbol:         _ZN9rocsparseL37gebsr2csr_block_per_row_33_128_kernelILi1024ELi64ELi2ELi32ELi2E21rocsparse_complex_numIfEEEv20rocsparse_direction_ii21rocsparse_index_base_PKT4_PKiS9_iiS4_PS5_PiSB_.kd
    .uniform_work_group_size: 1
    .uses_dynamic_stack: false
    .vgpr_count:     15
    .vgpr_spill_count: 0
    .wavefront_size: 64
  - .agpr_count:     0
    .args:
      - .offset:         0
        .size:           4
        .value_kind:     by_value
      - .offset:         4
        .size:           4
        .value_kind:     by_value
      - .offset:         8
        .size:           4
        .value_kind:     by_value
      - .offset:         12
        .size:           4
        .value_kind:     by_value
      - .actual_access:  read_only
        .address_space:  global
        .offset:         16
        .size:           8
        .value_kind:     global_buffer
      - .actual_access:  read_only
        .address_space:  global
        .offset:         24
        .size:           8
        .value_kind:     global_buffer
      - .actual_access:  read_only
        .address_space:  global
        .offset:         32
        .size:           8
        .value_kind:     global_buffer
      - .offset:         40
        .size:           4
        .value_kind:     by_value
      - .offset:         44
        .size:           4
        .value_kind:     by_value
      - .offset:         48
        .size:           4
        .value_kind:     by_value
      - .actual_access:  write_only
        .address_space:  global
        .offset:         56
        .size:           8
        .value_kind:     global_buffer
      - .actual_access:  write_only
        .address_space:  global
        .offset:         64
        .size:           8
        .value_kind:     global_buffer
      - .actual_access:  write_only
        .address_space:  global
        .offset:         72
        .size:           8
        .value_kind:     global_buffer
    .group_segment_fixed_size: 0
    .kernarg_segment_align: 8
    .kernarg_segment_size: 80
    .language:       OpenCL C
    .language_version:
      - 2
      - 0
    .max_flat_workgroup_size: 1024
    .name:           _ZN9rocsparseL37gebsr2csr_block_per_row_33_128_kernelILi1024ELi64ELi4ELi32ELi4E21rocsparse_complex_numIfEEEv20rocsparse_direction_ii21rocsparse_index_base_PKT4_PKiS9_iiS4_PS5_PiSB_
    .private_segment_fixed_size: 0
    .sgpr_count:     33
    .sgpr_spill_count: 0
    .symbol:         _ZN9rocsparseL37gebsr2csr_block_per_row_33_128_kernelILi1024ELi64ELi4ELi32ELi4E21rocsparse_complex_numIfEEEv20rocsparse_direction_ii21rocsparse_index_base_PKT4_PKiS9_iiS4_PS5_PiSB_.kd
    .uniform_work_group_size: 1
    .uses_dynamic_stack: false
    .vgpr_count:     15
    .vgpr_spill_count: 0
    .wavefront_size: 64
  - .agpr_count:     0
    .args:
      - .offset:         0
        .size:           4
        .value_kind:     by_value
      - .offset:         4
        .size:           4
        .value_kind:     by_value
      - .offset:         8
        .size:           4
        .value_kind:     by_value
      - .offset:         12
        .size:           4
        .value_kind:     by_value
      - .actual_access:  read_only
        .address_space:  global
        .offset:         16
        .size:           8
        .value_kind:     global_buffer
      - .actual_access:  read_only
        .address_space:  global
        .offset:         24
        .size:           8
        .value_kind:     global_buffer
      - .actual_access:  read_only
        .address_space:  global
        .offset:         32
        .size:           8
        .value_kind:     global_buffer
      - .offset:         40
        .size:           4
        .value_kind:     by_value
      - .offset:         44
        .size:           4
        .value_kind:     by_value
      - .offset:         48
        .size:           4
        .value_kind:     by_value
      - .actual_access:  write_only
        .address_space:  global
        .offset:         56
        .size:           8
        .value_kind:     global_buffer
      - .actual_access:  write_only
        .address_space:  global
        .offset:         64
        .size:           8
        .value_kind:     global_buffer
      - .actual_access:  write_only
        .address_space:  global
        .offset:         72
        .size:           8
        .value_kind:     global_buffer
    .group_segment_fixed_size: 0
    .kernarg_segment_align: 8
    .kernarg_segment_size: 80
    .language:       OpenCL C
    .language_version:
      - 2
      - 0
    .max_flat_workgroup_size: 1024
    .name:           _ZN9rocsparseL37gebsr2csr_block_per_row_33_128_kernelILi1024ELi64ELi8ELi32ELi8E21rocsparse_complex_numIfEEEv20rocsparse_direction_ii21rocsparse_index_base_PKT4_PKiS9_iiS4_PS5_PiSB_
    .private_segment_fixed_size: 0
    .sgpr_count:     33
    .sgpr_spill_count: 0
    .symbol:         _ZN9rocsparseL37gebsr2csr_block_per_row_33_128_kernelILi1024ELi64ELi8ELi32ELi8E21rocsparse_complex_numIfEEEv20rocsparse_direction_ii21rocsparse_index_base_PKT4_PKiS9_iiS4_PS5_PiSB_.kd
    .uniform_work_group_size: 1
    .uses_dynamic_stack: false
    .vgpr_count:     15
    .vgpr_spill_count: 0
    .wavefront_size: 64
  - .agpr_count:     0
    .args:
      - .offset:         0
        .size:           4
        .value_kind:     by_value
      - .offset:         4
        .size:           4
        .value_kind:     by_value
      - .offset:         8
        .size:           4
        .value_kind:     by_value
      - .offset:         12
        .size:           4
        .value_kind:     by_value
      - .actual_access:  read_only
        .address_space:  global
        .offset:         16
        .size:           8
        .value_kind:     global_buffer
      - .actual_access:  read_only
        .address_space:  global
        .offset:         24
        .size:           8
        .value_kind:     global_buffer
      - .actual_access:  read_only
        .address_space:  global
        .offset:         32
        .size:           8
        .value_kind:     global_buffer
      - .offset:         40
        .size:           4
        .value_kind:     by_value
      - .offset:         44
        .size:           4
        .value_kind:     by_value
      - .offset:         48
        .size:           4
        .value_kind:     by_value
      - .actual_access:  write_only
        .address_space:  global
        .offset:         56
        .size:           8
        .value_kind:     global_buffer
      - .actual_access:  write_only
        .address_space:  global
        .offset:         64
        .size:           8
        .value_kind:     global_buffer
      - .actual_access:  write_only
        .address_space:  global
        .offset:         72
        .size:           8
        .value_kind:     global_buffer
    .group_segment_fixed_size: 0
    .kernarg_segment_align: 8
    .kernarg_segment_size: 80
    .language:       OpenCL C
    .language_version:
      - 2
      - 0
    .max_flat_workgroup_size: 1024
    .name:           _ZN9rocsparseL37gebsr2csr_block_per_row_33_128_kernelILi1024ELi64ELi16ELi32ELi16E21rocsparse_complex_numIfEEEv20rocsparse_direction_ii21rocsparse_index_base_PKT4_PKiS9_iiS4_PS5_PiSB_
    .private_segment_fixed_size: 0
    .sgpr_count:     33
    .sgpr_spill_count: 0
    .symbol:         _ZN9rocsparseL37gebsr2csr_block_per_row_33_128_kernelILi1024ELi64ELi16ELi32ELi16E21rocsparse_complex_numIfEEEv20rocsparse_direction_ii21rocsparse_index_base_PKT4_PKiS9_iiS4_PS5_PiSB_.kd
    .uniform_work_group_size: 1
    .uses_dynamic_stack: false
    .vgpr_count:     15
    .vgpr_spill_count: 0
    .wavefront_size: 64
  - .agpr_count:     0
    .args:
      - .offset:         0
        .size:           4
        .value_kind:     by_value
      - .offset:         4
        .size:           4
        .value_kind:     by_value
      - .offset:         8
        .size:           4
        .value_kind:     by_value
      - .offset:         12
        .size:           4
        .value_kind:     by_value
      - .actual_access:  read_only
        .address_space:  global
        .offset:         16
        .size:           8
        .value_kind:     global_buffer
      - .actual_access:  read_only
        .address_space:  global
        .offset:         24
        .size:           8
        .value_kind:     global_buffer
      - .actual_access:  read_only
        .address_space:  global
        .offset:         32
        .size:           8
        .value_kind:     global_buffer
      - .offset:         40
        .size:           4
        .value_kind:     by_value
      - .offset:         44
        .size:           4
        .value_kind:     by_value
      - .offset:         48
        .size:           4
        .value_kind:     by_value
      - .actual_access:  write_only
        .address_space:  global
        .offset:         56
        .size:           8
        .value_kind:     global_buffer
      - .actual_access:  write_only
        .address_space:  global
        .offset:         64
        .size:           8
        .value_kind:     global_buffer
      - .actual_access:  write_only
        .address_space:  global
        .offset:         72
        .size:           8
        .value_kind:     global_buffer
    .group_segment_fixed_size: 0
    .kernarg_segment_align: 8
    .kernarg_segment_size: 80
    .language:       OpenCL C
    .language_version:
      - 2
      - 0
    .max_flat_workgroup_size: 1024
    .name:           _ZN9rocsparseL37gebsr2csr_block_per_row_33_128_kernelILi1024ELi64ELi32ELi32ELi32E21rocsparse_complex_numIfEEEv20rocsparse_direction_ii21rocsparse_index_base_PKT4_PKiS9_iiS4_PS5_PiSB_
    .private_segment_fixed_size: 0
    .sgpr_count:     33
    .sgpr_spill_count: 0
    .symbol:         _ZN9rocsparseL37gebsr2csr_block_per_row_33_128_kernelILi1024ELi64ELi32ELi32ELi32E21rocsparse_complex_numIfEEEv20rocsparse_direction_ii21rocsparse_index_base_PKT4_PKiS9_iiS4_PS5_PiSB_.kd
    .uniform_work_group_size: 1
    .uses_dynamic_stack: false
    .vgpr_count:     15
    .vgpr_spill_count: 0
    .wavefront_size: 64
  - .agpr_count:     0
    .args:
      - .offset:         0
        .size:           4
        .value_kind:     by_value
      - .offset:         4
        .size:           4
        .value_kind:     by_value
      - .offset:         8
        .size:           4
        .value_kind:     by_value
      - .offset:         12
        .size:           4
        .value_kind:     by_value
      - .actual_access:  read_only
        .address_space:  global
        .offset:         16
        .size:           8
        .value_kind:     global_buffer
      - .actual_access:  read_only
        .address_space:  global
        .offset:         24
        .size:           8
        .value_kind:     global_buffer
      - .actual_access:  read_only
        .address_space:  global
        .offset:         32
        .size:           8
        .value_kind:     global_buffer
      - .offset:         40
        .size:           4
        .value_kind:     by_value
      - .offset:         44
        .size:           4
        .value_kind:     by_value
      - .offset:         48
        .size:           4
        .value_kind:     by_value
      - .actual_access:  write_only
        .address_space:  global
        .offset:         56
        .size:           8
        .value_kind:     global_buffer
      - .actual_access:  write_only
        .address_space:  global
        .offset:         64
        .size:           8
        .value_kind:     global_buffer
      - .actual_access:  write_only
        .address_space:  global
        .offset:         72
        .size:           8
        .value_kind:     global_buffer
    .group_segment_fixed_size: 0
    .kernarg_segment_align: 8
    .kernarg_segment_size: 80
    .language:       OpenCL C
    .language_version:
      - 2
      - 0
    .max_flat_workgroup_size: 1024
    .name:           _ZN9rocsparseL37gebsr2csr_block_per_row_33_128_kernelILi1024ELi64ELi64ELi32ELi32E21rocsparse_complex_numIfEEEv20rocsparse_direction_ii21rocsparse_index_base_PKT4_PKiS9_iiS4_PS5_PiSB_
    .private_segment_fixed_size: 0
    .sgpr_count:     34
    .sgpr_spill_count: 0
    .symbol:         _ZN9rocsparseL37gebsr2csr_block_per_row_33_128_kernelILi1024ELi64ELi64ELi32ELi32E21rocsparse_complex_numIfEEEv20rocsparse_direction_ii21rocsparse_index_base_PKT4_PKiS9_iiS4_PS5_PiSB_.kd
    .uniform_work_group_size: 1
    .uses_dynamic_stack: false
    .vgpr_count:     20
    .vgpr_spill_count: 0
    .wavefront_size: 64
  - .agpr_count:     0
    .args:
      - .offset:         0
        .size:           4
        .value_kind:     by_value
      - .offset:         4
        .size:           4
        .value_kind:     by_value
      - .offset:         8
        .size:           4
        .value_kind:     by_value
      - .offset:         12
        .size:           4
        .value_kind:     by_value
      - .actual_access:  read_only
        .address_space:  global
        .offset:         16
        .size:           8
        .value_kind:     global_buffer
      - .actual_access:  read_only
        .address_space:  global
        .offset:         24
        .size:           8
        .value_kind:     global_buffer
      - .actual_access:  read_only
        .address_space:  global
        .offset:         32
        .size:           8
        .value_kind:     global_buffer
      - .offset:         40
        .size:           4
        .value_kind:     by_value
      - .offset:         44
        .size:           4
        .value_kind:     by_value
      - .offset:         48
        .size:           4
        .value_kind:     by_value
      - .actual_access:  write_only
        .address_space:  global
        .offset:         56
        .size:           8
        .value_kind:     global_buffer
      - .actual_access:  write_only
        .address_space:  global
        .offset:         64
        .size:           8
        .value_kind:     global_buffer
      - .actual_access:  write_only
        .address_space:  global
        .offset:         72
        .size:           8
        .value_kind:     global_buffer
    .group_segment_fixed_size: 0
    .kernarg_segment_align: 8
    .kernarg_segment_size: 80
    .language:       OpenCL C
    .language_version:
      - 2
      - 0
    .max_flat_workgroup_size: 1024
    .name:           _ZN9rocsparseL37gebsr2csr_block_per_row_33_128_kernelILi1024ELi64ELi128ELi32ELi32E21rocsparse_complex_numIfEEEv20rocsparse_direction_ii21rocsparse_index_base_PKT4_PKiS9_iiS4_PS5_PiSB_
    .private_segment_fixed_size: 0
    .sgpr_count:     46
    .sgpr_spill_count: 0
    .symbol:         _ZN9rocsparseL37gebsr2csr_block_per_row_33_128_kernelILi1024ELi64ELi128ELi32ELi32E21rocsparse_complex_numIfEEEv20rocsparse_direction_ii21rocsparse_index_base_PKT4_PKiS9_iiS4_PS5_PiSB_.kd
    .uniform_work_group_size: 1
    .uses_dynamic_stack: false
    .vgpr_count:     25
    .vgpr_spill_count: 0
    .wavefront_size: 64
  - .agpr_count:     0
    .args:
      - .offset:         0
        .size:           4
        .value_kind:     by_value
      - .offset:         4
        .size:           4
        .value_kind:     by_value
      - .offset:         8
        .size:           4
        .value_kind:     by_value
      - .offset:         12
        .size:           4
        .value_kind:     by_value
      - .actual_access:  read_only
        .address_space:  global
        .offset:         16
        .size:           8
        .value_kind:     global_buffer
      - .actual_access:  read_only
        .address_space:  global
        .offset:         24
        .size:           8
        .value_kind:     global_buffer
      - .actual_access:  read_only
        .address_space:  global
        .offset:         32
        .size:           8
        .value_kind:     global_buffer
      - .offset:         40
        .size:           4
        .value_kind:     by_value
      - .offset:         44
        .size:           4
        .value_kind:     by_value
      - .offset:         48
        .size:           4
        .value_kind:     by_value
      - .actual_access:  write_only
        .address_space:  global
        .offset:         56
        .size:           8
        .value_kind:     global_buffer
      - .actual_access:  write_only
        .address_space:  global
        .offset:         64
        .size:           8
        .value_kind:     global_buffer
      - .actual_access:  write_only
        .address_space:  global
        .offset:         72
        .size:           8
        .value_kind:     global_buffer
    .group_segment_fixed_size: 0
    .kernarg_segment_align: 8
    .kernarg_segment_size: 80
    .language:       OpenCL C
    .language_version:
      - 2
      - 0
    .max_flat_workgroup_size: 1024
    .name:           _ZN9rocsparseL37gebsr2csr_block_per_row_33_128_kernelILi1024ELi128ELi2ELi32ELi2E21rocsparse_complex_numIfEEEv20rocsparse_direction_ii21rocsparse_index_base_PKT4_PKiS9_iiS4_PS5_PiSB_
    .private_segment_fixed_size: 0
    .sgpr_count:     34
    .sgpr_spill_count: 0
    .symbol:         _ZN9rocsparseL37gebsr2csr_block_per_row_33_128_kernelILi1024ELi128ELi2ELi32ELi2E21rocsparse_complex_numIfEEEv20rocsparse_direction_ii21rocsparse_index_base_PKT4_PKiS9_iiS4_PS5_PiSB_.kd
    .uniform_work_group_size: 1
    .uses_dynamic_stack: false
    .vgpr_count:     19
    .vgpr_spill_count: 0
    .wavefront_size: 64
  - .agpr_count:     0
    .args:
      - .offset:         0
        .size:           4
        .value_kind:     by_value
      - .offset:         4
        .size:           4
        .value_kind:     by_value
      - .offset:         8
        .size:           4
        .value_kind:     by_value
      - .offset:         12
        .size:           4
        .value_kind:     by_value
      - .actual_access:  read_only
        .address_space:  global
        .offset:         16
        .size:           8
        .value_kind:     global_buffer
      - .actual_access:  read_only
        .address_space:  global
        .offset:         24
        .size:           8
        .value_kind:     global_buffer
      - .actual_access:  read_only
        .address_space:  global
        .offset:         32
        .size:           8
        .value_kind:     global_buffer
      - .offset:         40
        .size:           4
        .value_kind:     by_value
      - .offset:         44
        .size:           4
        .value_kind:     by_value
      - .offset:         48
        .size:           4
        .value_kind:     by_value
      - .actual_access:  write_only
        .address_space:  global
        .offset:         56
        .size:           8
        .value_kind:     global_buffer
      - .actual_access:  write_only
        .address_space:  global
        .offset:         64
        .size:           8
        .value_kind:     global_buffer
      - .actual_access:  write_only
        .address_space:  global
        .offset:         72
        .size:           8
        .value_kind:     global_buffer
    .group_segment_fixed_size: 0
    .kernarg_segment_align: 8
    .kernarg_segment_size: 80
    .language:       OpenCL C
    .language_version:
      - 2
      - 0
    .max_flat_workgroup_size: 1024
    .name:           _ZN9rocsparseL37gebsr2csr_block_per_row_33_128_kernelILi1024ELi128ELi4ELi32ELi4E21rocsparse_complex_numIfEEEv20rocsparse_direction_ii21rocsparse_index_base_PKT4_PKiS9_iiS4_PS5_PiSB_
    .private_segment_fixed_size: 0
    .sgpr_count:     34
    .sgpr_spill_count: 0
    .symbol:         _ZN9rocsparseL37gebsr2csr_block_per_row_33_128_kernelILi1024ELi128ELi4ELi32ELi4E21rocsparse_complex_numIfEEEv20rocsparse_direction_ii21rocsparse_index_base_PKT4_PKiS9_iiS4_PS5_PiSB_.kd
    .uniform_work_group_size: 1
    .uses_dynamic_stack: false
    .vgpr_count:     19
    .vgpr_spill_count: 0
    .wavefront_size: 64
  - .agpr_count:     0
    .args:
      - .offset:         0
        .size:           4
        .value_kind:     by_value
      - .offset:         4
        .size:           4
        .value_kind:     by_value
      - .offset:         8
        .size:           4
        .value_kind:     by_value
      - .offset:         12
        .size:           4
        .value_kind:     by_value
      - .actual_access:  read_only
        .address_space:  global
        .offset:         16
        .size:           8
        .value_kind:     global_buffer
      - .actual_access:  read_only
        .address_space:  global
        .offset:         24
        .size:           8
        .value_kind:     global_buffer
      - .actual_access:  read_only
        .address_space:  global
        .offset:         32
        .size:           8
        .value_kind:     global_buffer
      - .offset:         40
        .size:           4
        .value_kind:     by_value
      - .offset:         44
        .size:           4
        .value_kind:     by_value
      - .offset:         48
        .size:           4
        .value_kind:     by_value
      - .actual_access:  write_only
        .address_space:  global
        .offset:         56
        .size:           8
        .value_kind:     global_buffer
      - .actual_access:  write_only
        .address_space:  global
        .offset:         64
        .size:           8
        .value_kind:     global_buffer
      - .actual_access:  write_only
        .address_space:  global
        .offset:         72
        .size:           8
        .value_kind:     global_buffer
    .group_segment_fixed_size: 0
    .kernarg_segment_align: 8
    .kernarg_segment_size: 80
    .language:       OpenCL C
    .language_version:
      - 2
      - 0
    .max_flat_workgroup_size: 1024
    .name:           _ZN9rocsparseL37gebsr2csr_block_per_row_33_128_kernelILi1024ELi128ELi8ELi32ELi8E21rocsparse_complex_numIfEEEv20rocsparse_direction_ii21rocsparse_index_base_PKT4_PKiS9_iiS4_PS5_PiSB_
    .private_segment_fixed_size: 0
    .sgpr_count:     34
    .sgpr_spill_count: 0
    .symbol:         _ZN9rocsparseL37gebsr2csr_block_per_row_33_128_kernelILi1024ELi128ELi8ELi32ELi8E21rocsparse_complex_numIfEEEv20rocsparse_direction_ii21rocsparse_index_base_PKT4_PKiS9_iiS4_PS5_PiSB_.kd
    .uniform_work_group_size: 1
    .uses_dynamic_stack: false
    .vgpr_count:     19
    .vgpr_spill_count: 0
    .wavefront_size: 64
  - .agpr_count:     0
    .args:
      - .offset:         0
        .size:           4
        .value_kind:     by_value
      - .offset:         4
        .size:           4
        .value_kind:     by_value
      - .offset:         8
        .size:           4
        .value_kind:     by_value
      - .offset:         12
        .size:           4
        .value_kind:     by_value
      - .actual_access:  read_only
        .address_space:  global
        .offset:         16
        .size:           8
        .value_kind:     global_buffer
      - .actual_access:  read_only
        .address_space:  global
        .offset:         24
        .size:           8
        .value_kind:     global_buffer
      - .actual_access:  read_only
        .address_space:  global
        .offset:         32
        .size:           8
        .value_kind:     global_buffer
      - .offset:         40
        .size:           4
        .value_kind:     by_value
      - .offset:         44
        .size:           4
        .value_kind:     by_value
      - .offset:         48
        .size:           4
        .value_kind:     by_value
      - .actual_access:  write_only
        .address_space:  global
        .offset:         56
        .size:           8
        .value_kind:     global_buffer
      - .actual_access:  write_only
        .address_space:  global
        .offset:         64
        .size:           8
        .value_kind:     global_buffer
      - .actual_access:  write_only
        .address_space:  global
        .offset:         72
        .size:           8
        .value_kind:     global_buffer
    .group_segment_fixed_size: 0
    .kernarg_segment_align: 8
    .kernarg_segment_size: 80
    .language:       OpenCL C
    .language_version:
      - 2
      - 0
    .max_flat_workgroup_size: 1024
    .name:           _ZN9rocsparseL37gebsr2csr_block_per_row_33_128_kernelILi1024ELi128ELi16ELi32ELi16E21rocsparse_complex_numIfEEEv20rocsparse_direction_ii21rocsparse_index_base_PKT4_PKiS9_iiS4_PS5_PiSB_
    .private_segment_fixed_size: 0
    .sgpr_count:     34
    .sgpr_spill_count: 0
    .symbol:         _ZN9rocsparseL37gebsr2csr_block_per_row_33_128_kernelILi1024ELi128ELi16ELi32ELi16E21rocsparse_complex_numIfEEEv20rocsparse_direction_ii21rocsparse_index_base_PKT4_PKiS9_iiS4_PS5_PiSB_.kd
    .uniform_work_group_size: 1
    .uses_dynamic_stack: false
    .vgpr_count:     19
    .vgpr_spill_count: 0
    .wavefront_size: 64
  - .agpr_count:     0
    .args:
      - .offset:         0
        .size:           4
        .value_kind:     by_value
      - .offset:         4
        .size:           4
        .value_kind:     by_value
      - .offset:         8
        .size:           4
        .value_kind:     by_value
      - .offset:         12
        .size:           4
        .value_kind:     by_value
      - .actual_access:  read_only
        .address_space:  global
        .offset:         16
        .size:           8
        .value_kind:     global_buffer
      - .actual_access:  read_only
        .address_space:  global
        .offset:         24
        .size:           8
        .value_kind:     global_buffer
      - .actual_access:  read_only
        .address_space:  global
        .offset:         32
        .size:           8
        .value_kind:     global_buffer
      - .offset:         40
        .size:           4
        .value_kind:     by_value
      - .offset:         44
        .size:           4
        .value_kind:     by_value
      - .offset:         48
        .size:           4
        .value_kind:     by_value
      - .actual_access:  write_only
        .address_space:  global
        .offset:         56
        .size:           8
        .value_kind:     global_buffer
      - .actual_access:  write_only
        .address_space:  global
        .offset:         64
        .size:           8
        .value_kind:     global_buffer
      - .actual_access:  write_only
        .address_space:  global
        .offset:         72
        .size:           8
        .value_kind:     global_buffer
    .group_segment_fixed_size: 0
    .kernarg_segment_align: 8
    .kernarg_segment_size: 80
    .language:       OpenCL C
    .language_version:
      - 2
      - 0
    .max_flat_workgroup_size: 1024
    .name:           _ZN9rocsparseL37gebsr2csr_block_per_row_33_128_kernelILi1024ELi128ELi32ELi32ELi32E21rocsparse_complex_numIfEEEv20rocsparse_direction_ii21rocsparse_index_base_PKT4_PKiS9_iiS4_PS5_PiSB_
    .private_segment_fixed_size: 0
    .sgpr_count:     34
    .sgpr_spill_count: 0
    .symbol:         _ZN9rocsparseL37gebsr2csr_block_per_row_33_128_kernelILi1024ELi128ELi32ELi32ELi32E21rocsparse_complex_numIfEEEv20rocsparse_direction_ii21rocsparse_index_base_PKT4_PKiS9_iiS4_PS5_PiSB_.kd
    .uniform_work_group_size: 1
    .uses_dynamic_stack: false
    .vgpr_count:     19
    .vgpr_spill_count: 0
    .wavefront_size: 64
  - .agpr_count:     0
    .args:
      - .offset:         0
        .size:           4
        .value_kind:     by_value
      - .offset:         4
        .size:           4
        .value_kind:     by_value
      - .offset:         8
        .size:           4
        .value_kind:     by_value
      - .offset:         12
        .size:           4
        .value_kind:     by_value
      - .actual_access:  read_only
        .address_space:  global
        .offset:         16
        .size:           8
        .value_kind:     global_buffer
      - .actual_access:  read_only
        .address_space:  global
        .offset:         24
        .size:           8
        .value_kind:     global_buffer
      - .actual_access:  read_only
        .address_space:  global
        .offset:         32
        .size:           8
        .value_kind:     global_buffer
      - .offset:         40
        .size:           4
        .value_kind:     by_value
      - .offset:         44
        .size:           4
        .value_kind:     by_value
      - .offset:         48
        .size:           4
        .value_kind:     by_value
      - .actual_access:  write_only
        .address_space:  global
        .offset:         56
        .size:           8
        .value_kind:     global_buffer
      - .actual_access:  write_only
        .address_space:  global
        .offset:         64
        .size:           8
        .value_kind:     global_buffer
      - .actual_access:  write_only
        .address_space:  global
        .offset:         72
        .size:           8
        .value_kind:     global_buffer
    .group_segment_fixed_size: 0
    .kernarg_segment_align: 8
    .kernarg_segment_size: 80
    .language:       OpenCL C
    .language_version:
      - 2
      - 0
    .max_flat_workgroup_size: 1024
    .name:           _ZN9rocsparseL37gebsr2csr_block_per_row_33_128_kernelILi1024ELi128ELi64ELi32ELi32E21rocsparse_complex_numIfEEEv20rocsparse_direction_ii21rocsparse_index_base_PKT4_PKiS9_iiS4_PS5_PiSB_
    .private_segment_fixed_size: 0
    .sgpr_count:     44
    .sgpr_spill_count: 0
    .symbol:         _ZN9rocsparseL37gebsr2csr_block_per_row_33_128_kernelILi1024ELi128ELi64ELi32ELi32E21rocsparse_complex_numIfEEEv20rocsparse_direction_ii21rocsparse_index_base_PKT4_PKiS9_iiS4_PS5_PiSB_.kd
    .uniform_work_group_size: 1
    .uses_dynamic_stack: false
    .vgpr_count:     24
    .vgpr_spill_count: 0
    .wavefront_size: 64
  - .agpr_count:     0
    .args:
      - .offset:         0
        .size:           4
        .value_kind:     by_value
      - .offset:         4
        .size:           4
        .value_kind:     by_value
      - .offset:         8
        .size:           4
        .value_kind:     by_value
      - .offset:         12
        .size:           4
        .value_kind:     by_value
      - .actual_access:  read_only
        .address_space:  global
        .offset:         16
        .size:           8
        .value_kind:     global_buffer
      - .actual_access:  read_only
        .address_space:  global
        .offset:         24
        .size:           8
        .value_kind:     global_buffer
      - .actual_access:  read_only
        .address_space:  global
        .offset:         32
        .size:           8
        .value_kind:     global_buffer
      - .offset:         40
        .size:           4
        .value_kind:     by_value
      - .offset:         44
        .size:           4
        .value_kind:     by_value
      - .offset:         48
        .size:           4
        .value_kind:     by_value
      - .actual_access:  write_only
        .address_space:  global
        .offset:         56
        .size:           8
        .value_kind:     global_buffer
      - .actual_access:  write_only
        .address_space:  global
        .offset:         64
        .size:           8
        .value_kind:     global_buffer
      - .actual_access:  write_only
        .address_space:  global
        .offset:         72
        .size:           8
        .value_kind:     global_buffer
    .group_segment_fixed_size: 0
    .kernarg_segment_align: 8
    .kernarg_segment_size: 80
    .language:       OpenCL C
    .language_version:
      - 2
      - 0
    .max_flat_workgroup_size: 1024
    .name:           _ZN9rocsparseL37gebsr2csr_block_per_row_33_128_kernelILi1024ELi128ELi128ELi32ELi32E21rocsparse_complex_numIfEEEv20rocsparse_direction_ii21rocsparse_index_base_PKT4_PKiS9_iiS4_PS5_PiSB_
    .private_segment_fixed_size: 0
    .sgpr_count:     62
    .sgpr_spill_count: 0
    .symbol:         _ZN9rocsparseL37gebsr2csr_block_per_row_33_128_kernelILi1024ELi128ELi128ELi32ELi32E21rocsparse_complex_numIfEEEv20rocsparse_direction_ii21rocsparse_index_base_PKT4_PKiS9_iiS4_PS5_PiSB_.kd
    .uniform_work_group_size: 1
    .uses_dynamic_stack: false
    .vgpr_count:     32
    .vgpr_spill_count: 0
    .wavefront_size: 64
  - .agpr_count:     0
    .args:
      - .offset:         0
        .size:           4
        .value_kind:     by_value
      - .offset:         4
        .size:           4
        .value_kind:     by_value
      - .offset:         8
        .size:           4
        .value_kind:     by_value
      - .offset:         12
        .size:           4
        .value_kind:     by_value
      - .actual_access:  read_only
        .address_space:  global
        .offset:         16
        .size:           8
        .value_kind:     global_buffer
      - .actual_access:  read_only
        .address_space:  global
        .offset:         24
        .size:           8
        .value_kind:     global_buffer
      - .actual_access:  read_only
        .address_space:  global
        .offset:         32
        .size:           8
        .value_kind:     global_buffer
      - .offset:         40
        .size:           4
        .value_kind:     by_value
      - .offset:         44
        .size:           4
        .value_kind:     by_value
      - .offset:         48
        .size:           4
        .value_kind:     by_value
      - .actual_access:  write_only
        .address_space:  global
        .offset:         56
        .size:           8
        .value_kind:     global_buffer
      - .actual_access:  write_only
        .address_space:  global
        .offset:         64
        .size:           8
        .value_kind:     global_buffer
      - .actual_access:  write_only
        .address_space:  global
        .offset:         72
        .size:           8
        .value_kind:     global_buffer
    .group_segment_fixed_size: 0
    .kernarg_segment_align: 8
    .kernarg_segment_size: 80
    .language:       OpenCL C
    .language_version:
      - 2
      - 0
    .max_flat_workgroup_size: 256
    .name:           _ZN9rocsparseL35gebsr2csr_block_per_row_1_32_kernelILi256ELi2ELi2E21rocsparse_complex_numIdEEEv20rocsparse_direction_ii21rocsparse_index_base_PKT2_PKiS9_iiS4_PS5_PiSB_
    .private_segment_fixed_size: 0
    .sgpr_count:     23
    .sgpr_spill_count: 0
    .symbol:         _ZN9rocsparseL35gebsr2csr_block_per_row_1_32_kernelILi256ELi2ELi2E21rocsparse_complex_numIdEEEv20rocsparse_direction_ii21rocsparse_index_base_PKT2_PKiS9_iiS4_PS5_PiSB_.kd
    .uniform_work_group_size: 1
    .uses_dynamic_stack: false
    .vgpr_count:     22
    .vgpr_spill_count: 0
    .wavefront_size: 64
  - .agpr_count:     0
    .args:
      - .offset:         0
        .size:           4
        .value_kind:     by_value
      - .offset:         4
        .size:           4
        .value_kind:     by_value
      - .offset:         8
        .size:           4
        .value_kind:     by_value
      - .offset:         12
        .size:           4
        .value_kind:     by_value
      - .actual_access:  read_only
        .address_space:  global
        .offset:         16
        .size:           8
        .value_kind:     global_buffer
      - .actual_access:  read_only
        .address_space:  global
        .offset:         24
        .size:           8
        .value_kind:     global_buffer
      - .actual_access:  read_only
        .address_space:  global
        .offset:         32
        .size:           8
        .value_kind:     global_buffer
      - .offset:         40
        .size:           4
        .value_kind:     by_value
      - .offset:         44
        .size:           4
        .value_kind:     by_value
      - .offset:         48
        .size:           4
        .value_kind:     by_value
      - .actual_access:  write_only
        .address_space:  global
        .offset:         56
        .size:           8
        .value_kind:     global_buffer
      - .actual_access:  write_only
        .address_space:  global
        .offset:         64
        .size:           8
        .value_kind:     global_buffer
      - .actual_access:  write_only
        .address_space:  global
        .offset:         72
        .size:           8
        .value_kind:     global_buffer
    .group_segment_fixed_size: 0
    .kernarg_segment_align: 8
    .kernarg_segment_size: 80
    .language:       OpenCL C
    .language_version:
      - 2
      - 0
    .max_flat_workgroup_size: 256
    .name:           _ZN9rocsparseL35gebsr2csr_block_per_row_1_32_kernelILi256ELi2ELi4E21rocsparse_complex_numIdEEEv20rocsparse_direction_ii21rocsparse_index_base_PKT2_PKiS9_iiS4_PS5_PiSB_
    .private_segment_fixed_size: 0
    .sgpr_count:     23
    .sgpr_spill_count: 0
    .symbol:         _ZN9rocsparseL35gebsr2csr_block_per_row_1_32_kernelILi256ELi2ELi4E21rocsparse_complex_numIdEEEv20rocsparse_direction_ii21rocsparse_index_base_PKT2_PKiS9_iiS4_PS5_PiSB_.kd
    .uniform_work_group_size: 1
    .uses_dynamic_stack: false
    .vgpr_count:     22
    .vgpr_spill_count: 0
    .wavefront_size: 64
  - .agpr_count:     0
    .args:
      - .offset:         0
        .size:           4
        .value_kind:     by_value
      - .offset:         4
        .size:           4
        .value_kind:     by_value
      - .offset:         8
        .size:           4
        .value_kind:     by_value
      - .offset:         12
        .size:           4
        .value_kind:     by_value
      - .actual_access:  read_only
        .address_space:  global
        .offset:         16
        .size:           8
        .value_kind:     global_buffer
      - .actual_access:  read_only
        .address_space:  global
        .offset:         24
        .size:           8
        .value_kind:     global_buffer
      - .actual_access:  read_only
        .address_space:  global
        .offset:         32
        .size:           8
        .value_kind:     global_buffer
      - .offset:         40
        .size:           4
        .value_kind:     by_value
      - .offset:         44
        .size:           4
        .value_kind:     by_value
      - .offset:         48
        .size:           4
        .value_kind:     by_value
      - .actual_access:  write_only
        .address_space:  global
        .offset:         56
        .size:           8
        .value_kind:     global_buffer
      - .actual_access:  write_only
        .address_space:  global
        .offset:         64
        .size:           8
        .value_kind:     global_buffer
      - .actual_access:  write_only
        .address_space:  global
        .offset:         72
        .size:           8
        .value_kind:     global_buffer
    .group_segment_fixed_size: 0
    .kernarg_segment_align: 8
    .kernarg_segment_size: 80
    .language:       OpenCL C
    .language_version:
      - 2
      - 0
    .max_flat_workgroup_size: 256
    .name:           _ZN9rocsparseL35gebsr2csr_block_per_row_1_32_kernelILi256ELi2ELi8E21rocsparse_complex_numIdEEEv20rocsparse_direction_ii21rocsparse_index_base_PKT2_PKiS9_iiS4_PS5_PiSB_
    .private_segment_fixed_size: 0
    .sgpr_count:     23
    .sgpr_spill_count: 0
    .symbol:         _ZN9rocsparseL35gebsr2csr_block_per_row_1_32_kernelILi256ELi2ELi8E21rocsparse_complex_numIdEEEv20rocsparse_direction_ii21rocsparse_index_base_PKT2_PKiS9_iiS4_PS5_PiSB_.kd
    .uniform_work_group_size: 1
    .uses_dynamic_stack: false
    .vgpr_count:     22
    .vgpr_spill_count: 0
    .wavefront_size: 64
  - .agpr_count:     0
    .args:
      - .offset:         0
        .size:           4
        .value_kind:     by_value
      - .offset:         4
        .size:           4
        .value_kind:     by_value
      - .offset:         8
        .size:           4
        .value_kind:     by_value
      - .offset:         12
        .size:           4
        .value_kind:     by_value
      - .actual_access:  read_only
        .address_space:  global
        .offset:         16
        .size:           8
        .value_kind:     global_buffer
      - .actual_access:  read_only
        .address_space:  global
        .offset:         24
        .size:           8
        .value_kind:     global_buffer
      - .actual_access:  read_only
        .address_space:  global
        .offset:         32
        .size:           8
        .value_kind:     global_buffer
      - .offset:         40
        .size:           4
        .value_kind:     by_value
      - .offset:         44
        .size:           4
        .value_kind:     by_value
      - .offset:         48
        .size:           4
        .value_kind:     by_value
      - .actual_access:  write_only
        .address_space:  global
        .offset:         56
        .size:           8
        .value_kind:     global_buffer
      - .actual_access:  write_only
        .address_space:  global
        .offset:         64
        .size:           8
        .value_kind:     global_buffer
      - .actual_access:  write_only
        .address_space:  global
        .offset:         72
        .size:           8
        .value_kind:     global_buffer
    .group_segment_fixed_size: 0
    .kernarg_segment_align: 8
    .kernarg_segment_size: 80
    .language:       OpenCL C
    .language_version:
      - 2
      - 0
    .max_flat_workgroup_size: 256
    .name:           _ZN9rocsparseL35gebsr2csr_block_per_row_1_32_kernelILi256ELi2ELi16E21rocsparse_complex_numIdEEEv20rocsparse_direction_ii21rocsparse_index_base_PKT2_PKiS9_iiS4_PS5_PiSB_
    .private_segment_fixed_size: 0
    .sgpr_count:     23
    .sgpr_spill_count: 0
    .symbol:         _ZN9rocsparseL35gebsr2csr_block_per_row_1_32_kernelILi256ELi2ELi16E21rocsparse_complex_numIdEEEv20rocsparse_direction_ii21rocsparse_index_base_PKT2_PKiS9_iiS4_PS5_PiSB_.kd
    .uniform_work_group_size: 1
    .uses_dynamic_stack: false
    .vgpr_count:     22
    .vgpr_spill_count: 0
    .wavefront_size: 64
  - .agpr_count:     0
    .args:
      - .offset:         0
        .size:           4
        .value_kind:     by_value
      - .offset:         4
        .size:           4
        .value_kind:     by_value
      - .offset:         8
        .size:           4
        .value_kind:     by_value
      - .offset:         12
        .size:           4
        .value_kind:     by_value
      - .actual_access:  read_only
        .address_space:  global
        .offset:         16
        .size:           8
        .value_kind:     global_buffer
      - .actual_access:  read_only
        .address_space:  global
        .offset:         24
        .size:           8
        .value_kind:     global_buffer
      - .actual_access:  read_only
        .address_space:  global
        .offset:         32
        .size:           8
        .value_kind:     global_buffer
      - .offset:         40
        .size:           4
        .value_kind:     by_value
      - .offset:         44
        .size:           4
        .value_kind:     by_value
      - .offset:         48
        .size:           4
        .value_kind:     by_value
      - .actual_access:  write_only
        .address_space:  global
        .offset:         56
        .size:           8
        .value_kind:     global_buffer
      - .actual_access:  write_only
        .address_space:  global
        .offset:         64
        .size:           8
        .value_kind:     global_buffer
      - .actual_access:  write_only
        .address_space:  global
        .offset:         72
        .size:           8
        .value_kind:     global_buffer
    .group_segment_fixed_size: 0
    .kernarg_segment_align: 8
    .kernarg_segment_size: 80
    .language:       OpenCL C
    .language_version:
      - 2
      - 0
    .max_flat_workgroup_size: 256
    .name:           _ZN9rocsparseL35gebsr2csr_block_per_row_1_32_kernelILi256ELi2ELi32E21rocsparse_complex_numIdEEEv20rocsparse_direction_ii21rocsparse_index_base_PKT2_PKiS9_iiS4_PS5_PiSB_
    .private_segment_fixed_size: 0
    .sgpr_count:     23
    .sgpr_spill_count: 0
    .symbol:         _ZN9rocsparseL35gebsr2csr_block_per_row_1_32_kernelILi256ELi2ELi32E21rocsparse_complex_numIdEEEv20rocsparse_direction_ii21rocsparse_index_base_PKT2_PKiS9_iiS4_PS5_PiSB_.kd
    .uniform_work_group_size: 1
    .uses_dynamic_stack: false
    .vgpr_count:     22
    .vgpr_spill_count: 0
    .wavefront_size: 64
  - .agpr_count:     0
    .args:
      - .offset:         0
        .size:           4
        .value_kind:     by_value
      - .offset:         4
        .size:           4
        .value_kind:     by_value
      - .offset:         8
        .size:           4
        .value_kind:     by_value
      - .offset:         12
        .size:           4
        .value_kind:     by_value
      - .actual_access:  read_only
        .address_space:  global
        .offset:         16
        .size:           8
        .value_kind:     global_buffer
      - .actual_access:  read_only
        .address_space:  global
        .offset:         24
        .size:           8
        .value_kind:     global_buffer
      - .actual_access:  read_only
        .address_space:  global
        .offset:         32
        .size:           8
        .value_kind:     global_buffer
      - .offset:         40
        .size:           4
        .value_kind:     by_value
      - .offset:         44
        .size:           4
        .value_kind:     by_value
      - .offset:         48
        .size:           4
        .value_kind:     by_value
      - .actual_access:  write_only
        .address_space:  global
        .offset:         56
        .size:           8
        .value_kind:     global_buffer
      - .actual_access:  write_only
        .address_space:  global
        .offset:         64
        .size:           8
        .value_kind:     global_buffer
      - .actual_access:  write_only
        .address_space:  global
        .offset:         72
        .size:           8
        .value_kind:     global_buffer
    .group_segment_fixed_size: 0
    .kernarg_segment_align: 8
    .kernarg_segment_size: 80
    .language:       OpenCL C
    .language_version:
      - 2
      - 0
    .max_flat_workgroup_size: 256
    .name:           _ZN9rocsparseL37gebsr2csr_block_per_row_33_128_kernelILi256ELi2ELi64ELi2ELi32E21rocsparse_complex_numIdEEEv20rocsparse_direction_ii21rocsparse_index_base_PKT4_PKiS9_iiS4_PS5_PiSB_
    .private_segment_fixed_size: 0
    .sgpr_count:     29
    .sgpr_spill_count: 0
    .symbol:         _ZN9rocsparseL37gebsr2csr_block_per_row_33_128_kernelILi256ELi2ELi64ELi2ELi32E21rocsparse_complex_numIdEEEv20rocsparse_direction_ii21rocsparse_index_base_PKT4_PKiS9_iiS4_PS5_PiSB_.kd
    .uniform_work_group_size: 1
    .uses_dynamic_stack: false
    .vgpr_count:     16
    .vgpr_spill_count: 0
    .wavefront_size: 64
  - .agpr_count:     0
    .args:
      - .offset:         0
        .size:           4
        .value_kind:     by_value
      - .offset:         4
        .size:           4
        .value_kind:     by_value
      - .offset:         8
        .size:           4
        .value_kind:     by_value
      - .offset:         12
        .size:           4
        .value_kind:     by_value
      - .actual_access:  read_only
        .address_space:  global
        .offset:         16
        .size:           8
        .value_kind:     global_buffer
      - .actual_access:  read_only
        .address_space:  global
        .offset:         24
        .size:           8
        .value_kind:     global_buffer
      - .actual_access:  read_only
        .address_space:  global
        .offset:         32
        .size:           8
        .value_kind:     global_buffer
      - .offset:         40
        .size:           4
        .value_kind:     by_value
      - .offset:         44
        .size:           4
        .value_kind:     by_value
      - .offset:         48
        .size:           4
        .value_kind:     by_value
      - .actual_access:  write_only
        .address_space:  global
        .offset:         56
        .size:           8
        .value_kind:     global_buffer
      - .actual_access:  write_only
        .address_space:  global
        .offset:         64
        .size:           8
        .value_kind:     global_buffer
      - .actual_access:  write_only
        .address_space:  global
        .offset:         72
        .size:           8
        .value_kind:     global_buffer
    .group_segment_fixed_size: 0
    .kernarg_segment_align: 8
    .kernarg_segment_size: 80
    .language:       OpenCL C
    .language_version:
      - 2
      - 0
    .max_flat_workgroup_size: 256
    .name:           _ZN9rocsparseL37gebsr2csr_block_per_row_33_128_kernelILi256ELi2ELi128ELi2ELi32E21rocsparse_complex_numIdEEEv20rocsparse_direction_ii21rocsparse_index_base_PKT4_PKiS9_iiS4_PS5_PiSB_
    .private_segment_fixed_size: 0
    .sgpr_count:     33
    .sgpr_spill_count: 0
    .symbol:         _ZN9rocsparseL37gebsr2csr_block_per_row_33_128_kernelILi256ELi2ELi128ELi2ELi32E21rocsparse_complex_numIdEEEv20rocsparse_direction_ii21rocsparse_index_base_PKT4_PKiS9_iiS4_PS5_PiSB_.kd
    .uniform_work_group_size: 1
    .uses_dynamic_stack: false
    .vgpr_count:     21
    .vgpr_spill_count: 0
    .wavefront_size: 64
  - .agpr_count:     0
    .args:
      - .offset:         0
        .size:           4
        .value_kind:     by_value
      - .offset:         4
        .size:           4
        .value_kind:     by_value
      - .offset:         8
        .size:           4
        .value_kind:     by_value
      - .offset:         12
        .size:           4
        .value_kind:     by_value
      - .actual_access:  read_only
        .address_space:  global
        .offset:         16
        .size:           8
        .value_kind:     global_buffer
      - .actual_access:  read_only
        .address_space:  global
        .offset:         24
        .size:           8
        .value_kind:     global_buffer
      - .actual_access:  read_only
        .address_space:  global
        .offset:         32
        .size:           8
        .value_kind:     global_buffer
      - .offset:         40
        .size:           4
        .value_kind:     by_value
      - .offset:         44
        .size:           4
        .value_kind:     by_value
      - .offset:         48
        .size:           4
        .value_kind:     by_value
      - .actual_access:  write_only
        .address_space:  global
        .offset:         56
        .size:           8
        .value_kind:     global_buffer
      - .actual_access:  write_only
        .address_space:  global
        .offset:         64
        .size:           8
        .value_kind:     global_buffer
      - .actual_access:  write_only
        .address_space:  global
        .offset:         72
        .size:           8
        .value_kind:     global_buffer
    .group_segment_fixed_size: 0
    .kernarg_segment_align: 8
    .kernarg_segment_size: 80
    .language:       OpenCL C
    .language_version:
      - 2
      - 0
    .max_flat_workgroup_size: 256
    .name:           _ZN9rocsparseL35gebsr2csr_block_per_row_1_32_kernelILi256ELi4ELi2E21rocsparse_complex_numIdEEEv20rocsparse_direction_ii21rocsparse_index_base_PKT2_PKiS9_iiS4_PS5_PiSB_
    .private_segment_fixed_size: 0
    .sgpr_count:     23
    .sgpr_spill_count: 0
    .symbol:         _ZN9rocsparseL35gebsr2csr_block_per_row_1_32_kernelILi256ELi4ELi2E21rocsparse_complex_numIdEEEv20rocsparse_direction_ii21rocsparse_index_base_PKT2_PKiS9_iiS4_PS5_PiSB_.kd
    .uniform_work_group_size: 1
    .uses_dynamic_stack: false
    .vgpr_count:     22
    .vgpr_spill_count: 0
    .wavefront_size: 64
  - .agpr_count:     0
    .args:
      - .offset:         0
        .size:           4
        .value_kind:     by_value
      - .offset:         4
        .size:           4
        .value_kind:     by_value
      - .offset:         8
        .size:           4
        .value_kind:     by_value
      - .offset:         12
        .size:           4
        .value_kind:     by_value
      - .actual_access:  read_only
        .address_space:  global
        .offset:         16
        .size:           8
        .value_kind:     global_buffer
      - .actual_access:  read_only
        .address_space:  global
        .offset:         24
        .size:           8
        .value_kind:     global_buffer
      - .actual_access:  read_only
        .address_space:  global
        .offset:         32
        .size:           8
        .value_kind:     global_buffer
      - .offset:         40
        .size:           4
        .value_kind:     by_value
      - .offset:         44
        .size:           4
        .value_kind:     by_value
      - .offset:         48
        .size:           4
        .value_kind:     by_value
      - .actual_access:  write_only
        .address_space:  global
        .offset:         56
        .size:           8
        .value_kind:     global_buffer
      - .actual_access:  write_only
        .address_space:  global
        .offset:         64
        .size:           8
        .value_kind:     global_buffer
      - .actual_access:  write_only
        .address_space:  global
        .offset:         72
        .size:           8
        .value_kind:     global_buffer
    .group_segment_fixed_size: 0
    .kernarg_segment_align: 8
    .kernarg_segment_size: 80
    .language:       OpenCL C
    .language_version:
      - 2
      - 0
    .max_flat_workgroup_size: 256
    .name:           _ZN9rocsparseL35gebsr2csr_block_per_row_1_32_kernelILi256ELi4ELi4E21rocsparse_complex_numIdEEEv20rocsparse_direction_ii21rocsparse_index_base_PKT2_PKiS9_iiS4_PS5_PiSB_
    .private_segment_fixed_size: 0
    .sgpr_count:     23
    .sgpr_spill_count: 0
    .symbol:         _ZN9rocsparseL35gebsr2csr_block_per_row_1_32_kernelILi256ELi4ELi4E21rocsparse_complex_numIdEEEv20rocsparse_direction_ii21rocsparse_index_base_PKT2_PKiS9_iiS4_PS5_PiSB_.kd
    .uniform_work_group_size: 1
    .uses_dynamic_stack: false
    .vgpr_count:     22
    .vgpr_spill_count: 0
    .wavefront_size: 64
  - .agpr_count:     0
    .args:
      - .offset:         0
        .size:           4
        .value_kind:     by_value
      - .offset:         4
        .size:           4
        .value_kind:     by_value
      - .offset:         8
        .size:           4
        .value_kind:     by_value
      - .offset:         12
        .size:           4
        .value_kind:     by_value
      - .actual_access:  read_only
        .address_space:  global
        .offset:         16
        .size:           8
        .value_kind:     global_buffer
      - .actual_access:  read_only
        .address_space:  global
        .offset:         24
        .size:           8
        .value_kind:     global_buffer
      - .actual_access:  read_only
        .address_space:  global
        .offset:         32
        .size:           8
        .value_kind:     global_buffer
      - .offset:         40
        .size:           4
        .value_kind:     by_value
      - .offset:         44
        .size:           4
        .value_kind:     by_value
      - .offset:         48
        .size:           4
        .value_kind:     by_value
      - .actual_access:  write_only
        .address_space:  global
        .offset:         56
        .size:           8
        .value_kind:     global_buffer
      - .actual_access:  write_only
        .address_space:  global
        .offset:         64
        .size:           8
        .value_kind:     global_buffer
      - .actual_access:  write_only
        .address_space:  global
        .offset:         72
        .size:           8
        .value_kind:     global_buffer
    .group_segment_fixed_size: 0
    .kernarg_segment_align: 8
    .kernarg_segment_size: 80
    .language:       OpenCL C
    .language_version:
      - 2
      - 0
    .max_flat_workgroup_size: 256
    .name:           _ZN9rocsparseL35gebsr2csr_block_per_row_1_32_kernelILi256ELi4ELi8E21rocsparse_complex_numIdEEEv20rocsparse_direction_ii21rocsparse_index_base_PKT2_PKiS9_iiS4_PS5_PiSB_
    .private_segment_fixed_size: 0
    .sgpr_count:     23
    .sgpr_spill_count: 0
    .symbol:         _ZN9rocsparseL35gebsr2csr_block_per_row_1_32_kernelILi256ELi4ELi8E21rocsparse_complex_numIdEEEv20rocsparse_direction_ii21rocsparse_index_base_PKT2_PKiS9_iiS4_PS5_PiSB_.kd
    .uniform_work_group_size: 1
    .uses_dynamic_stack: false
    .vgpr_count:     22
    .vgpr_spill_count: 0
    .wavefront_size: 64
  - .agpr_count:     0
    .args:
      - .offset:         0
        .size:           4
        .value_kind:     by_value
      - .offset:         4
        .size:           4
        .value_kind:     by_value
      - .offset:         8
        .size:           4
        .value_kind:     by_value
      - .offset:         12
        .size:           4
        .value_kind:     by_value
      - .actual_access:  read_only
        .address_space:  global
        .offset:         16
        .size:           8
        .value_kind:     global_buffer
      - .actual_access:  read_only
        .address_space:  global
        .offset:         24
        .size:           8
        .value_kind:     global_buffer
      - .actual_access:  read_only
        .address_space:  global
        .offset:         32
        .size:           8
        .value_kind:     global_buffer
      - .offset:         40
        .size:           4
        .value_kind:     by_value
      - .offset:         44
        .size:           4
        .value_kind:     by_value
      - .offset:         48
        .size:           4
        .value_kind:     by_value
      - .actual_access:  write_only
        .address_space:  global
        .offset:         56
        .size:           8
        .value_kind:     global_buffer
      - .actual_access:  write_only
        .address_space:  global
        .offset:         64
        .size:           8
        .value_kind:     global_buffer
      - .actual_access:  write_only
        .address_space:  global
        .offset:         72
        .size:           8
        .value_kind:     global_buffer
    .group_segment_fixed_size: 0
    .kernarg_segment_align: 8
    .kernarg_segment_size: 80
    .language:       OpenCL C
    .language_version:
      - 2
      - 0
    .max_flat_workgroup_size: 1024
    .name:           _ZN9rocsparseL35gebsr2csr_block_per_row_1_32_kernelILi1024ELi4ELi16E21rocsparse_complex_numIdEEEv20rocsparse_direction_ii21rocsparse_index_base_PKT2_PKiS9_iiS4_PS5_PiSB_
    .private_segment_fixed_size: 0
    .sgpr_count:     23
    .sgpr_spill_count: 0
    .symbol:         _ZN9rocsparseL35gebsr2csr_block_per_row_1_32_kernelILi1024ELi4ELi16E21rocsparse_complex_numIdEEEv20rocsparse_direction_ii21rocsparse_index_base_PKT2_PKiS9_iiS4_PS5_PiSB_.kd
    .uniform_work_group_size: 1
    .uses_dynamic_stack: false
    .vgpr_count:     22
    .vgpr_spill_count: 0
    .wavefront_size: 64
  - .agpr_count:     0
    .args:
      - .offset:         0
        .size:           4
        .value_kind:     by_value
      - .offset:         4
        .size:           4
        .value_kind:     by_value
      - .offset:         8
        .size:           4
        .value_kind:     by_value
      - .offset:         12
        .size:           4
        .value_kind:     by_value
      - .actual_access:  read_only
        .address_space:  global
        .offset:         16
        .size:           8
        .value_kind:     global_buffer
      - .actual_access:  read_only
        .address_space:  global
        .offset:         24
        .size:           8
        .value_kind:     global_buffer
      - .actual_access:  read_only
        .address_space:  global
        .offset:         32
        .size:           8
        .value_kind:     global_buffer
      - .offset:         40
        .size:           4
        .value_kind:     by_value
      - .offset:         44
        .size:           4
        .value_kind:     by_value
      - .offset:         48
        .size:           4
        .value_kind:     by_value
      - .actual_access:  write_only
        .address_space:  global
        .offset:         56
        .size:           8
        .value_kind:     global_buffer
      - .actual_access:  write_only
        .address_space:  global
        .offset:         64
        .size:           8
        .value_kind:     global_buffer
      - .actual_access:  write_only
        .address_space:  global
        .offset:         72
        .size:           8
        .value_kind:     global_buffer
    .group_segment_fixed_size: 0
    .kernarg_segment_align: 8
    .kernarg_segment_size: 80
    .language:       OpenCL C
    .language_version:
      - 2
      - 0
    .max_flat_workgroup_size: 1024
    .name:           _ZN9rocsparseL35gebsr2csr_block_per_row_1_32_kernelILi1024ELi4ELi32E21rocsparse_complex_numIdEEEv20rocsparse_direction_ii21rocsparse_index_base_PKT2_PKiS9_iiS4_PS5_PiSB_
    .private_segment_fixed_size: 0
    .sgpr_count:     23
    .sgpr_spill_count: 0
    .symbol:         _ZN9rocsparseL35gebsr2csr_block_per_row_1_32_kernelILi1024ELi4ELi32E21rocsparse_complex_numIdEEEv20rocsparse_direction_ii21rocsparse_index_base_PKT2_PKiS9_iiS4_PS5_PiSB_.kd
    .uniform_work_group_size: 1
    .uses_dynamic_stack: false
    .vgpr_count:     22
    .vgpr_spill_count: 0
    .wavefront_size: 64
  - .agpr_count:     0
    .args:
      - .offset:         0
        .size:           4
        .value_kind:     by_value
      - .offset:         4
        .size:           4
        .value_kind:     by_value
      - .offset:         8
        .size:           4
        .value_kind:     by_value
      - .offset:         12
        .size:           4
        .value_kind:     by_value
      - .actual_access:  read_only
        .address_space:  global
        .offset:         16
        .size:           8
        .value_kind:     global_buffer
      - .actual_access:  read_only
        .address_space:  global
        .offset:         24
        .size:           8
        .value_kind:     global_buffer
      - .actual_access:  read_only
        .address_space:  global
        .offset:         32
        .size:           8
        .value_kind:     global_buffer
      - .offset:         40
        .size:           4
        .value_kind:     by_value
      - .offset:         44
        .size:           4
        .value_kind:     by_value
      - .offset:         48
        .size:           4
        .value_kind:     by_value
      - .actual_access:  write_only
        .address_space:  global
        .offset:         56
        .size:           8
        .value_kind:     global_buffer
      - .actual_access:  write_only
        .address_space:  global
        .offset:         64
        .size:           8
        .value_kind:     global_buffer
      - .actual_access:  write_only
        .address_space:  global
        .offset:         72
        .size:           8
        .value_kind:     global_buffer
    .group_segment_fixed_size: 0
    .kernarg_segment_align: 8
    .kernarg_segment_size: 80
    .language:       OpenCL C
    .language_version:
      - 2
      - 0
    .max_flat_workgroup_size: 1024
    .name:           _ZN9rocsparseL37gebsr2csr_block_per_row_33_128_kernelILi1024ELi4ELi64ELi4ELi32E21rocsparse_complex_numIdEEEv20rocsparse_direction_ii21rocsparse_index_base_PKT4_PKiS9_iiS4_PS5_PiSB_
    .private_segment_fixed_size: 0
    .sgpr_count:     29
    .sgpr_spill_count: 0
    .symbol:         _ZN9rocsparseL37gebsr2csr_block_per_row_33_128_kernelILi1024ELi4ELi64ELi4ELi32E21rocsparse_complex_numIdEEEv20rocsparse_direction_ii21rocsparse_index_base_PKT4_PKiS9_iiS4_PS5_PiSB_.kd
    .uniform_work_group_size: 1
    .uses_dynamic_stack: false
    .vgpr_count:     16
    .vgpr_spill_count: 0
    .wavefront_size: 64
  - .agpr_count:     0
    .args:
      - .offset:         0
        .size:           4
        .value_kind:     by_value
      - .offset:         4
        .size:           4
        .value_kind:     by_value
      - .offset:         8
        .size:           4
        .value_kind:     by_value
      - .offset:         12
        .size:           4
        .value_kind:     by_value
      - .actual_access:  read_only
        .address_space:  global
        .offset:         16
        .size:           8
        .value_kind:     global_buffer
      - .actual_access:  read_only
        .address_space:  global
        .offset:         24
        .size:           8
        .value_kind:     global_buffer
      - .actual_access:  read_only
        .address_space:  global
        .offset:         32
        .size:           8
        .value_kind:     global_buffer
      - .offset:         40
        .size:           4
        .value_kind:     by_value
      - .offset:         44
        .size:           4
        .value_kind:     by_value
      - .offset:         48
        .size:           4
        .value_kind:     by_value
      - .actual_access:  write_only
        .address_space:  global
        .offset:         56
        .size:           8
        .value_kind:     global_buffer
      - .actual_access:  write_only
        .address_space:  global
        .offset:         64
        .size:           8
        .value_kind:     global_buffer
      - .actual_access:  write_only
        .address_space:  global
        .offset:         72
        .size:           8
        .value_kind:     global_buffer
    .group_segment_fixed_size: 0
    .kernarg_segment_align: 8
    .kernarg_segment_size: 80
    .language:       OpenCL C
    .language_version:
      - 2
      - 0
    .max_flat_workgroup_size: 1024
    .name:           _ZN9rocsparseL37gebsr2csr_block_per_row_33_128_kernelILi1024ELi4ELi128ELi4ELi32E21rocsparse_complex_numIdEEEv20rocsparse_direction_ii21rocsparse_index_base_PKT4_PKiS9_iiS4_PS5_PiSB_
    .private_segment_fixed_size: 0
    .sgpr_count:     33
    .sgpr_spill_count: 0
    .symbol:         _ZN9rocsparseL37gebsr2csr_block_per_row_33_128_kernelILi1024ELi4ELi128ELi4ELi32E21rocsparse_complex_numIdEEEv20rocsparse_direction_ii21rocsparse_index_base_PKT4_PKiS9_iiS4_PS5_PiSB_.kd
    .uniform_work_group_size: 1
    .uses_dynamic_stack: false
    .vgpr_count:     21
    .vgpr_spill_count: 0
    .wavefront_size: 64
  - .agpr_count:     0
    .args:
      - .offset:         0
        .size:           4
        .value_kind:     by_value
      - .offset:         4
        .size:           4
        .value_kind:     by_value
      - .offset:         8
        .size:           4
        .value_kind:     by_value
      - .offset:         12
        .size:           4
        .value_kind:     by_value
      - .actual_access:  read_only
        .address_space:  global
        .offset:         16
        .size:           8
        .value_kind:     global_buffer
      - .actual_access:  read_only
        .address_space:  global
        .offset:         24
        .size:           8
        .value_kind:     global_buffer
      - .actual_access:  read_only
        .address_space:  global
        .offset:         32
        .size:           8
        .value_kind:     global_buffer
      - .offset:         40
        .size:           4
        .value_kind:     by_value
      - .offset:         44
        .size:           4
        .value_kind:     by_value
      - .offset:         48
        .size:           4
        .value_kind:     by_value
      - .actual_access:  write_only
        .address_space:  global
        .offset:         56
        .size:           8
        .value_kind:     global_buffer
      - .actual_access:  write_only
        .address_space:  global
        .offset:         64
        .size:           8
        .value_kind:     global_buffer
      - .actual_access:  write_only
        .address_space:  global
        .offset:         72
        .size:           8
        .value_kind:     global_buffer
    .group_segment_fixed_size: 0
    .kernarg_segment_align: 8
    .kernarg_segment_size: 80
    .language:       OpenCL C
    .language_version:
      - 2
      - 0
    .max_flat_workgroup_size: 1024
    .name:           _ZN9rocsparseL35gebsr2csr_block_per_row_1_32_kernelILi1024ELi8ELi2E21rocsparse_complex_numIdEEEv20rocsparse_direction_ii21rocsparse_index_base_PKT2_PKiS9_iiS4_PS5_PiSB_
    .private_segment_fixed_size: 0
    .sgpr_count:     23
    .sgpr_spill_count: 0
    .symbol:         _ZN9rocsparseL35gebsr2csr_block_per_row_1_32_kernelILi1024ELi8ELi2E21rocsparse_complex_numIdEEEv20rocsparse_direction_ii21rocsparse_index_base_PKT2_PKiS9_iiS4_PS5_PiSB_.kd
    .uniform_work_group_size: 1
    .uses_dynamic_stack: false
    .vgpr_count:     22
    .vgpr_spill_count: 0
    .wavefront_size: 64
  - .agpr_count:     0
    .args:
      - .offset:         0
        .size:           4
        .value_kind:     by_value
      - .offset:         4
        .size:           4
        .value_kind:     by_value
      - .offset:         8
        .size:           4
        .value_kind:     by_value
      - .offset:         12
        .size:           4
        .value_kind:     by_value
      - .actual_access:  read_only
        .address_space:  global
        .offset:         16
        .size:           8
        .value_kind:     global_buffer
      - .actual_access:  read_only
        .address_space:  global
        .offset:         24
        .size:           8
        .value_kind:     global_buffer
      - .actual_access:  read_only
        .address_space:  global
        .offset:         32
        .size:           8
        .value_kind:     global_buffer
      - .offset:         40
        .size:           4
        .value_kind:     by_value
      - .offset:         44
        .size:           4
        .value_kind:     by_value
      - .offset:         48
        .size:           4
        .value_kind:     by_value
      - .actual_access:  write_only
        .address_space:  global
        .offset:         56
        .size:           8
        .value_kind:     global_buffer
      - .actual_access:  write_only
        .address_space:  global
        .offset:         64
        .size:           8
        .value_kind:     global_buffer
      - .actual_access:  write_only
        .address_space:  global
        .offset:         72
        .size:           8
        .value_kind:     global_buffer
    .group_segment_fixed_size: 0
    .kernarg_segment_align: 8
    .kernarg_segment_size: 80
    .language:       OpenCL C
    .language_version:
      - 2
      - 0
    .max_flat_workgroup_size: 1024
    .name:           _ZN9rocsparseL35gebsr2csr_block_per_row_1_32_kernelILi1024ELi8ELi4E21rocsparse_complex_numIdEEEv20rocsparse_direction_ii21rocsparse_index_base_PKT2_PKiS9_iiS4_PS5_PiSB_
    .private_segment_fixed_size: 0
    .sgpr_count:     23
    .sgpr_spill_count: 0
    .symbol:         _ZN9rocsparseL35gebsr2csr_block_per_row_1_32_kernelILi1024ELi8ELi4E21rocsparse_complex_numIdEEEv20rocsparse_direction_ii21rocsparse_index_base_PKT2_PKiS9_iiS4_PS5_PiSB_.kd
    .uniform_work_group_size: 1
    .uses_dynamic_stack: false
    .vgpr_count:     22
    .vgpr_spill_count: 0
    .wavefront_size: 64
  - .agpr_count:     0
    .args:
      - .offset:         0
        .size:           4
        .value_kind:     by_value
      - .offset:         4
        .size:           4
        .value_kind:     by_value
      - .offset:         8
        .size:           4
        .value_kind:     by_value
      - .offset:         12
        .size:           4
        .value_kind:     by_value
      - .actual_access:  read_only
        .address_space:  global
        .offset:         16
        .size:           8
        .value_kind:     global_buffer
      - .actual_access:  read_only
        .address_space:  global
        .offset:         24
        .size:           8
        .value_kind:     global_buffer
      - .actual_access:  read_only
        .address_space:  global
        .offset:         32
        .size:           8
        .value_kind:     global_buffer
      - .offset:         40
        .size:           4
        .value_kind:     by_value
      - .offset:         44
        .size:           4
        .value_kind:     by_value
      - .offset:         48
        .size:           4
        .value_kind:     by_value
      - .actual_access:  write_only
        .address_space:  global
        .offset:         56
        .size:           8
        .value_kind:     global_buffer
      - .actual_access:  write_only
        .address_space:  global
        .offset:         64
        .size:           8
        .value_kind:     global_buffer
      - .actual_access:  write_only
        .address_space:  global
        .offset:         72
        .size:           8
        .value_kind:     global_buffer
    .group_segment_fixed_size: 0
    .kernarg_segment_align: 8
    .kernarg_segment_size: 80
    .language:       OpenCL C
    .language_version:
      - 2
      - 0
    .max_flat_workgroup_size: 1024
    .name:           _ZN9rocsparseL35gebsr2csr_block_per_row_1_32_kernelILi1024ELi8ELi8E21rocsparse_complex_numIdEEEv20rocsparse_direction_ii21rocsparse_index_base_PKT2_PKiS9_iiS4_PS5_PiSB_
    .private_segment_fixed_size: 0
    .sgpr_count:     23
    .sgpr_spill_count: 0
    .symbol:         _ZN9rocsparseL35gebsr2csr_block_per_row_1_32_kernelILi1024ELi8ELi8E21rocsparse_complex_numIdEEEv20rocsparse_direction_ii21rocsparse_index_base_PKT2_PKiS9_iiS4_PS5_PiSB_.kd
    .uniform_work_group_size: 1
    .uses_dynamic_stack: false
    .vgpr_count:     22
    .vgpr_spill_count: 0
    .wavefront_size: 64
  - .agpr_count:     0
    .args:
      - .offset:         0
        .size:           4
        .value_kind:     by_value
      - .offset:         4
        .size:           4
        .value_kind:     by_value
      - .offset:         8
        .size:           4
        .value_kind:     by_value
      - .offset:         12
        .size:           4
        .value_kind:     by_value
      - .actual_access:  read_only
        .address_space:  global
        .offset:         16
        .size:           8
        .value_kind:     global_buffer
      - .actual_access:  read_only
        .address_space:  global
        .offset:         24
        .size:           8
        .value_kind:     global_buffer
      - .actual_access:  read_only
        .address_space:  global
        .offset:         32
        .size:           8
        .value_kind:     global_buffer
      - .offset:         40
        .size:           4
        .value_kind:     by_value
      - .offset:         44
        .size:           4
        .value_kind:     by_value
      - .offset:         48
        .size:           4
        .value_kind:     by_value
      - .actual_access:  write_only
        .address_space:  global
        .offset:         56
        .size:           8
        .value_kind:     global_buffer
      - .actual_access:  write_only
        .address_space:  global
        .offset:         64
        .size:           8
        .value_kind:     global_buffer
      - .actual_access:  write_only
        .address_space:  global
        .offset:         72
        .size:           8
        .value_kind:     global_buffer
    .group_segment_fixed_size: 0
    .kernarg_segment_align: 8
    .kernarg_segment_size: 80
    .language:       OpenCL C
    .language_version:
      - 2
      - 0
    .max_flat_workgroup_size: 1024
    .name:           _ZN9rocsparseL35gebsr2csr_block_per_row_1_32_kernelILi1024ELi8ELi16E21rocsparse_complex_numIdEEEv20rocsparse_direction_ii21rocsparse_index_base_PKT2_PKiS9_iiS4_PS5_PiSB_
    .private_segment_fixed_size: 0
    .sgpr_count:     23
    .sgpr_spill_count: 0
    .symbol:         _ZN9rocsparseL35gebsr2csr_block_per_row_1_32_kernelILi1024ELi8ELi16E21rocsparse_complex_numIdEEEv20rocsparse_direction_ii21rocsparse_index_base_PKT2_PKiS9_iiS4_PS5_PiSB_.kd
    .uniform_work_group_size: 1
    .uses_dynamic_stack: false
    .vgpr_count:     22
    .vgpr_spill_count: 0
    .wavefront_size: 64
  - .agpr_count:     0
    .args:
      - .offset:         0
        .size:           4
        .value_kind:     by_value
      - .offset:         4
        .size:           4
        .value_kind:     by_value
      - .offset:         8
        .size:           4
        .value_kind:     by_value
      - .offset:         12
        .size:           4
        .value_kind:     by_value
      - .actual_access:  read_only
        .address_space:  global
        .offset:         16
        .size:           8
        .value_kind:     global_buffer
      - .actual_access:  read_only
        .address_space:  global
        .offset:         24
        .size:           8
        .value_kind:     global_buffer
      - .actual_access:  read_only
        .address_space:  global
        .offset:         32
        .size:           8
        .value_kind:     global_buffer
      - .offset:         40
        .size:           4
        .value_kind:     by_value
      - .offset:         44
        .size:           4
        .value_kind:     by_value
      - .offset:         48
        .size:           4
        .value_kind:     by_value
      - .actual_access:  write_only
        .address_space:  global
        .offset:         56
        .size:           8
        .value_kind:     global_buffer
      - .actual_access:  write_only
        .address_space:  global
        .offset:         64
        .size:           8
        .value_kind:     global_buffer
      - .actual_access:  write_only
        .address_space:  global
        .offset:         72
        .size:           8
        .value_kind:     global_buffer
    .group_segment_fixed_size: 0
    .kernarg_segment_align: 8
    .kernarg_segment_size: 80
    .language:       OpenCL C
    .language_version:
      - 2
      - 0
    .max_flat_workgroup_size: 1024
    .name:           _ZN9rocsparseL35gebsr2csr_block_per_row_1_32_kernelILi1024ELi8ELi32E21rocsparse_complex_numIdEEEv20rocsparse_direction_ii21rocsparse_index_base_PKT2_PKiS9_iiS4_PS5_PiSB_
    .private_segment_fixed_size: 0
    .sgpr_count:     23
    .sgpr_spill_count: 0
    .symbol:         _ZN9rocsparseL35gebsr2csr_block_per_row_1_32_kernelILi1024ELi8ELi32E21rocsparse_complex_numIdEEEv20rocsparse_direction_ii21rocsparse_index_base_PKT2_PKiS9_iiS4_PS5_PiSB_.kd
    .uniform_work_group_size: 1
    .uses_dynamic_stack: false
    .vgpr_count:     22
    .vgpr_spill_count: 0
    .wavefront_size: 64
  - .agpr_count:     0
    .args:
      - .offset:         0
        .size:           4
        .value_kind:     by_value
      - .offset:         4
        .size:           4
        .value_kind:     by_value
      - .offset:         8
        .size:           4
        .value_kind:     by_value
      - .offset:         12
        .size:           4
        .value_kind:     by_value
      - .actual_access:  read_only
        .address_space:  global
        .offset:         16
        .size:           8
        .value_kind:     global_buffer
      - .actual_access:  read_only
        .address_space:  global
        .offset:         24
        .size:           8
        .value_kind:     global_buffer
      - .actual_access:  read_only
        .address_space:  global
        .offset:         32
        .size:           8
        .value_kind:     global_buffer
      - .offset:         40
        .size:           4
        .value_kind:     by_value
      - .offset:         44
        .size:           4
        .value_kind:     by_value
      - .offset:         48
        .size:           4
        .value_kind:     by_value
      - .actual_access:  write_only
        .address_space:  global
        .offset:         56
        .size:           8
        .value_kind:     global_buffer
      - .actual_access:  write_only
        .address_space:  global
        .offset:         64
        .size:           8
        .value_kind:     global_buffer
      - .actual_access:  write_only
        .address_space:  global
        .offset:         72
        .size:           8
        .value_kind:     global_buffer
    .group_segment_fixed_size: 0
    .kernarg_segment_align: 8
    .kernarg_segment_size: 80
    .language:       OpenCL C
    .language_version:
      - 2
      - 0
    .max_flat_workgroup_size: 1024
    .name:           _ZN9rocsparseL37gebsr2csr_block_per_row_33_128_kernelILi1024ELi8ELi64ELi8ELi32E21rocsparse_complex_numIdEEEv20rocsparse_direction_ii21rocsparse_index_base_PKT4_PKiS9_iiS4_PS5_PiSB_
    .private_segment_fixed_size: 0
    .sgpr_count:     29
    .sgpr_spill_count: 0
    .symbol:         _ZN9rocsparseL37gebsr2csr_block_per_row_33_128_kernelILi1024ELi8ELi64ELi8ELi32E21rocsparse_complex_numIdEEEv20rocsparse_direction_ii21rocsparse_index_base_PKT4_PKiS9_iiS4_PS5_PiSB_.kd
    .uniform_work_group_size: 1
    .uses_dynamic_stack: false
    .vgpr_count:     16
    .vgpr_spill_count: 0
    .wavefront_size: 64
  - .agpr_count:     0
    .args:
      - .offset:         0
        .size:           4
        .value_kind:     by_value
      - .offset:         4
        .size:           4
        .value_kind:     by_value
      - .offset:         8
        .size:           4
        .value_kind:     by_value
      - .offset:         12
        .size:           4
        .value_kind:     by_value
      - .actual_access:  read_only
        .address_space:  global
        .offset:         16
        .size:           8
        .value_kind:     global_buffer
      - .actual_access:  read_only
        .address_space:  global
        .offset:         24
        .size:           8
        .value_kind:     global_buffer
      - .actual_access:  read_only
        .address_space:  global
        .offset:         32
        .size:           8
        .value_kind:     global_buffer
      - .offset:         40
        .size:           4
        .value_kind:     by_value
      - .offset:         44
        .size:           4
        .value_kind:     by_value
      - .offset:         48
        .size:           4
        .value_kind:     by_value
      - .actual_access:  write_only
        .address_space:  global
        .offset:         56
        .size:           8
        .value_kind:     global_buffer
      - .actual_access:  write_only
        .address_space:  global
        .offset:         64
        .size:           8
        .value_kind:     global_buffer
      - .actual_access:  write_only
        .address_space:  global
        .offset:         72
        .size:           8
        .value_kind:     global_buffer
    .group_segment_fixed_size: 0
    .kernarg_segment_align: 8
    .kernarg_segment_size: 80
    .language:       OpenCL C
    .language_version:
      - 2
      - 0
    .max_flat_workgroup_size: 1024
    .name:           _ZN9rocsparseL37gebsr2csr_block_per_row_33_128_kernelILi1024ELi8ELi128ELi8ELi32E21rocsparse_complex_numIdEEEv20rocsparse_direction_ii21rocsparse_index_base_PKT4_PKiS9_iiS4_PS5_PiSB_
    .private_segment_fixed_size: 0
    .sgpr_count:     33
    .sgpr_spill_count: 0
    .symbol:         _ZN9rocsparseL37gebsr2csr_block_per_row_33_128_kernelILi1024ELi8ELi128ELi8ELi32E21rocsparse_complex_numIdEEEv20rocsparse_direction_ii21rocsparse_index_base_PKT4_PKiS9_iiS4_PS5_PiSB_.kd
    .uniform_work_group_size: 1
    .uses_dynamic_stack: false
    .vgpr_count:     21
    .vgpr_spill_count: 0
    .wavefront_size: 64
  - .agpr_count:     0
    .args:
      - .offset:         0
        .size:           4
        .value_kind:     by_value
      - .offset:         4
        .size:           4
        .value_kind:     by_value
      - .offset:         8
        .size:           4
        .value_kind:     by_value
      - .offset:         12
        .size:           4
        .value_kind:     by_value
      - .actual_access:  read_only
        .address_space:  global
        .offset:         16
        .size:           8
        .value_kind:     global_buffer
      - .actual_access:  read_only
        .address_space:  global
        .offset:         24
        .size:           8
        .value_kind:     global_buffer
      - .actual_access:  read_only
        .address_space:  global
        .offset:         32
        .size:           8
        .value_kind:     global_buffer
      - .offset:         40
        .size:           4
        .value_kind:     by_value
      - .offset:         44
        .size:           4
        .value_kind:     by_value
      - .offset:         48
        .size:           4
        .value_kind:     by_value
      - .actual_access:  write_only
        .address_space:  global
        .offset:         56
        .size:           8
        .value_kind:     global_buffer
      - .actual_access:  write_only
        .address_space:  global
        .offset:         64
        .size:           8
        .value_kind:     global_buffer
      - .actual_access:  write_only
        .address_space:  global
        .offset:         72
        .size:           8
        .value_kind:     global_buffer
    .group_segment_fixed_size: 0
    .kernarg_segment_align: 8
    .kernarg_segment_size: 80
    .language:       OpenCL C
    .language_version:
      - 2
      - 0
    .max_flat_workgroup_size: 1024
    .name:           _ZN9rocsparseL35gebsr2csr_block_per_row_1_32_kernelILi1024ELi16ELi2E21rocsparse_complex_numIdEEEv20rocsparse_direction_ii21rocsparse_index_base_PKT2_PKiS9_iiS4_PS5_PiSB_
    .private_segment_fixed_size: 0
    .sgpr_count:     23
    .sgpr_spill_count: 0
    .symbol:         _ZN9rocsparseL35gebsr2csr_block_per_row_1_32_kernelILi1024ELi16ELi2E21rocsparse_complex_numIdEEEv20rocsparse_direction_ii21rocsparse_index_base_PKT2_PKiS9_iiS4_PS5_PiSB_.kd
    .uniform_work_group_size: 1
    .uses_dynamic_stack: false
    .vgpr_count:     22
    .vgpr_spill_count: 0
    .wavefront_size: 64
  - .agpr_count:     0
    .args:
      - .offset:         0
        .size:           4
        .value_kind:     by_value
      - .offset:         4
        .size:           4
        .value_kind:     by_value
      - .offset:         8
        .size:           4
        .value_kind:     by_value
      - .offset:         12
        .size:           4
        .value_kind:     by_value
      - .actual_access:  read_only
        .address_space:  global
        .offset:         16
        .size:           8
        .value_kind:     global_buffer
      - .actual_access:  read_only
        .address_space:  global
        .offset:         24
        .size:           8
        .value_kind:     global_buffer
      - .actual_access:  read_only
        .address_space:  global
        .offset:         32
        .size:           8
        .value_kind:     global_buffer
      - .offset:         40
        .size:           4
        .value_kind:     by_value
      - .offset:         44
        .size:           4
        .value_kind:     by_value
      - .offset:         48
        .size:           4
        .value_kind:     by_value
      - .actual_access:  write_only
        .address_space:  global
        .offset:         56
        .size:           8
        .value_kind:     global_buffer
      - .actual_access:  write_only
        .address_space:  global
        .offset:         64
        .size:           8
        .value_kind:     global_buffer
      - .actual_access:  write_only
        .address_space:  global
        .offset:         72
        .size:           8
        .value_kind:     global_buffer
    .group_segment_fixed_size: 0
    .kernarg_segment_align: 8
    .kernarg_segment_size: 80
    .language:       OpenCL C
    .language_version:
      - 2
      - 0
    .max_flat_workgroup_size: 1024
    .name:           _ZN9rocsparseL35gebsr2csr_block_per_row_1_32_kernelILi1024ELi16ELi4E21rocsparse_complex_numIdEEEv20rocsparse_direction_ii21rocsparse_index_base_PKT2_PKiS9_iiS4_PS5_PiSB_
    .private_segment_fixed_size: 0
    .sgpr_count:     23
    .sgpr_spill_count: 0
    .symbol:         _ZN9rocsparseL35gebsr2csr_block_per_row_1_32_kernelILi1024ELi16ELi4E21rocsparse_complex_numIdEEEv20rocsparse_direction_ii21rocsparse_index_base_PKT2_PKiS9_iiS4_PS5_PiSB_.kd
    .uniform_work_group_size: 1
    .uses_dynamic_stack: false
    .vgpr_count:     22
    .vgpr_spill_count: 0
    .wavefront_size: 64
  - .agpr_count:     0
    .args:
      - .offset:         0
        .size:           4
        .value_kind:     by_value
      - .offset:         4
        .size:           4
        .value_kind:     by_value
      - .offset:         8
        .size:           4
        .value_kind:     by_value
      - .offset:         12
        .size:           4
        .value_kind:     by_value
      - .actual_access:  read_only
        .address_space:  global
        .offset:         16
        .size:           8
        .value_kind:     global_buffer
      - .actual_access:  read_only
        .address_space:  global
        .offset:         24
        .size:           8
        .value_kind:     global_buffer
      - .actual_access:  read_only
        .address_space:  global
        .offset:         32
        .size:           8
        .value_kind:     global_buffer
      - .offset:         40
        .size:           4
        .value_kind:     by_value
      - .offset:         44
        .size:           4
        .value_kind:     by_value
      - .offset:         48
        .size:           4
        .value_kind:     by_value
      - .actual_access:  write_only
        .address_space:  global
        .offset:         56
        .size:           8
        .value_kind:     global_buffer
      - .actual_access:  write_only
        .address_space:  global
        .offset:         64
        .size:           8
        .value_kind:     global_buffer
      - .actual_access:  write_only
        .address_space:  global
        .offset:         72
        .size:           8
        .value_kind:     global_buffer
    .group_segment_fixed_size: 0
    .kernarg_segment_align: 8
    .kernarg_segment_size: 80
    .language:       OpenCL C
    .language_version:
      - 2
      - 0
    .max_flat_workgroup_size: 1024
    .name:           _ZN9rocsparseL35gebsr2csr_block_per_row_1_32_kernelILi1024ELi16ELi8E21rocsparse_complex_numIdEEEv20rocsparse_direction_ii21rocsparse_index_base_PKT2_PKiS9_iiS4_PS5_PiSB_
    .private_segment_fixed_size: 0
    .sgpr_count:     23
    .sgpr_spill_count: 0
    .symbol:         _ZN9rocsparseL35gebsr2csr_block_per_row_1_32_kernelILi1024ELi16ELi8E21rocsparse_complex_numIdEEEv20rocsparse_direction_ii21rocsparse_index_base_PKT2_PKiS9_iiS4_PS5_PiSB_.kd
    .uniform_work_group_size: 1
    .uses_dynamic_stack: false
    .vgpr_count:     22
    .vgpr_spill_count: 0
    .wavefront_size: 64
  - .agpr_count:     0
    .args:
      - .offset:         0
        .size:           4
        .value_kind:     by_value
      - .offset:         4
        .size:           4
        .value_kind:     by_value
      - .offset:         8
        .size:           4
        .value_kind:     by_value
      - .offset:         12
        .size:           4
        .value_kind:     by_value
      - .actual_access:  read_only
        .address_space:  global
        .offset:         16
        .size:           8
        .value_kind:     global_buffer
      - .actual_access:  read_only
        .address_space:  global
        .offset:         24
        .size:           8
        .value_kind:     global_buffer
      - .actual_access:  read_only
        .address_space:  global
        .offset:         32
        .size:           8
        .value_kind:     global_buffer
      - .offset:         40
        .size:           4
        .value_kind:     by_value
      - .offset:         44
        .size:           4
        .value_kind:     by_value
      - .offset:         48
        .size:           4
        .value_kind:     by_value
      - .actual_access:  write_only
        .address_space:  global
        .offset:         56
        .size:           8
        .value_kind:     global_buffer
      - .actual_access:  write_only
        .address_space:  global
        .offset:         64
        .size:           8
        .value_kind:     global_buffer
      - .actual_access:  write_only
        .address_space:  global
        .offset:         72
        .size:           8
        .value_kind:     global_buffer
    .group_segment_fixed_size: 0
    .kernarg_segment_align: 8
    .kernarg_segment_size: 80
    .language:       OpenCL C
    .language_version:
      - 2
      - 0
    .max_flat_workgroup_size: 1024
    .name:           _ZN9rocsparseL35gebsr2csr_block_per_row_1_32_kernelILi1024ELi16ELi16E21rocsparse_complex_numIdEEEv20rocsparse_direction_ii21rocsparse_index_base_PKT2_PKiS9_iiS4_PS5_PiSB_
    .private_segment_fixed_size: 0
    .sgpr_count:     23
    .sgpr_spill_count: 0
    .symbol:         _ZN9rocsparseL35gebsr2csr_block_per_row_1_32_kernelILi1024ELi16ELi16E21rocsparse_complex_numIdEEEv20rocsparse_direction_ii21rocsparse_index_base_PKT2_PKiS9_iiS4_PS5_PiSB_.kd
    .uniform_work_group_size: 1
    .uses_dynamic_stack: false
    .vgpr_count:     22
    .vgpr_spill_count: 0
    .wavefront_size: 64
  - .agpr_count:     0
    .args:
      - .offset:         0
        .size:           4
        .value_kind:     by_value
      - .offset:         4
        .size:           4
        .value_kind:     by_value
      - .offset:         8
        .size:           4
        .value_kind:     by_value
      - .offset:         12
        .size:           4
        .value_kind:     by_value
      - .actual_access:  read_only
        .address_space:  global
        .offset:         16
        .size:           8
        .value_kind:     global_buffer
      - .actual_access:  read_only
        .address_space:  global
        .offset:         24
        .size:           8
        .value_kind:     global_buffer
      - .actual_access:  read_only
        .address_space:  global
        .offset:         32
        .size:           8
        .value_kind:     global_buffer
      - .offset:         40
        .size:           4
        .value_kind:     by_value
      - .offset:         44
        .size:           4
        .value_kind:     by_value
      - .offset:         48
        .size:           4
        .value_kind:     by_value
      - .actual_access:  write_only
        .address_space:  global
        .offset:         56
        .size:           8
        .value_kind:     global_buffer
      - .actual_access:  write_only
        .address_space:  global
        .offset:         64
        .size:           8
        .value_kind:     global_buffer
      - .actual_access:  write_only
        .address_space:  global
        .offset:         72
        .size:           8
        .value_kind:     global_buffer
    .group_segment_fixed_size: 0
    .kernarg_segment_align: 8
    .kernarg_segment_size: 80
    .language:       OpenCL C
    .language_version:
      - 2
      - 0
    .max_flat_workgroup_size: 1024
    .name:           _ZN9rocsparseL35gebsr2csr_block_per_row_1_32_kernelILi1024ELi16ELi32E21rocsparse_complex_numIdEEEv20rocsparse_direction_ii21rocsparse_index_base_PKT2_PKiS9_iiS4_PS5_PiSB_
    .private_segment_fixed_size: 0
    .sgpr_count:     23
    .sgpr_spill_count: 0
    .symbol:         _ZN9rocsparseL35gebsr2csr_block_per_row_1_32_kernelILi1024ELi16ELi32E21rocsparse_complex_numIdEEEv20rocsparse_direction_ii21rocsparse_index_base_PKT2_PKiS9_iiS4_PS5_PiSB_.kd
    .uniform_work_group_size: 1
    .uses_dynamic_stack: false
    .vgpr_count:     22
    .vgpr_spill_count: 0
    .wavefront_size: 64
  - .agpr_count:     0
    .args:
      - .offset:         0
        .size:           4
        .value_kind:     by_value
      - .offset:         4
        .size:           4
        .value_kind:     by_value
      - .offset:         8
        .size:           4
        .value_kind:     by_value
      - .offset:         12
        .size:           4
        .value_kind:     by_value
      - .actual_access:  read_only
        .address_space:  global
        .offset:         16
        .size:           8
        .value_kind:     global_buffer
      - .actual_access:  read_only
        .address_space:  global
        .offset:         24
        .size:           8
        .value_kind:     global_buffer
      - .actual_access:  read_only
        .address_space:  global
        .offset:         32
        .size:           8
        .value_kind:     global_buffer
      - .offset:         40
        .size:           4
        .value_kind:     by_value
      - .offset:         44
        .size:           4
        .value_kind:     by_value
      - .offset:         48
        .size:           4
        .value_kind:     by_value
      - .actual_access:  write_only
        .address_space:  global
        .offset:         56
        .size:           8
        .value_kind:     global_buffer
      - .actual_access:  write_only
        .address_space:  global
        .offset:         64
        .size:           8
        .value_kind:     global_buffer
      - .actual_access:  write_only
        .address_space:  global
        .offset:         72
        .size:           8
        .value_kind:     global_buffer
    .group_segment_fixed_size: 0
    .kernarg_segment_align: 8
    .kernarg_segment_size: 80
    .language:       OpenCL C
    .language_version:
      - 2
      - 0
    .max_flat_workgroup_size: 1024
    .name:           _ZN9rocsparseL37gebsr2csr_block_per_row_33_128_kernelILi1024ELi16ELi64ELi16ELi32E21rocsparse_complex_numIdEEEv20rocsparse_direction_ii21rocsparse_index_base_PKT4_PKiS9_iiS4_PS5_PiSB_
    .private_segment_fixed_size: 0
    .sgpr_count:     29
    .sgpr_spill_count: 0
    .symbol:         _ZN9rocsparseL37gebsr2csr_block_per_row_33_128_kernelILi1024ELi16ELi64ELi16ELi32E21rocsparse_complex_numIdEEEv20rocsparse_direction_ii21rocsparse_index_base_PKT4_PKiS9_iiS4_PS5_PiSB_.kd
    .uniform_work_group_size: 1
    .uses_dynamic_stack: false
    .vgpr_count:     16
    .vgpr_spill_count: 0
    .wavefront_size: 64
  - .agpr_count:     0
    .args:
      - .offset:         0
        .size:           4
        .value_kind:     by_value
      - .offset:         4
        .size:           4
        .value_kind:     by_value
      - .offset:         8
        .size:           4
        .value_kind:     by_value
      - .offset:         12
        .size:           4
        .value_kind:     by_value
      - .actual_access:  read_only
        .address_space:  global
        .offset:         16
        .size:           8
        .value_kind:     global_buffer
      - .actual_access:  read_only
        .address_space:  global
        .offset:         24
        .size:           8
        .value_kind:     global_buffer
      - .actual_access:  read_only
        .address_space:  global
        .offset:         32
        .size:           8
        .value_kind:     global_buffer
      - .offset:         40
        .size:           4
        .value_kind:     by_value
      - .offset:         44
        .size:           4
        .value_kind:     by_value
      - .offset:         48
        .size:           4
        .value_kind:     by_value
      - .actual_access:  write_only
        .address_space:  global
        .offset:         56
        .size:           8
        .value_kind:     global_buffer
      - .actual_access:  write_only
        .address_space:  global
        .offset:         64
        .size:           8
        .value_kind:     global_buffer
      - .actual_access:  write_only
        .address_space:  global
        .offset:         72
        .size:           8
        .value_kind:     global_buffer
    .group_segment_fixed_size: 0
    .kernarg_segment_align: 8
    .kernarg_segment_size: 80
    .language:       OpenCL C
    .language_version:
      - 2
      - 0
    .max_flat_workgroup_size: 1024
    .name:           _ZN9rocsparseL37gebsr2csr_block_per_row_33_128_kernelILi1024ELi16ELi128ELi16ELi32E21rocsparse_complex_numIdEEEv20rocsparse_direction_ii21rocsparse_index_base_PKT4_PKiS9_iiS4_PS5_PiSB_
    .private_segment_fixed_size: 0
    .sgpr_count:     33
    .sgpr_spill_count: 0
    .symbol:         _ZN9rocsparseL37gebsr2csr_block_per_row_33_128_kernelILi1024ELi16ELi128ELi16ELi32E21rocsparse_complex_numIdEEEv20rocsparse_direction_ii21rocsparse_index_base_PKT4_PKiS9_iiS4_PS5_PiSB_.kd
    .uniform_work_group_size: 1
    .uses_dynamic_stack: false
    .vgpr_count:     21
    .vgpr_spill_count: 0
    .wavefront_size: 64
  - .agpr_count:     0
    .args:
      - .offset:         0
        .size:           4
        .value_kind:     by_value
      - .offset:         4
        .size:           4
        .value_kind:     by_value
      - .offset:         8
        .size:           4
        .value_kind:     by_value
      - .offset:         12
        .size:           4
        .value_kind:     by_value
      - .actual_access:  read_only
        .address_space:  global
        .offset:         16
        .size:           8
        .value_kind:     global_buffer
      - .actual_access:  read_only
        .address_space:  global
        .offset:         24
        .size:           8
        .value_kind:     global_buffer
      - .actual_access:  read_only
        .address_space:  global
        .offset:         32
        .size:           8
        .value_kind:     global_buffer
      - .offset:         40
        .size:           4
        .value_kind:     by_value
      - .offset:         44
        .size:           4
        .value_kind:     by_value
      - .offset:         48
        .size:           4
        .value_kind:     by_value
      - .actual_access:  write_only
        .address_space:  global
        .offset:         56
        .size:           8
        .value_kind:     global_buffer
      - .actual_access:  write_only
        .address_space:  global
        .offset:         64
        .size:           8
        .value_kind:     global_buffer
      - .actual_access:  write_only
        .address_space:  global
        .offset:         72
        .size:           8
        .value_kind:     global_buffer
    .group_segment_fixed_size: 0
    .kernarg_segment_align: 8
    .kernarg_segment_size: 80
    .language:       OpenCL C
    .language_version:
      - 2
      - 0
    .max_flat_workgroup_size: 1024
    .name:           _ZN9rocsparseL35gebsr2csr_block_per_row_1_32_kernelILi1024ELi32ELi2E21rocsparse_complex_numIdEEEv20rocsparse_direction_ii21rocsparse_index_base_PKT2_PKiS9_iiS4_PS5_PiSB_
    .private_segment_fixed_size: 0
    .sgpr_count:     23
    .sgpr_spill_count: 0
    .symbol:         _ZN9rocsparseL35gebsr2csr_block_per_row_1_32_kernelILi1024ELi32ELi2E21rocsparse_complex_numIdEEEv20rocsparse_direction_ii21rocsparse_index_base_PKT2_PKiS9_iiS4_PS5_PiSB_.kd
    .uniform_work_group_size: 1
    .uses_dynamic_stack: false
    .vgpr_count:     22
    .vgpr_spill_count: 0
    .wavefront_size: 64
  - .agpr_count:     0
    .args:
      - .offset:         0
        .size:           4
        .value_kind:     by_value
      - .offset:         4
        .size:           4
        .value_kind:     by_value
      - .offset:         8
        .size:           4
        .value_kind:     by_value
      - .offset:         12
        .size:           4
        .value_kind:     by_value
      - .actual_access:  read_only
        .address_space:  global
        .offset:         16
        .size:           8
        .value_kind:     global_buffer
      - .actual_access:  read_only
        .address_space:  global
        .offset:         24
        .size:           8
        .value_kind:     global_buffer
      - .actual_access:  read_only
        .address_space:  global
        .offset:         32
        .size:           8
        .value_kind:     global_buffer
      - .offset:         40
        .size:           4
        .value_kind:     by_value
      - .offset:         44
        .size:           4
        .value_kind:     by_value
      - .offset:         48
        .size:           4
        .value_kind:     by_value
      - .actual_access:  write_only
        .address_space:  global
        .offset:         56
        .size:           8
        .value_kind:     global_buffer
      - .actual_access:  write_only
        .address_space:  global
        .offset:         64
        .size:           8
        .value_kind:     global_buffer
      - .actual_access:  write_only
        .address_space:  global
        .offset:         72
        .size:           8
        .value_kind:     global_buffer
    .group_segment_fixed_size: 0
    .kernarg_segment_align: 8
    .kernarg_segment_size: 80
    .language:       OpenCL C
    .language_version:
      - 2
      - 0
    .max_flat_workgroup_size: 1024
    .name:           _ZN9rocsparseL35gebsr2csr_block_per_row_1_32_kernelILi1024ELi32ELi4E21rocsparse_complex_numIdEEEv20rocsparse_direction_ii21rocsparse_index_base_PKT2_PKiS9_iiS4_PS5_PiSB_
    .private_segment_fixed_size: 0
    .sgpr_count:     23
    .sgpr_spill_count: 0
    .symbol:         _ZN9rocsparseL35gebsr2csr_block_per_row_1_32_kernelILi1024ELi32ELi4E21rocsparse_complex_numIdEEEv20rocsparse_direction_ii21rocsparse_index_base_PKT2_PKiS9_iiS4_PS5_PiSB_.kd
    .uniform_work_group_size: 1
    .uses_dynamic_stack: false
    .vgpr_count:     22
    .vgpr_spill_count: 0
    .wavefront_size: 64
  - .agpr_count:     0
    .args:
      - .offset:         0
        .size:           4
        .value_kind:     by_value
      - .offset:         4
        .size:           4
        .value_kind:     by_value
      - .offset:         8
        .size:           4
        .value_kind:     by_value
      - .offset:         12
        .size:           4
        .value_kind:     by_value
      - .actual_access:  read_only
        .address_space:  global
        .offset:         16
        .size:           8
        .value_kind:     global_buffer
      - .actual_access:  read_only
        .address_space:  global
        .offset:         24
        .size:           8
        .value_kind:     global_buffer
      - .actual_access:  read_only
        .address_space:  global
        .offset:         32
        .size:           8
        .value_kind:     global_buffer
      - .offset:         40
        .size:           4
        .value_kind:     by_value
      - .offset:         44
        .size:           4
        .value_kind:     by_value
      - .offset:         48
        .size:           4
        .value_kind:     by_value
      - .actual_access:  write_only
        .address_space:  global
        .offset:         56
        .size:           8
        .value_kind:     global_buffer
      - .actual_access:  write_only
        .address_space:  global
        .offset:         64
        .size:           8
        .value_kind:     global_buffer
      - .actual_access:  write_only
        .address_space:  global
        .offset:         72
        .size:           8
        .value_kind:     global_buffer
    .group_segment_fixed_size: 0
    .kernarg_segment_align: 8
    .kernarg_segment_size: 80
    .language:       OpenCL C
    .language_version:
      - 2
      - 0
    .max_flat_workgroup_size: 1024
    .name:           _ZN9rocsparseL35gebsr2csr_block_per_row_1_32_kernelILi1024ELi32ELi8E21rocsparse_complex_numIdEEEv20rocsparse_direction_ii21rocsparse_index_base_PKT2_PKiS9_iiS4_PS5_PiSB_
    .private_segment_fixed_size: 0
    .sgpr_count:     23
    .sgpr_spill_count: 0
    .symbol:         _ZN9rocsparseL35gebsr2csr_block_per_row_1_32_kernelILi1024ELi32ELi8E21rocsparse_complex_numIdEEEv20rocsparse_direction_ii21rocsparse_index_base_PKT2_PKiS9_iiS4_PS5_PiSB_.kd
    .uniform_work_group_size: 1
    .uses_dynamic_stack: false
    .vgpr_count:     22
    .vgpr_spill_count: 0
    .wavefront_size: 64
  - .agpr_count:     0
    .args:
      - .offset:         0
        .size:           4
        .value_kind:     by_value
      - .offset:         4
        .size:           4
        .value_kind:     by_value
      - .offset:         8
        .size:           4
        .value_kind:     by_value
      - .offset:         12
        .size:           4
        .value_kind:     by_value
      - .actual_access:  read_only
        .address_space:  global
        .offset:         16
        .size:           8
        .value_kind:     global_buffer
      - .actual_access:  read_only
        .address_space:  global
        .offset:         24
        .size:           8
        .value_kind:     global_buffer
      - .actual_access:  read_only
        .address_space:  global
        .offset:         32
        .size:           8
        .value_kind:     global_buffer
      - .offset:         40
        .size:           4
        .value_kind:     by_value
      - .offset:         44
        .size:           4
        .value_kind:     by_value
      - .offset:         48
        .size:           4
        .value_kind:     by_value
      - .actual_access:  write_only
        .address_space:  global
        .offset:         56
        .size:           8
        .value_kind:     global_buffer
      - .actual_access:  write_only
        .address_space:  global
        .offset:         64
        .size:           8
        .value_kind:     global_buffer
      - .actual_access:  write_only
        .address_space:  global
        .offset:         72
        .size:           8
        .value_kind:     global_buffer
    .group_segment_fixed_size: 0
    .kernarg_segment_align: 8
    .kernarg_segment_size: 80
    .language:       OpenCL C
    .language_version:
      - 2
      - 0
    .max_flat_workgroup_size: 1024
    .name:           _ZN9rocsparseL35gebsr2csr_block_per_row_1_32_kernelILi1024ELi32ELi16E21rocsparse_complex_numIdEEEv20rocsparse_direction_ii21rocsparse_index_base_PKT2_PKiS9_iiS4_PS5_PiSB_
    .private_segment_fixed_size: 0
    .sgpr_count:     23
    .sgpr_spill_count: 0
    .symbol:         _ZN9rocsparseL35gebsr2csr_block_per_row_1_32_kernelILi1024ELi32ELi16E21rocsparse_complex_numIdEEEv20rocsparse_direction_ii21rocsparse_index_base_PKT2_PKiS9_iiS4_PS5_PiSB_.kd
    .uniform_work_group_size: 1
    .uses_dynamic_stack: false
    .vgpr_count:     22
    .vgpr_spill_count: 0
    .wavefront_size: 64
  - .agpr_count:     0
    .args:
      - .offset:         0
        .size:           4
        .value_kind:     by_value
      - .offset:         4
        .size:           4
        .value_kind:     by_value
      - .offset:         8
        .size:           4
        .value_kind:     by_value
      - .offset:         12
        .size:           4
        .value_kind:     by_value
      - .actual_access:  read_only
        .address_space:  global
        .offset:         16
        .size:           8
        .value_kind:     global_buffer
      - .actual_access:  read_only
        .address_space:  global
        .offset:         24
        .size:           8
        .value_kind:     global_buffer
      - .actual_access:  read_only
        .address_space:  global
        .offset:         32
        .size:           8
        .value_kind:     global_buffer
      - .offset:         40
        .size:           4
        .value_kind:     by_value
      - .offset:         44
        .size:           4
        .value_kind:     by_value
      - .offset:         48
        .size:           4
        .value_kind:     by_value
      - .actual_access:  write_only
        .address_space:  global
        .offset:         56
        .size:           8
        .value_kind:     global_buffer
      - .actual_access:  write_only
        .address_space:  global
        .offset:         64
        .size:           8
        .value_kind:     global_buffer
      - .actual_access:  write_only
        .address_space:  global
        .offset:         72
        .size:           8
        .value_kind:     global_buffer
    .group_segment_fixed_size: 0
    .kernarg_segment_align: 8
    .kernarg_segment_size: 80
    .language:       OpenCL C
    .language_version:
      - 2
      - 0
    .max_flat_workgroup_size: 1024
    .name:           _ZN9rocsparseL35gebsr2csr_block_per_row_1_32_kernelILi1024ELi32ELi32E21rocsparse_complex_numIdEEEv20rocsparse_direction_ii21rocsparse_index_base_PKT2_PKiS9_iiS4_PS5_PiSB_
    .private_segment_fixed_size: 0
    .sgpr_count:     24
    .sgpr_spill_count: 0
    .symbol:         _ZN9rocsparseL35gebsr2csr_block_per_row_1_32_kernelILi1024ELi32ELi32E21rocsparse_complex_numIdEEEv20rocsparse_direction_ii21rocsparse_index_base_PKT2_PKiS9_iiS4_PS5_PiSB_.kd
    .uniform_work_group_size: 1
    .uses_dynamic_stack: false
    .vgpr_count:     16
    .vgpr_spill_count: 0
    .wavefront_size: 64
  - .agpr_count:     0
    .args:
      - .offset:         0
        .size:           4
        .value_kind:     by_value
      - .offset:         4
        .size:           4
        .value_kind:     by_value
      - .offset:         8
        .size:           4
        .value_kind:     by_value
      - .offset:         12
        .size:           4
        .value_kind:     by_value
      - .actual_access:  read_only
        .address_space:  global
        .offset:         16
        .size:           8
        .value_kind:     global_buffer
      - .actual_access:  read_only
        .address_space:  global
        .offset:         24
        .size:           8
        .value_kind:     global_buffer
      - .actual_access:  read_only
        .address_space:  global
        .offset:         32
        .size:           8
        .value_kind:     global_buffer
      - .offset:         40
        .size:           4
        .value_kind:     by_value
      - .offset:         44
        .size:           4
        .value_kind:     by_value
      - .offset:         48
        .size:           4
        .value_kind:     by_value
      - .actual_access:  write_only
        .address_space:  global
        .offset:         56
        .size:           8
        .value_kind:     global_buffer
      - .actual_access:  write_only
        .address_space:  global
        .offset:         64
        .size:           8
        .value_kind:     global_buffer
      - .actual_access:  write_only
        .address_space:  global
        .offset:         72
        .size:           8
        .value_kind:     global_buffer
    .group_segment_fixed_size: 0
    .kernarg_segment_align: 8
    .kernarg_segment_size: 80
    .language:       OpenCL C
    .language_version:
      - 2
      - 0
    .max_flat_workgroup_size: 1024
    .name:           _ZN9rocsparseL37gebsr2csr_block_per_row_33_128_kernelILi1024ELi32ELi64ELi32ELi32E21rocsparse_complex_numIdEEEv20rocsparse_direction_ii21rocsparse_index_base_PKT4_PKiS9_iiS4_PS5_PiSB_
    .private_segment_fixed_size: 0
    .sgpr_count:     29
    .sgpr_spill_count: 0
    .symbol:         _ZN9rocsparseL37gebsr2csr_block_per_row_33_128_kernelILi1024ELi32ELi64ELi32ELi32E21rocsparse_complex_numIdEEEv20rocsparse_direction_ii21rocsparse_index_base_PKT4_PKiS9_iiS4_PS5_PiSB_.kd
    .uniform_work_group_size: 1
    .uses_dynamic_stack: false
    .vgpr_count:     16
    .vgpr_spill_count: 0
    .wavefront_size: 64
  - .agpr_count:     0
    .args:
      - .offset:         0
        .size:           4
        .value_kind:     by_value
      - .offset:         4
        .size:           4
        .value_kind:     by_value
      - .offset:         8
        .size:           4
        .value_kind:     by_value
      - .offset:         12
        .size:           4
        .value_kind:     by_value
      - .actual_access:  read_only
        .address_space:  global
        .offset:         16
        .size:           8
        .value_kind:     global_buffer
      - .actual_access:  read_only
        .address_space:  global
        .offset:         24
        .size:           8
        .value_kind:     global_buffer
      - .actual_access:  read_only
        .address_space:  global
        .offset:         32
        .size:           8
        .value_kind:     global_buffer
      - .offset:         40
        .size:           4
        .value_kind:     by_value
      - .offset:         44
        .size:           4
        .value_kind:     by_value
      - .offset:         48
        .size:           4
        .value_kind:     by_value
      - .actual_access:  write_only
        .address_space:  global
        .offset:         56
        .size:           8
        .value_kind:     global_buffer
      - .actual_access:  write_only
        .address_space:  global
        .offset:         64
        .size:           8
        .value_kind:     global_buffer
      - .actual_access:  write_only
        .address_space:  global
        .offset:         72
        .size:           8
        .value_kind:     global_buffer
    .group_segment_fixed_size: 0
    .kernarg_segment_align: 8
    .kernarg_segment_size: 80
    .language:       OpenCL C
    .language_version:
      - 2
      - 0
    .max_flat_workgroup_size: 1024
    .name:           _ZN9rocsparseL37gebsr2csr_block_per_row_33_128_kernelILi1024ELi32ELi128ELi32ELi32E21rocsparse_complex_numIdEEEv20rocsparse_direction_ii21rocsparse_index_base_PKT4_PKiS9_iiS4_PS5_PiSB_
    .private_segment_fixed_size: 0
    .sgpr_count:     33
    .sgpr_spill_count: 0
    .symbol:         _ZN9rocsparseL37gebsr2csr_block_per_row_33_128_kernelILi1024ELi32ELi128ELi32ELi32E21rocsparse_complex_numIdEEEv20rocsparse_direction_ii21rocsparse_index_base_PKT4_PKiS9_iiS4_PS5_PiSB_.kd
    .uniform_work_group_size: 1
    .uses_dynamic_stack: false
    .vgpr_count:     21
    .vgpr_spill_count: 0
    .wavefront_size: 64
  - .agpr_count:     0
    .args:
      - .offset:         0
        .size:           4
        .value_kind:     by_value
      - .offset:         4
        .size:           4
        .value_kind:     by_value
      - .offset:         8
        .size:           4
        .value_kind:     by_value
      - .offset:         12
        .size:           4
        .value_kind:     by_value
      - .actual_access:  read_only
        .address_space:  global
        .offset:         16
        .size:           8
        .value_kind:     global_buffer
      - .actual_access:  read_only
        .address_space:  global
        .offset:         24
        .size:           8
        .value_kind:     global_buffer
      - .actual_access:  read_only
        .address_space:  global
        .offset:         32
        .size:           8
        .value_kind:     global_buffer
      - .offset:         40
        .size:           4
        .value_kind:     by_value
      - .offset:         44
        .size:           4
        .value_kind:     by_value
      - .offset:         48
        .size:           4
        .value_kind:     by_value
      - .actual_access:  write_only
        .address_space:  global
        .offset:         56
        .size:           8
        .value_kind:     global_buffer
      - .actual_access:  write_only
        .address_space:  global
        .offset:         64
        .size:           8
        .value_kind:     global_buffer
      - .actual_access:  write_only
        .address_space:  global
        .offset:         72
        .size:           8
        .value_kind:     global_buffer
    .group_segment_fixed_size: 0
    .kernarg_segment_align: 8
    .kernarg_segment_size: 80
    .language:       OpenCL C
    .language_version:
      - 2
      - 0
    .max_flat_workgroup_size: 1024
    .name:           _ZN9rocsparseL37gebsr2csr_block_per_row_33_128_kernelILi1024ELi64ELi2ELi32ELi2E21rocsparse_complex_numIdEEEv20rocsparse_direction_ii21rocsparse_index_base_PKT4_PKiS9_iiS4_PS5_PiSB_
    .private_segment_fixed_size: 0
    .sgpr_count:     33
    .sgpr_spill_count: 0
    .symbol:         _ZN9rocsparseL37gebsr2csr_block_per_row_33_128_kernelILi1024ELi64ELi2ELi32ELi2E21rocsparse_complex_numIdEEEv20rocsparse_direction_ii21rocsparse_index_base_PKT4_PKiS9_iiS4_PS5_PiSB_.kd
    .uniform_work_group_size: 1
    .uses_dynamic_stack: false
    .vgpr_count:     17
    .vgpr_spill_count: 0
    .wavefront_size: 64
  - .agpr_count:     0
    .args:
      - .offset:         0
        .size:           4
        .value_kind:     by_value
      - .offset:         4
        .size:           4
        .value_kind:     by_value
      - .offset:         8
        .size:           4
        .value_kind:     by_value
      - .offset:         12
        .size:           4
        .value_kind:     by_value
      - .actual_access:  read_only
        .address_space:  global
        .offset:         16
        .size:           8
        .value_kind:     global_buffer
      - .actual_access:  read_only
        .address_space:  global
        .offset:         24
        .size:           8
        .value_kind:     global_buffer
      - .actual_access:  read_only
        .address_space:  global
        .offset:         32
        .size:           8
        .value_kind:     global_buffer
      - .offset:         40
        .size:           4
        .value_kind:     by_value
      - .offset:         44
        .size:           4
        .value_kind:     by_value
      - .offset:         48
        .size:           4
        .value_kind:     by_value
      - .actual_access:  write_only
        .address_space:  global
        .offset:         56
        .size:           8
        .value_kind:     global_buffer
      - .actual_access:  write_only
        .address_space:  global
        .offset:         64
        .size:           8
        .value_kind:     global_buffer
      - .actual_access:  write_only
        .address_space:  global
        .offset:         72
        .size:           8
        .value_kind:     global_buffer
    .group_segment_fixed_size: 0
    .kernarg_segment_align: 8
    .kernarg_segment_size: 80
    .language:       OpenCL C
    .language_version:
      - 2
      - 0
    .max_flat_workgroup_size: 1024
    .name:           _ZN9rocsparseL37gebsr2csr_block_per_row_33_128_kernelILi1024ELi64ELi4ELi32ELi4E21rocsparse_complex_numIdEEEv20rocsparse_direction_ii21rocsparse_index_base_PKT4_PKiS9_iiS4_PS5_PiSB_
    .private_segment_fixed_size: 0
    .sgpr_count:     33
    .sgpr_spill_count: 0
    .symbol:         _ZN9rocsparseL37gebsr2csr_block_per_row_33_128_kernelILi1024ELi64ELi4ELi32ELi4E21rocsparse_complex_numIdEEEv20rocsparse_direction_ii21rocsparse_index_base_PKT4_PKiS9_iiS4_PS5_PiSB_.kd
    .uniform_work_group_size: 1
    .uses_dynamic_stack: false
    .vgpr_count:     17
    .vgpr_spill_count: 0
    .wavefront_size: 64
  - .agpr_count:     0
    .args:
      - .offset:         0
        .size:           4
        .value_kind:     by_value
      - .offset:         4
        .size:           4
        .value_kind:     by_value
      - .offset:         8
        .size:           4
        .value_kind:     by_value
      - .offset:         12
        .size:           4
        .value_kind:     by_value
      - .actual_access:  read_only
        .address_space:  global
        .offset:         16
        .size:           8
        .value_kind:     global_buffer
      - .actual_access:  read_only
        .address_space:  global
        .offset:         24
        .size:           8
        .value_kind:     global_buffer
      - .actual_access:  read_only
        .address_space:  global
        .offset:         32
        .size:           8
        .value_kind:     global_buffer
      - .offset:         40
        .size:           4
        .value_kind:     by_value
      - .offset:         44
        .size:           4
        .value_kind:     by_value
      - .offset:         48
        .size:           4
        .value_kind:     by_value
      - .actual_access:  write_only
        .address_space:  global
        .offset:         56
        .size:           8
        .value_kind:     global_buffer
      - .actual_access:  write_only
        .address_space:  global
        .offset:         64
        .size:           8
        .value_kind:     global_buffer
      - .actual_access:  write_only
        .address_space:  global
        .offset:         72
        .size:           8
        .value_kind:     global_buffer
    .group_segment_fixed_size: 0
    .kernarg_segment_align: 8
    .kernarg_segment_size: 80
    .language:       OpenCL C
    .language_version:
      - 2
      - 0
    .max_flat_workgroup_size: 1024
    .name:           _ZN9rocsparseL37gebsr2csr_block_per_row_33_128_kernelILi1024ELi64ELi8ELi32ELi8E21rocsparse_complex_numIdEEEv20rocsparse_direction_ii21rocsparse_index_base_PKT4_PKiS9_iiS4_PS5_PiSB_
    .private_segment_fixed_size: 0
    .sgpr_count:     33
    .sgpr_spill_count: 0
    .symbol:         _ZN9rocsparseL37gebsr2csr_block_per_row_33_128_kernelILi1024ELi64ELi8ELi32ELi8E21rocsparse_complex_numIdEEEv20rocsparse_direction_ii21rocsparse_index_base_PKT4_PKiS9_iiS4_PS5_PiSB_.kd
    .uniform_work_group_size: 1
    .uses_dynamic_stack: false
    .vgpr_count:     17
    .vgpr_spill_count: 0
    .wavefront_size: 64
  - .agpr_count:     0
    .args:
      - .offset:         0
        .size:           4
        .value_kind:     by_value
      - .offset:         4
        .size:           4
        .value_kind:     by_value
      - .offset:         8
        .size:           4
        .value_kind:     by_value
      - .offset:         12
        .size:           4
        .value_kind:     by_value
      - .actual_access:  read_only
        .address_space:  global
        .offset:         16
        .size:           8
        .value_kind:     global_buffer
      - .actual_access:  read_only
        .address_space:  global
        .offset:         24
        .size:           8
        .value_kind:     global_buffer
      - .actual_access:  read_only
        .address_space:  global
        .offset:         32
        .size:           8
        .value_kind:     global_buffer
      - .offset:         40
        .size:           4
        .value_kind:     by_value
      - .offset:         44
        .size:           4
        .value_kind:     by_value
      - .offset:         48
        .size:           4
        .value_kind:     by_value
      - .actual_access:  write_only
        .address_space:  global
        .offset:         56
        .size:           8
        .value_kind:     global_buffer
      - .actual_access:  write_only
        .address_space:  global
        .offset:         64
        .size:           8
        .value_kind:     global_buffer
      - .actual_access:  write_only
        .address_space:  global
        .offset:         72
        .size:           8
        .value_kind:     global_buffer
    .group_segment_fixed_size: 0
    .kernarg_segment_align: 8
    .kernarg_segment_size: 80
    .language:       OpenCL C
    .language_version:
      - 2
      - 0
    .max_flat_workgroup_size: 1024
    .name:           _ZN9rocsparseL37gebsr2csr_block_per_row_33_128_kernelILi1024ELi64ELi16ELi32ELi16E21rocsparse_complex_numIdEEEv20rocsparse_direction_ii21rocsparse_index_base_PKT4_PKiS9_iiS4_PS5_PiSB_
    .private_segment_fixed_size: 0
    .sgpr_count:     33
    .sgpr_spill_count: 0
    .symbol:         _ZN9rocsparseL37gebsr2csr_block_per_row_33_128_kernelILi1024ELi64ELi16ELi32ELi16E21rocsparse_complex_numIdEEEv20rocsparse_direction_ii21rocsparse_index_base_PKT4_PKiS9_iiS4_PS5_PiSB_.kd
    .uniform_work_group_size: 1
    .uses_dynamic_stack: false
    .vgpr_count:     17
    .vgpr_spill_count: 0
    .wavefront_size: 64
  - .agpr_count:     0
    .args:
      - .offset:         0
        .size:           4
        .value_kind:     by_value
      - .offset:         4
        .size:           4
        .value_kind:     by_value
      - .offset:         8
        .size:           4
        .value_kind:     by_value
      - .offset:         12
        .size:           4
        .value_kind:     by_value
      - .actual_access:  read_only
        .address_space:  global
        .offset:         16
        .size:           8
        .value_kind:     global_buffer
      - .actual_access:  read_only
        .address_space:  global
        .offset:         24
        .size:           8
        .value_kind:     global_buffer
      - .actual_access:  read_only
        .address_space:  global
        .offset:         32
        .size:           8
        .value_kind:     global_buffer
      - .offset:         40
        .size:           4
        .value_kind:     by_value
      - .offset:         44
        .size:           4
        .value_kind:     by_value
      - .offset:         48
        .size:           4
        .value_kind:     by_value
      - .actual_access:  write_only
        .address_space:  global
        .offset:         56
        .size:           8
        .value_kind:     global_buffer
      - .actual_access:  write_only
        .address_space:  global
        .offset:         64
        .size:           8
        .value_kind:     global_buffer
      - .actual_access:  write_only
        .address_space:  global
        .offset:         72
        .size:           8
        .value_kind:     global_buffer
    .group_segment_fixed_size: 0
    .kernarg_segment_align: 8
    .kernarg_segment_size: 80
    .language:       OpenCL C
    .language_version:
      - 2
      - 0
    .max_flat_workgroup_size: 1024
    .name:           _ZN9rocsparseL37gebsr2csr_block_per_row_33_128_kernelILi1024ELi64ELi32ELi32ELi32E21rocsparse_complex_numIdEEEv20rocsparse_direction_ii21rocsparse_index_base_PKT4_PKiS9_iiS4_PS5_PiSB_
    .private_segment_fixed_size: 0
    .sgpr_count:     33
    .sgpr_spill_count: 0
    .symbol:         _ZN9rocsparseL37gebsr2csr_block_per_row_33_128_kernelILi1024ELi64ELi32ELi32ELi32E21rocsparse_complex_numIdEEEv20rocsparse_direction_ii21rocsparse_index_base_PKT4_PKiS9_iiS4_PS5_PiSB_.kd
    .uniform_work_group_size: 1
    .uses_dynamic_stack: false
    .vgpr_count:     17
    .vgpr_spill_count: 0
    .wavefront_size: 64
  - .agpr_count:     0
    .args:
      - .offset:         0
        .size:           4
        .value_kind:     by_value
      - .offset:         4
        .size:           4
        .value_kind:     by_value
      - .offset:         8
        .size:           4
        .value_kind:     by_value
      - .offset:         12
        .size:           4
        .value_kind:     by_value
      - .actual_access:  read_only
        .address_space:  global
        .offset:         16
        .size:           8
        .value_kind:     global_buffer
      - .actual_access:  read_only
        .address_space:  global
        .offset:         24
        .size:           8
        .value_kind:     global_buffer
      - .actual_access:  read_only
        .address_space:  global
        .offset:         32
        .size:           8
        .value_kind:     global_buffer
      - .offset:         40
        .size:           4
        .value_kind:     by_value
      - .offset:         44
        .size:           4
        .value_kind:     by_value
      - .offset:         48
        .size:           4
        .value_kind:     by_value
      - .actual_access:  write_only
        .address_space:  global
        .offset:         56
        .size:           8
        .value_kind:     global_buffer
      - .actual_access:  write_only
        .address_space:  global
        .offset:         64
        .size:           8
        .value_kind:     global_buffer
      - .actual_access:  write_only
        .address_space:  global
        .offset:         72
        .size:           8
        .value_kind:     global_buffer
    .group_segment_fixed_size: 0
    .kernarg_segment_align: 8
    .kernarg_segment_size: 80
    .language:       OpenCL C
    .language_version:
      - 2
      - 0
    .max_flat_workgroup_size: 1024
    .name:           _ZN9rocsparseL37gebsr2csr_block_per_row_33_128_kernelILi1024ELi64ELi64ELi32ELi32E21rocsparse_complex_numIdEEEv20rocsparse_direction_ii21rocsparse_index_base_PKT4_PKiS9_iiS4_PS5_PiSB_
    .private_segment_fixed_size: 0
    .sgpr_count:     34
    .sgpr_spill_count: 0
    .symbol:         _ZN9rocsparseL37gebsr2csr_block_per_row_33_128_kernelILi1024ELi64ELi64ELi32ELi32E21rocsparse_complex_numIdEEEv20rocsparse_direction_ii21rocsparse_index_base_PKT4_PKiS9_iiS4_PS5_PiSB_.kd
    .uniform_work_group_size: 1
    .uses_dynamic_stack: false
    .vgpr_count:     22
    .vgpr_spill_count: 0
    .wavefront_size: 64
  - .agpr_count:     0
    .args:
      - .offset:         0
        .size:           4
        .value_kind:     by_value
      - .offset:         4
        .size:           4
        .value_kind:     by_value
      - .offset:         8
        .size:           4
        .value_kind:     by_value
      - .offset:         12
        .size:           4
        .value_kind:     by_value
      - .actual_access:  read_only
        .address_space:  global
        .offset:         16
        .size:           8
        .value_kind:     global_buffer
      - .actual_access:  read_only
        .address_space:  global
        .offset:         24
        .size:           8
        .value_kind:     global_buffer
      - .actual_access:  read_only
        .address_space:  global
        .offset:         32
        .size:           8
        .value_kind:     global_buffer
      - .offset:         40
        .size:           4
        .value_kind:     by_value
      - .offset:         44
        .size:           4
        .value_kind:     by_value
      - .offset:         48
        .size:           4
        .value_kind:     by_value
      - .actual_access:  write_only
        .address_space:  global
        .offset:         56
        .size:           8
        .value_kind:     global_buffer
      - .actual_access:  write_only
        .address_space:  global
        .offset:         64
        .size:           8
        .value_kind:     global_buffer
      - .actual_access:  write_only
        .address_space:  global
        .offset:         72
        .size:           8
        .value_kind:     global_buffer
    .group_segment_fixed_size: 0
    .kernarg_segment_align: 8
    .kernarg_segment_size: 80
    .language:       OpenCL C
    .language_version:
      - 2
      - 0
    .max_flat_workgroup_size: 1024
    .name:           _ZN9rocsparseL37gebsr2csr_block_per_row_33_128_kernelILi1024ELi64ELi128ELi32ELi32E21rocsparse_complex_numIdEEEv20rocsparse_direction_ii21rocsparse_index_base_PKT4_PKiS9_iiS4_PS5_PiSB_
    .private_segment_fixed_size: 0
    .sgpr_count:     46
    .sgpr_spill_count: 0
    .symbol:         _ZN9rocsparseL37gebsr2csr_block_per_row_33_128_kernelILi1024ELi64ELi128ELi32ELi32E21rocsparse_complex_numIdEEEv20rocsparse_direction_ii21rocsparse_index_base_PKT4_PKiS9_iiS4_PS5_PiSB_.kd
    .uniform_work_group_size: 1
    .uses_dynamic_stack: false
    .vgpr_count:     27
    .vgpr_spill_count: 0
    .wavefront_size: 64
  - .agpr_count:     0
    .args:
      - .offset:         0
        .size:           4
        .value_kind:     by_value
      - .offset:         4
        .size:           4
        .value_kind:     by_value
      - .offset:         8
        .size:           4
        .value_kind:     by_value
      - .offset:         12
        .size:           4
        .value_kind:     by_value
      - .actual_access:  read_only
        .address_space:  global
        .offset:         16
        .size:           8
        .value_kind:     global_buffer
      - .actual_access:  read_only
        .address_space:  global
        .offset:         24
        .size:           8
        .value_kind:     global_buffer
      - .actual_access:  read_only
        .address_space:  global
        .offset:         32
        .size:           8
        .value_kind:     global_buffer
      - .offset:         40
        .size:           4
        .value_kind:     by_value
      - .offset:         44
        .size:           4
        .value_kind:     by_value
      - .offset:         48
        .size:           4
        .value_kind:     by_value
      - .actual_access:  write_only
        .address_space:  global
        .offset:         56
        .size:           8
        .value_kind:     global_buffer
      - .actual_access:  write_only
        .address_space:  global
        .offset:         64
        .size:           8
        .value_kind:     global_buffer
      - .actual_access:  write_only
        .address_space:  global
        .offset:         72
        .size:           8
        .value_kind:     global_buffer
    .group_segment_fixed_size: 0
    .kernarg_segment_align: 8
    .kernarg_segment_size: 80
    .language:       OpenCL C
    .language_version:
      - 2
      - 0
    .max_flat_workgroup_size: 1024
    .name:           _ZN9rocsparseL37gebsr2csr_block_per_row_33_128_kernelILi1024ELi128ELi2ELi32ELi2E21rocsparse_complex_numIdEEEv20rocsparse_direction_ii21rocsparse_index_base_PKT4_PKiS9_iiS4_PS5_PiSB_
    .private_segment_fixed_size: 0
    .sgpr_count:     34
    .sgpr_spill_count: 0
    .symbol:         _ZN9rocsparseL37gebsr2csr_block_per_row_33_128_kernelILi1024ELi128ELi2ELi32ELi2E21rocsparse_complex_numIdEEEv20rocsparse_direction_ii21rocsparse_index_base_PKT4_PKiS9_iiS4_PS5_PiSB_.kd
    .uniform_work_group_size: 1
    .uses_dynamic_stack: false
    .vgpr_count:     21
    .vgpr_spill_count: 0
    .wavefront_size: 64
  - .agpr_count:     0
    .args:
      - .offset:         0
        .size:           4
        .value_kind:     by_value
      - .offset:         4
        .size:           4
        .value_kind:     by_value
      - .offset:         8
        .size:           4
        .value_kind:     by_value
      - .offset:         12
        .size:           4
        .value_kind:     by_value
      - .actual_access:  read_only
        .address_space:  global
        .offset:         16
        .size:           8
        .value_kind:     global_buffer
      - .actual_access:  read_only
        .address_space:  global
        .offset:         24
        .size:           8
        .value_kind:     global_buffer
      - .actual_access:  read_only
        .address_space:  global
        .offset:         32
        .size:           8
        .value_kind:     global_buffer
      - .offset:         40
        .size:           4
        .value_kind:     by_value
      - .offset:         44
        .size:           4
        .value_kind:     by_value
      - .offset:         48
        .size:           4
        .value_kind:     by_value
      - .actual_access:  write_only
        .address_space:  global
        .offset:         56
        .size:           8
        .value_kind:     global_buffer
      - .actual_access:  write_only
        .address_space:  global
        .offset:         64
        .size:           8
        .value_kind:     global_buffer
      - .actual_access:  write_only
        .address_space:  global
        .offset:         72
        .size:           8
        .value_kind:     global_buffer
    .group_segment_fixed_size: 0
    .kernarg_segment_align: 8
    .kernarg_segment_size: 80
    .language:       OpenCL C
    .language_version:
      - 2
      - 0
    .max_flat_workgroup_size: 1024
    .name:           _ZN9rocsparseL37gebsr2csr_block_per_row_33_128_kernelILi1024ELi128ELi4ELi32ELi4E21rocsparse_complex_numIdEEEv20rocsparse_direction_ii21rocsparse_index_base_PKT4_PKiS9_iiS4_PS5_PiSB_
    .private_segment_fixed_size: 0
    .sgpr_count:     34
    .sgpr_spill_count: 0
    .symbol:         _ZN9rocsparseL37gebsr2csr_block_per_row_33_128_kernelILi1024ELi128ELi4ELi32ELi4E21rocsparse_complex_numIdEEEv20rocsparse_direction_ii21rocsparse_index_base_PKT4_PKiS9_iiS4_PS5_PiSB_.kd
    .uniform_work_group_size: 1
    .uses_dynamic_stack: false
    .vgpr_count:     21
    .vgpr_spill_count: 0
    .wavefront_size: 64
  - .agpr_count:     0
    .args:
      - .offset:         0
        .size:           4
        .value_kind:     by_value
      - .offset:         4
        .size:           4
        .value_kind:     by_value
      - .offset:         8
        .size:           4
        .value_kind:     by_value
      - .offset:         12
        .size:           4
        .value_kind:     by_value
      - .actual_access:  read_only
        .address_space:  global
        .offset:         16
        .size:           8
        .value_kind:     global_buffer
      - .actual_access:  read_only
        .address_space:  global
        .offset:         24
        .size:           8
        .value_kind:     global_buffer
      - .actual_access:  read_only
        .address_space:  global
        .offset:         32
        .size:           8
        .value_kind:     global_buffer
      - .offset:         40
        .size:           4
        .value_kind:     by_value
      - .offset:         44
        .size:           4
        .value_kind:     by_value
      - .offset:         48
        .size:           4
        .value_kind:     by_value
      - .actual_access:  write_only
        .address_space:  global
        .offset:         56
        .size:           8
        .value_kind:     global_buffer
      - .actual_access:  write_only
        .address_space:  global
        .offset:         64
        .size:           8
        .value_kind:     global_buffer
      - .actual_access:  write_only
        .address_space:  global
        .offset:         72
        .size:           8
        .value_kind:     global_buffer
    .group_segment_fixed_size: 0
    .kernarg_segment_align: 8
    .kernarg_segment_size: 80
    .language:       OpenCL C
    .language_version:
      - 2
      - 0
    .max_flat_workgroup_size: 1024
    .name:           _ZN9rocsparseL37gebsr2csr_block_per_row_33_128_kernelILi1024ELi128ELi8ELi32ELi8E21rocsparse_complex_numIdEEEv20rocsparse_direction_ii21rocsparse_index_base_PKT4_PKiS9_iiS4_PS5_PiSB_
    .private_segment_fixed_size: 0
    .sgpr_count:     34
    .sgpr_spill_count: 0
    .symbol:         _ZN9rocsparseL37gebsr2csr_block_per_row_33_128_kernelILi1024ELi128ELi8ELi32ELi8E21rocsparse_complex_numIdEEEv20rocsparse_direction_ii21rocsparse_index_base_PKT4_PKiS9_iiS4_PS5_PiSB_.kd
    .uniform_work_group_size: 1
    .uses_dynamic_stack: false
    .vgpr_count:     21
    .vgpr_spill_count: 0
    .wavefront_size: 64
  - .agpr_count:     0
    .args:
      - .offset:         0
        .size:           4
        .value_kind:     by_value
      - .offset:         4
        .size:           4
        .value_kind:     by_value
      - .offset:         8
        .size:           4
        .value_kind:     by_value
      - .offset:         12
        .size:           4
        .value_kind:     by_value
      - .actual_access:  read_only
        .address_space:  global
        .offset:         16
        .size:           8
        .value_kind:     global_buffer
      - .actual_access:  read_only
        .address_space:  global
        .offset:         24
        .size:           8
        .value_kind:     global_buffer
      - .actual_access:  read_only
        .address_space:  global
        .offset:         32
        .size:           8
        .value_kind:     global_buffer
      - .offset:         40
        .size:           4
        .value_kind:     by_value
      - .offset:         44
        .size:           4
        .value_kind:     by_value
      - .offset:         48
        .size:           4
        .value_kind:     by_value
      - .actual_access:  write_only
        .address_space:  global
        .offset:         56
        .size:           8
        .value_kind:     global_buffer
      - .actual_access:  write_only
        .address_space:  global
        .offset:         64
        .size:           8
        .value_kind:     global_buffer
      - .actual_access:  write_only
        .address_space:  global
        .offset:         72
        .size:           8
        .value_kind:     global_buffer
    .group_segment_fixed_size: 0
    .kernarg_segment_align: 8
    .kernarg_segment_size: 80
    .language:       OpenCL C
    .language_version:
      - 2
      - 0
    .max_flat_workgroup_size: 1024
    .name:           _ZN9rocsparseL37gebsr2csr_block_per_row_33_128_kernelILi1024ELi128ELi16ELi32ELi16E21rocsparse_complex_numIdEEEv20rocsparse_direction_ii21rocsparse_index_base_PKT4_PKiS9_iiS4_PS5_PiSB_
    .private_segment_fixed_size: 0
    .sgpr_count:     34
    .sgpr_spill_count: 0
    .symbol:         _ZN9rocsparseL37gebsr2csr_block_per_row_33_128_kernelILi1024ELi128ELi16ELi32ELi16E21rocsparse_complex_numIdEEEv20rocsparse_direction_ii21rocsparse_index_base_PKT4_PKiS9_iiS4_PS5_PiSB_.kd
    .uniform_work_group_size: 1
    .uses_dynamic_stack: false
    .vgpr_count:     21
    .vgpr_spill_count: 0
    .wavefront_size: 64
  - .agpr_count:     0
    .args:
      - .offset:         0
        .size:           4
        .value_kind:     by_value
      - .offset:         4
        .size:           4
        .value_kind:     by_value
      - .offset:         8
        .size:           4
        .value_kind:     by_value
      - .offset:         12
        .size:           4
        .value_kind:     by_value
      - .actual_access:  read_only
        .address_space:  global
        .offset:         16
        .size:           8
        .value_kind:     global_buffer
      - .actual_access:  read_only
        .address_space:  global
        .offset:         24
        .size:           8
        .value_kind:     global_buffer
      - .actual_access:  read_only
        .address_space:  global
        .offset:         32
        .size:           8
        .value_kind:     global_buffer
      - .offset:         40
        .size:           4
        .value_kind:     by_value
      - .offset:         44
        .size:           4
        .value_kind:     by_value
      - .offset:         48
        .size:           4
        .value_kind:     by_value
      - .actual_access:  write_only
        .address_space:  global
        .offset:         56
        .size:           8
        .value_kind:     global_buffer
      - .actual_access:  write_only
        .address_space:  global
        .offset:         64
        .size:           8
        .value_kind:     global_buffer
      - .actual_access:  write_only
        .address_space:  global
        .offset:         72
        .size:           8
        .value_kind:     global_buffer
    .group_segment_fixed_size: 0
    .kernarg_segment_align: 8
    .kernarg_segment_size: 80
    .language:       OpenCL C
    .language_version:
      - 2
      - 0
    .max_flat_workgroup_size: 1024
    .name:           _ZN9rocsparseL37gebsr2csr_block_per_row_33_128_kernelILi1024ELi128ELi32ELi32ELi32E21rocsparse_complex_numIdEEEv20rocsparse_direction_ii21rocsparse_index_base_PKT4_PKiS9_iiS4_PS5_PiSB_
    .private_segment_fixed_size: 0
    .sgpr_count:     34
    .sgpr_spill_count: 0
    .symbol:         _ZN9rocsparseL37gebsr2csr_block_per_row_33_128_kernelILi1024ELi128ELi32ELi32ELi32E21rocsparse_complex_numIdEEEv20rocsparse_direction_ii21rocsparse_index_base_PKT4_PKiS9_iiS4_PS5_PiSB_.kd
    .uniform_work_group_size: 1
    .uses_dynamic_stack: false
    .vgpr_count:     21
    .vgpr_spill_count: 0
    .wavefront_size: 64
  - .agpr_count:     0
    .args:
      - .offset:         0
        .size:           4
        .value_kind:     by_value
      - .offset:         4
        .size:           4
        .value_kind:     by_value
      - .offset:         8
        .size:           4
        .value_kind:     by_value
      - .offset:         12
        .size:           4
        .value_kind:     by_value
      - .actual_access:  read_only
        .address_space:  global
        .offset:         16
        .size:           8
        .value_kind:     global_buffer
      - .actual_access:  read_only
        .address_space:  global
        .offset:         24
        .size:           8
        .value_kind:     global_buffer
      - .actual_access:  read_only
        .address_space:  global
        .offset:         32
        .size:           8
        .value_kind:     global_buffer
      - .offset:         40
        .size:           4
        .value_kind:     by_value
      - .offset:         44
        .size:           4
        .value_kind:     by_value
      - .offset:         48
        .size:           4
        .value_kind:     by_value
      - .actual_access:  write_only
        .address_space:  global
        .offset:         56
        .size:           8
        .value_kind:     global_buffer
      - .actual_access:  write_only
        .address_space:  global
        .offset:         64
        .size:           8
        .value_kind:     global_buffer
      - .actual_access:  write_only
        .address_space:  global
        .offset:         72
        .size:           8
        .value_kind:     global_buffer
    .group_segment_fixed_size: 0
    .kernarg_segment_align: 8
    .kernarg_segment_size: 80
    .language:       OpenCL C
    .language_version:
      - 2
      - 0
    .max_flat_workgroup_size: 1024
    .name:           _ZN9rocsparseL37gebsr2csr_block_per_row_33_128_kernelILi1024ELi128ELi64ELi32ELi32E21rocsparse_complex_numIdEEEv20rocsparse_direction_ii21rocsparse_index_base_PKT4_PKiS9_iiS4_PS5_PiSB_
    .private_segment_fixed_size: 0
    .sgpr_count:     44
    .sgpr_spill_count: 0
    .symbol:         _ZN9rocsparseL37gebsr2csr_block_per_row_33_128_kernelILi1024ELi128ELi64ELi32ELi32E21rocsparse_complex_numIdEEEv20rocsparse_direction_ii21rocsparse_index_base_PKT4_PKiS9_iiS4_PS5_PiSB_.kd
    .uniform_work_group_size: 1
    .uses_dynamic_stack: false
    .vgpr_count:     26
    .vgpr_spill_count: 0
    .wavefront_size: 64
  - .agpr_count:     0
    .args:
      - .offset:         0
        .size:           4
        .value_kind:     by_value
      - .offset:         4
        .size:           4
        .value_kind:     by_value
      - .offset:         8
        .size:           4
        .value_kind:     by_value
      - .offset:         12
        .size:           4
        .value_kind:     by_value
      - .actual_access:  read_only
        .address_space:  global
        .offset:         16
        .size:           8
        .value_kind:     global_buffer
      - .actual_access:  read_only
        .address_space:  global
        .offset:         24
        .size:           8
        .value_kind:     global_buffer
      - .actual_access:  read_only
        .address_space:  global
        .offset:         32
        .size:           8
        .value_kind:     global_buffer
      - .offset:         40
        .size:           4
        .value_kind:     by_value
      - .offset:         44
        .size:           4
        .value_kind:     by_value
      - .offset:         48
        .size:           4
        .value_kind:     by_value
      - .actual_access:  write_only
        .address_space:  global
        .offset:         56
        .size:           8
        .value_kind:     global_buffer
      - .actual_access:  write_only
        .address_space:  global
        .offset:         64
        .size:           8
        .value_kind:     global_buffer
      - .actual_access:  write_only
        .address_space:  global
        .offset:         72
        .size:           8
        .value_kind:     global_buffer
    .group_segment_fixed_size: 0
    .kernarg_segment_align: 8
    .kernarg_segment_size: 80
    .language:       OpenCL C
    .language_version:
      - 2
      - 0
    .max_flat_workgroup_size: 1024
    .name:           _ZN9rocsparseL37gebsr2csr_block_per_row_33_128_kernelILi1024ELi128ELi128ELi32ELi32E21rocsparse_complex_numIdEEEv20rocsparse_direction_ii21rocsparse_index_base_PKT4_PKiS9_iiS4_PS5_PiSB_
    .private_segment_fixed_size: 0
    .sgpr_count:     62
    .sgpr_spill_count: 0
    .symbol:         _ZN9rocsparseL37gebsr2csr_block_per_row_33_128_kernelILi1024ELi128ELi128ELi32ELi32E21rocsparse_complex_numIdEEEv20rocsparse_direction_ii21rocsparse_index_base_PKT4_PKiS9_iiS4_PS5_PiSB_.kd
    .uniform_work_group_size: 1
    .uses_dynamic_stack: false
    .vgpr_count:     34
    .vgpr_spill_count: 0
    .wavefront_size: 64
amdhsa.target:   amdgcn-amd-amdhsa--gfx90a
amdhsa.version:
  - 1
  - 2
...

	.end_amdgpu_metadata
